;; amdgpu-corpus repo=pytorch/pytorch kind=compiled arch=gfx90a opt=O3
	.text
	.amdgcn_target "amdgcn-amd-amdhsa--gfx90a"
	.amdhsa_code_object_version 6
	.section	.text._ZN2at6native12_GLOBAL__N_125multi_tensor_apply_kernelINS1_18TensorListMetadataILi1EEENS1_21BinaryOpScalarFunctorIhLi1ELi1ELi0EEEJSt4plusIhEhEEEvT_T0_DpT1_,"axG",@progbits,_ZN2at6native12_GLOBAL__N_125multi_tensor_apply_kernelINS1_18TensorListMetadataILi1EEENS1_21BinaryOpScalarFunctorIhLi1ELi1ELi0EEEJSt4plusIhEhEEEvT_T0_DpT1_,comdat
	.globl	_ZN2at6native12_GLOBAL__N_125multi_tensor_apply_kernelINS1_18TensorListMetadataILi1EEENS1_21BinaryOpScalarFunctorIhLi1ELi1ELi0EEEJSt4plusIhEhEEEvT_T0_DpT1_ ; -- Begin function _ZN2at6native12_GLOBAL__N_125multi_tensor_apply_kernelINS1_18TensorListMetadataILi1EEENS1_21BinaryOpScalarFunctorIhLi1ELi1ELi0EEEJSt4plusIhEhEEEvT_T0_DpT1_
	.p2align	8
	.type	_ZN2at6native12_GLOBAL__N_125multi_tensor_apply_kernelINS1_18TensorListMetadataILi1EEENS1_21BinaryOpScalarFunctorIhLi1ELi1ELi0EEEJSt4plusIhEhEEEvT_T0_DpT1_,@function
_ZN2at6native12_GLOBAL__N_125multi_tensor_apply_kernelINS1_18TensorListMetadataILi1EEENS1_21BinaryOpScalarFunctorIhLi1ELi1ELi0EEEJSt4plusIhEhEEEvT_T0_DpT1_: ; @_ZN2at6native12_GLOBAL__N_125multi_tensor_apply_kernelINS1_18TensorListMetadataILi1EEENS1_21BinaryOpScalarFunctorIhLi1ELi1ELi0EEEJSt4plusIhEhEEEvT_T0_DpT1_
; %bb.0:
	v_mov_b32_e32 v1, s6
	global_load_ubyte v1, v1, s[4:5] offset:1760
	s_add_u32 s0, s4, s6
	s_mul_hi_u32 s1, s6, 3
	s_mul_i32 s6, s6, 3
	s_addc_u32 s2, s5, 0
	s_add_u32 s0, s0, s6
	s_addc_u32 s1, s2, s1
	s_load_dword s2, s[0:1], 0x820
	s_waitcnt vmcnt(0)
	v_readfirstlane_b32 s0, v1
	s_lshl_b32 s3, s0, 3
	s_load_dwordx2 s[0:1], s[4:5], s3 offset:0x0
	s_load_dword s19, s[4:5], 0xd28
	s_load_dwordx2 s[6:7], s[4:5], s3 offset:0x370
	s_waitcnt lgkmcnt(0)
	s_ashr_i32 s3, s2, 31
	s_lshl_b64 s[2:3], s[2:3], 16
	s_add_u32 s18, s0, s2
	s_addc_u32 s20, s1, s3
	s_sub_u32 s10, s6, s2
	s_subb_u32 s11, s7, s3
	s_or_b32 s6, s6, s18
	s_and_b32 s6, s6, 3
	s_cmp_eq_u32 s6, 0
	s_cbranch_scc1 .LBB0_21
; %bb.1:
	v_cmp_lt_i64_e64 s[6:7], s[10:11], 1
	s_and_b64 vcc, exec, s[6:7]
	s_cbranch_vccnz .LBB0_20
; %bb.2:
	s_load_dword s6, s[4:5], 0xd3c
	v_mov_b32_e32 v2, 0x10000
	v_mov_b32_e32 v3, 0
	v_cmp_lt_u64_e32 vcc, s[10:11], v[2:3]
	v_mov_b32_e32 v1, s3
	s_waitcnt lgkmcnt(0)
	s_and_b32 s8, s6, 0xffff
	s_and_b64 s[6:7], vcc, exec
	s_cselect_b32 s13, s11, 0
	s_cselect_b32 s12, s10, 0x10000
	s_lshl_b32 s9, s8, 1
	s_mul_i32 s6, s8, 3
	s_lshl_b32 s21, s8, 2
	s_add_u32 s7, s2, s6
	v_add_co_u32_e32 v4, vcc, s2, v0
	s_addc_u32 s14, s3, 0
	v_addc_co_u32_e32 v5, vcc, 0, v1, vcc
	s_add_u32 s7, s0, s7
	v_mov_b32_e32 v6, s1
	v_add_co_u32_e32 v1, vcc, s0, v4
	s_addc_u32 s14, s1, s14
	v_addc_co_u32_e32 v6, vcc, v6, v5, vcc
	s_add_u32 s2, s2, s9
	v_mov_b32_e32 v8, s14
	v_add_co_u32_e32 v7, vcc, s7, v0
	s_addc_u32 s3, s3, 0
	v_addc_co_u32_e32 v8, vcc, 0, v8, vcc
	s_add_u32 s2, s0, s2
	v_add_co_u32_e32 v9, vcc, s6, v0
	s_addc_u32 s3, s1, s3
	v_addc_co_u32_e64 v10, s[6:7], 0, 0, vcc
	v_mov_b32_e32 v12, s3
	v_add_co_u32_e32 v11, vcc, s2, v0
	v_addc_co_u32_e32 v12, vcc, 0, v12, vcc
	s_add_u32 s0, s0, s8
	v_add_co_u32_e32 v13, vcc, s9, v0
	s_addc_u32 s1, s1, 0
	v_addc_co_u32_e64 v14, s[2:3], 0, 0, vcc
	v_mov_b32_e32 v16, s1
	v_add_co_u32_e32 v15, vcc, s0, v4
	v_addc_co_u32_e32 v16, vcc, v16, v5, vcc
	v_add_co_u32_e32 v17, vcc, s8, v0
	v_addc_co_u32_e64 v18, s[0:1], 0, 0, vcc
	s_mov_b64 s[14:15], 0
	s_lshr_b32 s22, s19, 16
	v_pk_mov_b32 v[4:5], s[10:11], s[10:11] op_sel:[0,1]
	s_branch .LBB0_4
.LBB0_3:                                ;   in Loop: Header=BB0_4 Depth=1
	s_or_b64 exec, exec, s[0:1]
	s_add_u32 s14, s14, s21
	s_addc_u32 s15, s15, 0
	v_cmp_lt_i64_e32 vcc, s[14:15], v[4:5]
	v_cmp_lt_u64_e64 s[0:1], s[14:15], v[2:3]
	s_and_b64 s[0:1], vcc, s[0:1]
	s_and_b64 vcc, exec, s[0:1]
	s_cbranch_vccz .LBB0_20
.LBB0_4:                                ; =>This Inner Loop Header: Depth=1
	s_waitcnt vmcnt(0)
	v_mov_b32_e32 v19, s15
	v_add_co_u32_e32 v20, vcc, s14, v0
	v_addc_co_u32_e32 v21, vcc, 0, v19, vcc
	v_cmp_gt_u64_e32 vcc, s[12:13], v[20:21]
	v_mov_b32_e32 v19, 0
	s_and_saveexec_b64 s[2:3], vcc
	s_cbranch_execz .LBB0_6
; %bb.5:                                ;   in Loop: Header=BB0_4 Depth=1
	v_mov_b32_e32 v19, s15
	v_add_co_u32_e64 v20, s[0:1], s14, v1
	v_addc_co_u32_e64 v21, s[0:1], v6, v19, s[0:1]
	global_load_ubyte v19, v[20:21], off
.LBB0_6:                                ;   in Loop: Header=BB0_4 Depth=1
	s_or_b64 exec, exec, s[2:3]
	v_mov_b32_e32 v21, s15
	v_add_co_u32_e64 v20, s[0:1], s14, v17
	v_addc_co_u32_e64 v21, s[0:1], v18, v21, s[0:1]
	v_cmp_gt_u64_e64 s[0:1], s[12:13], v[20:21]
	v_mov_b32_e32 v21, 0
	s_and_saveexec_b64 s[6:7], s[0:1]
	s_cbranch_execz .LBB0_8
; %bb.7:                                ;   in Loop: Header=BB0_4 Depth=1
	v_mov_b32_e32 v21, s15
	v_add_co_u32_e64 v20, s[2:3], s14, v15
	v_addc_co_u32_e64 v21, s[2:3], v16, v21, s[2:3]
	global_load_ubyte v21, v[20:21], off
.LBB0_8:                                ;   in Loop: Header=BB0_4 Depth=1
	s_or_b64 exec, exec, s[6:7]
	v_mov_b32_e32 v20, s15
	v_add_co_u32_e64 v22, s[2:3], s14, v13
	v_addc_co_u32_e64 v23, s[2:3], v14, v20, s[2:3]
	v_cmp_gt_u64_e64 s[2:3], s[12:13], v[22:23]
	v_mov_b32_e32 v20, 0
	v_mov_b32_e32 v22, 0
	s_and_saveexec_b64 s[8:9], s[2:3]
	s_cbranch_execz .LBB0_10
; %bb.9:                                ;   in Loop: Header=BB0_4 Depth=1
	v_mov_b32_e32 v23, s15
	v_add_co_u32_e64 v22, s[6:7], s14, v11
	v_addc_co_u32_e64 v23, s[6:7], v12, v23, s[6:7]
	global_load_ubyte v22, v[22:23], off
.LBB0_10:                               ;   in Loop: Header=BB0_4 Depth=1
	s_or_b64 exec, exec, s[8:9]
	v_mov_b32_e32 v23, s15
	v_add_co_u32_e64 v24, s[6:7], s14, v9
	v_addc_co_u32_e64 v25, s[6:7], v10, v23, s[6:7]
	v_cmp_gt_u64_e64 s[6:7], s[12:13], v[24:25]
	s_and_saveexec_b64 s[16:17], s[6:7]
	s_cbranch_execnz .LBB0_15
; %bb.11:                               ;   in Loop: Header=BB0_4 Depth=1
	s_or_b64 exec, exec, s[16:17]
	s_and_saveexec_b64 s[8:9], vcc
	s_cbranch_execnz .LBB0_16
.LBB0_12:                               ;   in Loop: Header=BB0_4 Depth=1
	s_or_b64 exec, exec, s[8:9]
	s_and_saveexec_b64 s[8:9], s[0:1]
	s_cbranch_execnz .LBB0_17
.LBB0_13:                               ;   in Loop: Header=BB0_4 Depth=1
	s_or_b64 exec, exec, s[8:9]
	s_and_saveexec_b64 s[0:1], s[2:3]
	s_cbranch_execnz .LBB0_18
.LBB0_14:                               ;   in Loop: Header=BB0_4 Depth=1
	s_or_b64 exec, exec, s[0:1]
	s_and_saveexec_b64 s[0:1], s[6:7]
	s_cbranch_execz .LBB0_3
	s_branch .LBB0_19
.LBB0_15:                               ;   in Loop: Header=BB0_4 Depth=1
	v_mov_b32_e32 v20, s15
	v_add_co_u32_e64 v24, s[8:9], s14, v7
	v_addc_co_u32_e64 v25, s[8:9], v8, v20, s[8:9]
	global_load_ubyte v20, v[24:25], off
	s_or_b64 exec, exec, s[16:17]
	s_and_saveexec_b64 s[8:9], vcc
	s_cbranch_execz .LBB0_12
.LBB0_16:                               ;   in Loop: Header=BB0_4 Depth=1
	v_mov_b32_e32 v23, s15
	v_add_co_u32_e32 v24, vcc, s14, v1
	s_waitcnt vmcnt(0)
	v_add_u16_e32 v19, s22, v19
	v_addc_co_u32_e32 v25, vcc, v6, v23, vcc
	global_store_byte v[24:25], v19, off
	s_or_b64 exec, exec, s[8:9]
	s_and_saveexec_b64 s[8:9], s[0:1]
	s_cbranch_execz .LBB0_13
.LBB0_17:                               ;   in Loop: Header=BB0_4 Depth=1
	s_waitcnt vmcnt(0)
	v_add_u16_e32 v19, s22, v21
	v_mov_b32_e32 v21, s15
	v_add_co_u32_e32 v24, vcc, s14, v15
	v_addc_co_u32_e32 v25, vcc, v16, v21, vcc
	global_store_byte v[24:25], v19, off
	s_or_b64 exec, exec, s[8:9]
	s_and_saveexec_b64 s[0:1], s[2:3]
	s_cbranch_execz .LBB0_14
.LBB0_18:                               ;   in Loop: Header=BB0_4 Depth=1
	s_waitcnt vmcnt(0)
	v_add_u16_e32 v19, s22, v22
	v_mov_b32_e32 v21, s15
	v_add_co_u32_e32 v22, vcc, s14, v11
	v_addc_co_u32_e32 v23, vcc, v12, v21, vcc
	global_store_byte v[22:23], v19, off
	s_or_b64 exec, exec, s[0:1]
	s_and_saveexec_b64 s[0:1], s[6:7]
	s_cbranch_execz .LBB0_3
.LBB0_19:                               ;   in Loop: Header=BB0_4 Depth=1
	s_waitcnt vmcnt(0)
	v_add_u16_e32 v19, s22, v20
	v_mov_b32_e32 v21, s15
	v_add_co_u32_e32 v20, vcc, s14, v7
	v_addc_co_u32_e32 v21, vcc, v8, v21, vcc
	global_store_byte v[20:21], v19, off
	s_branch .LBB0_3
.LBB0_20:
	s_cbranch_execz .LBB0_22
	s_branch .LBB0_25
.LBB0_21:
.LBB0_22:
	v_lshlrev_b32_e32 v0, 2, v0
	v_mov_b32_e32 v1, 0
	v_cmp_gt_i64_e32 vcc, s[10:11], v[0:1]
	s_and_saveexec_b64 s[0:1], vcc
	s_cbranch_execz .LBB0_25
; %bb.23:
	s_load_dword s0, s[4:5], 0xd3c
	s_mov_b32 s1, 0
	s_mov_b64 s[2:3], 0
	s_lshr_b32 s6, s19, 16
	v_mov_b32_e32 v2, s20
	s_waitcnt lgkmcnt(0)
	s_and_b32 s0, s0, 0xffff
	s_lshl_b32 s7, s0, 2
	v_mov_b32_e32 v3, s1
	s_mov_b64 s[4:5], 0xffff
	v_mov_b32_e32 v4, 8
.LBB0_24:                               ; =>This Inner Loop Header: Depth=1
	v_add_co_u32_e32 v6, vcc, s18, v0
	v_addc_co_u32_e32 v7, vcc, v2, v1, vcc
	global_load_dword v5, v[6:7], off
	v_add_co_u32_e32 v0, vcc, s7, v0
	v_addc_co_u32_e32 v1, vcc, v3, v1, vcc
	v_cmp_le_i64_e32 vcc, s[10:11], v[0:1]
	v_cmp_lt_u64_e64 s[0:1], s[4:5], v[0:1]
	s_or_b64 s[0:1], vcc, s[0:1]
	s_and_b64 s[0:1], exec, s[0:1]
	s_or_b64 s[2:3], s[0:1], s[2:3]
	s_waitcnt vmcnt(0)
	v_add_u16_sdwa v10, v5, s6 dst_sel:DWORD dst_unused:UNUSED_PAD src0_sel:WORD_1 src1_sel:DWORD
	v_lshrrev_b32_e32 v9, 8, v5
	v_and_b32_e32 v10, 0xff, v10
	v_add_u16_e32 v8, s6, v5
	v_add_u16_sdwa v5, v5, s6 dst_sel:DWORD dst_unused:UNUSED_PAD src0_sel:BYTE_3 src1_sel:DWORD
	v_add_u16_e32 v9, s6, v9
	v_lshlrev_b32_e32 v10, 16, v10
	v_and_b32_e32 v8, 0xff, v8
	v_lshlrev_b32_sdwa v9, v4, v9 dst_sel:DWORD dst_unused:UNUSED_PAD src0_sel:DWORD src1_sel:BYTE_0
	v_lshl_or_b32 v5, v5, 24, v10
	v_or3_b32 v5, v5, v9, v8
	global_store_dword v[6:7], v5, off
	s_andn2_b64 exec, exec, s[2:3]
	s_cbranch_execnz .LBB0_24
.LBB0_25:
	s_endpgm
	.section	.rodata,"a",@progbits
	.p2align	6, 0x0
	.amdhsa_kernel _ZN2at6native12_GLOBAL__N_125multi_tensor_apply_kernelINS1_18TensorListMetadataILi1EEENS1_21BinaryOpScalarFunctorIhLi1ELi1ELi0EEEJSt4plusIhEhEEEvT_T0_DpT1_
		.amdhsa_group_segment_fixed_size 0
		.amdhsa_private_segment_fixed_size 0
		.amdhsa_kernarg_size 3632
		.amdhsa_user_sgpr_count 6
		.amdhsa_user_sgpr_private_segment_buffer 1
		.amdhsa_user_sgpr_dispatch_ptr 0
		.amdhsa_user_sgpr_queue_ptr 0
		.amdhsa_user_sgpr_kernarg_segment_ptr 1
		.amdhsa_user_sgpr_dispatch_id 0
		.amdhsa_user_sgpr_flat_scratch_init 0
		.amdhsa_user_sgpr_kernarg_preload_length 0
		.amdhsa_user_sgpr_kernarg_preload_offset 0
		.amdhsa_user_sgpr_private_segment_size 0
		.amdhsa_uses_dynamic_stack 0
		.amdhsa_system_sgpr_private_segment_wavefront_offset 0
		.amdhsa_system_sgpr_workgroup_id_x 1
		.amdhsa_system_sgpr_workgroup_id_y 0
		.amdhsa_system_sgpr_workgroup_id_z 0
		.amdhsa_system_sgpr_workgroup_info 0
		.amdhsa_system_vgpr_workitem_id 0
		.amdhsa_next_free_vgpr 26
		.amdhsa_next_free_sgpr 23
		.amdhsa_accum_offset 28
		.amdhsa_reserve_vcc 1
		.amdhsa_reserve_flat_scratch 0
		.amdhsa_float_round_mode_32 0
		.amdhsa_float_round_mode_16_64 0
		.amdhsa_float_denorm_mode_32 3
		.amdhsa_float_denorm_mode_16_64 3
		.amdhsa_dx10_clamp 1
		.amdhsa_ieee_mode 1
		.amdhsa_fp16_overflow 0
		.amdhsa_tg_split 0
		.amdhsa_exception_fp_ieee_invalid_op 0
		.amdhsa_exception_fp_denorm_src 0
		.amdhsa_exception_fp_ieee_div_zero 0
		.amdhsa_exception_fp_ieee_overflow 0
		.amdhsa_exception_fp_ieee_underflow 0
		.amdhsa_exception_fp_ieee_inexact 0
		.amdhsa_exception_int_div_zero 0
	.end_amdhsa_kernel
	.section	.text._ZN2at6native12_GLOBAL__N_125multi_tensor_apply_kernelINS1_18TensorListMetadataILi1EEENS1_21BinaryOpScalarFunctorIhLi1ELi1ELi0EEEJSt4plusIhEhEEEvT_T0_DpT1_,"axG",@progbits,_ZN2at6native12_GLOBAL__N_125multi_tensor_apply_kernelINS1_18TensorListMetadataILi1EEENS1_21BinaryOpScalarFunctorIhLi1ELi1ELi0EEEJSt4plusIhEhEEEvT_T0_DpT1_,comdat
.Lfunc_end0:
	.size	_ZN2at6native12_GLOBAL__N_125multi_tensor_apply_kernelINS1_18TensorListMetadataILi1EEENS1_21BinaryOpScalarFunctorIhLi1ELi1ELi0EEEJSt4plusIhEhEEEvT_T0_DpT1_, .Lfunc_end0-_ZN2at6native12_GLOBAL__N_125multi_tensor_apply_kernelINS1_18TensorListMetadataILi1EEENS1_21BinaryOpScalarFunctorIhLi1ELi1ELi0EEEJSt4plusIhEhEEEvT_T0_DpT1_
                                        ; -- End function
	.section	.AMDGPU.csdata,"",@progbits
; Kernel info:
; codeLenInByte = 1116
; NumSgprs: 27
; NumVgprs: 26
; NumAgprs: 0
; TotalNumVgprs: 26
; ScratchSize: 0
; MemoryBound: 0
; FloatMode: 240
; IeeeMode: 1
; LDSByteSize: 0 bytes/workgroup (compile time only)
; SGPRBlocks: 3
; VGPRBlocks: 3
; NumSGPRsForWavesPerEU: 27
; NumVGPRsForWavesPerEU: 26
; AccumOffset: 28
; Occupancy: 8
; WaveLimiterHint : 0
; COMPUTE_PGM_RSRC2:SCRATCH_EN: 0
; COMPUTE_PGM_RSRC2:USER_SGPR: 6
; COMPUTE_PGM_RSRC2:TRAP_HANDLER: 0
; COMPUTE_PGM_RSRC2:TGID_X_EN: 1
; COMPUTE_PGM_RSRC2:TGID_Y_EN: 0
; COMPUTE_PGM_RSRC2:TGID_Z_EN: 0
; COMPUTE_PGM_RSRC2:TIDIG_COMP_CNT: 0
; COMPUTE_PGM_RSRC3_GFX90A:ACCUM_OFFSET: 6
; COMPUTE_PGM_RSRC3_GFX90A:TG_SPLIT: 0
	.section	.text._ZN2at6native12_GLOBAL__N_125multi_tensor_apply_kernelINS1_18TensorListMetadataILi1EEENS1_21BinaryOpScalarFunctorIaLi1ELi1ELi0EEEJSt4plusIaEaEEEvT_T0_DpT1_,"axG",@progbits,_ZN2at6native12_GLOBAL__N_125multi_tensor_apply_kernelINS1_18TensorListMetadataILi1EEENS1_21BinaryOpScalarFunctorIaLi1ELi1ELi0EEEJSt4plusIaEaEEEvT_T0_DpT1_,comdat
	.globl	_ZN2at6native12_GLOBAL__N_125multi_tensor_apply_kernelINS1_18TensorListMetadataILi1EEENS1_21BinaryOpScalarFunctorIaLi1ELi1ELi0EEEJSt4plusIaEaEEEvT_T0_DpT1_ ; -- Begin function _ZN2at6native12_GLOBAL__N_125multi_tensor_apply_kernelINS1_18TensorListMetadataILi1EEENS1_21BinaryOpScalarFunctorIaLi1ELi1ELi0EEEJSt4plusIaEaEEEvT_T0_DpT1_
	.p2align	8
	.type	_ZN2at6native12_GLOBAL__N_125multi_tensor_apply_kernelINS1_18TensorListMetadataILi1EEENS1_21BinaryOpScalarFunctorIaLi1ELi1ELi0EEEJSt4plusIaEaEEEvT_T0_DpT1_,@function
_ZN2at6native12_GLOBAL__N_125multi_tensor_apply_kernelINS1_18TensorListMetadataILi1EEENS1_21BinaryOpScalarFunctorIaLi1ELi1ELi0EEEJSt4plusIaEaEEEvT_T0_DpT1_: ; @_ZN2at6native12_GLOBAL__N_125multi_tensor_apply_kernelINS1_18TensorListMetadataILi1EEENS1_21BinaryOpScalarFunctorIaLi1ELi1ELi0EEEJSt4plusIaEaEEEvT_T0_DpT1_
; %bb.0:
	v_mov_b32_e32 v1, s6
	global_load_ubyte v1, v1, s[4:5] offset:1760
	s_add_u32 s0, s4, s6
	s_mul_hi_u32 s1, s6, 3
	s_mul_i32 s6, s6, 3
	s_addc_u32 s2, s5, 0
	s_add_u32 s0, s0, s6
	s_addc_u32 s1, s2, s1
	s_load_dword s2, s[0:1], 0x820
	s_waitcnt vmcnt(0)
	v_readfirstlane_b32 s0, v1
	s_lshl_b32 s3, s0, 3
	s_load_dwordx2 s[0:1], s[4:5], s3 offset:0x0
	s_load_dword s19, s[4:5], 0xd28
	s_load_dwordx2 s[6:7], s[4:5], s3 offset:0x370
	s_waitcnt lgkmcnt(0)
	s_ashr_i32 s3, s2, 31
	s_lshl_b64 s[2:3], s[2:3], 16
	s_add_u32 s18, s0, s2
	s_addc_u32 s20, s1, s3
	s_sub_u32 s10, s6, s2
	s_subb_u32 s11, s7, s3
	s_or_b32 s6, s6, s18
	s_and_b32 s6, s6, 3
	s_cmp_eq_u32 s6, 0
	s_cbranch_scc1 .LBB1_21
; %bb.1:
	v_cmp_lt_i64_e64 s[6:7], s[10:11], 1
	s_and_b64 vcc, exec, s[6:7]
	s_cbranch_vccnz .LBB1_20
; %bb.2:
	s_load_dword s6, s[4:5], 0xd3c
	v_mov_b32_e32 v2, 0x10000
	v_mov_b32_e32 v3, 0
	v_cmp_lt_u64_e32 vcc, s[10:11], v[2:3]
	v_mov_b32_e32 v1, s3
	s_waitcnt lgkmcnt(0)
	s_and_b32 s8, s6, 0xffff
	s_and_b64 s[6:7], vcc, exec
	s_cselect_b32 s13, s11, 0
	s_cselect_b32 s12, s10, 0x10000
	s_lshl_b32 s9, s8, 1
	s_mul_i32 s6, s8, 3
	s_lshl_b32 s21, s8, 2
	s_add_u32 s7, s2, s6
	v_add_co_u32_e32 v4, vcc, s2, v0
	s_addc_u32 s14, s3, 0
	v_addc_co_u32_e32 v5, vcc, 0, v1, vcc
	s_add_u32 s7, s0, s7
	v_mov_b32_e32 v6, s1
	v_add_co_u32_e32 v1, vcc, s0, v4
	s_addc_u32 s14, s1, s14
	v_addc_co_u32_e32 v6, vcc, v6, v5, vcc
	s_add_u32 s2, s2, s9
	v_mov_b32_e32 v8, s14
	v_add_co_u32_e32 v7, vcc, s7, v0
	s_addc_u32 s3, s3, 0
	v_addc_co_u32_e32 v8, vcc, 0, v8, vcc
	s_add_u32 s2, s0, s2
	v_add_co_u32_e32 v9, vcc, s6, v0
	s_addc_u32 s3, s1, s3
	v_addc_co_u32_e64 v10, s[6:7], 0, 0, vcc
	v_mov_b32_e32 v12, s3
	v_add_co_u32_e32 v11, vcc, s2, v0
	v_addc_co_u32_e32 v12, vcc, 0, v12, vcc
	s_add_u32 s0, s0, s8
	v_add_co_u32_e32 v13, vcc, s9, v0
	s_addc_u32 s1, s1, 0
	v_addc_co_u32_e64 v14, s[2:3], 0, 0, vcc
	v_mov_b32_e32 v16, s1
	v_add_co_u32_e32 v15, vcc, s0, v4
	v_addc_co_u32_e32 v16, vcc, v16, v5, vcc
	v_add_co_u32_e32 v17, vcc, s8, v0
	v_addc_co_u32_e64 v18, s[0:1], 0, 0, vcc
	s_mov_b64 s[14:15], 0
	s_lshr_b32 s22, s19, 16
	v_pk_mov_b32 v[4:5], s[10:11], s[10:11] op_sel:[0,1]
	s_branch .LBB1_4
.LBB1_3:                                ;   in Loop: Header=BB1_4 Depth=1
	s_or_b64 exec, exec, s[0:1]
	s_add_u32 s14, s14, s21
	s_addc_u32 s15, s15, 0
	v_cmp_lt_i64_e32 vcc, s[14:15], v[4:5]
	v_cmp_lt_u64_e64 s[0:1], s[14:15], v[2:3]
	s_and_b64 s[0:1], vcc, s[0:1]
	s_and_b64 vcc, exec, s[0:1]
	s_cbranch_vccz .LBB1_20
.LBB1_4:                                ; =>This Inner Loop Header: Depth=1
	s_waitcnt vmcnt(0)
	v_mov_b32_e32 v19, s15
	v_add_co_u32_e32 v20, vcc, s14, v0
	v_addc_co_u32_e32 v21, vcc, 0, v19, vcc
	v_cmp_gt_u64_e32 vcc, s[12:13], v[20:21]
	v_mov_b32_e32 v19, 0
	s_and_saveexec_b64 s[2:3], vcc
	s_cbranch_execz .LBB1_6
; %bb.5:                                ;   in Loop: Header=BB1_4 Depth=1
	v_mov_b32_e32 v19, s15
	v_add_co_u32_e64 v20, s[0:1], s14, v1
	v_addc_co_u32_e64 v21, s[0:1], v6, v19, s[0:1]
	global_load_ubyte v19, v[20:21], off
.LBB1_6:                                ;   in Loop: Header=BB1_4 Depth=1
	s_or_b64 exec, exec, s[2:3]
	v_mov_b32_e32 v21, s15
	v_add_co_u32_e64 v20, s[0:1], s14, v17
	v_addc_co_u32_e64 v21, s[0:1], v18, v21, s[0:1]
	v_cmp_gt_u64_e64 s[0:1], s[12:13], v[20:21]
	v_mov_b32_e32 v21, 0
	s_and_saveexec_b64 s[6:7], s[0:1]
	s_cbranch_execz .LBB1_8
; %bb.7:                                ;   in Loop: Header=BB1_4 Depth=1
	v_mov_b32_e32 v21, s15
	v_add_co_u32_e64 v20, s[2:3], s14, v15
	v_addc_co_u32_e64 v21, s[2:3], v16, v21, s[2:3]
	global_load_ubyte v21, v[20:21], off
.LBB1_8:                                ;   in Loop: Header=BB1_4 Depth=1
	s_or_b64 exec, exec, s[6:7]
	v_mov_b32_e32 v20, s15
	v_add_co_u32_e64 v22, s[2:3], s14, v13
	v_addc_co_u32_e64 v23, s[2:3], v14, v20, s[2:3]
	v_cmp_gt_u64_e64 s[2:3], s[12:13], v[22:23]
	v_mov_b32_e32 v20, 0
	v_mov_b32_e32 v22, 0
	s_and_saveexec_b64 s[8:9], s[2:3]
	s_cbranch_execz .LBB1_10
; %bb.9:                                ;   in Loop: Header=BB1_4 Depth=1
	v_mov_b32_e32 v23, s15
	v_add_co_u32_e64 v22, s[6:7], s14, v11
	v_addc_co_u32_e64 v23, s[6:7], v12, v23, s[6:7]
	global_load_ubyte v22, v[22:23], off
.LBB1_10:                               ;   in Loop: Header=BB1_4 Depth=1
	s_or_b64 exec, exec, s[8:9]
	v_mov_b32_e32 v23, s15
	v_add_co_u32_e64 v24, s[6:7], s14, v9
	v_addc_co_u32_e64 v25, s[6:7], v10, v23, s[6:7]
	v_cmp_gt_u64_e64 s[6:7], s[12:13], v[24:25]
	s_and_saveexec_b64 s[16:17], s[6:7]
	s_cbranch_execnz .LBB1_15
; %bb.11:                               ;   in Loop: Header=BB1_4 Depth=1
	s_or_b64 exec, exec, s[16:17]
	s_and_saveexec_b64 s[8:9], vcc
	s_cbranch_execnz .LBB1_16
.LBB1_12:                               ;   in Loop: Header=BB1_4 Depth=1
	s_or_b64 exec, exec, s[8:9]
	s_and_saveexec_b64 s[8:9], s[0:1]
	s_cbranch_execnz .LBB1_17
.LBB1_13:                               ;   in Loop: Header=BB1_4 Depth=1
	s_or_b64 exec, exec, s[8:9]
	s_and_saveexec_b64 s[0:1], s[2:3]
	s_cbranch_execnz .LBB1_18
.LBB1_14:                               ;   in Loop: Header=BB1_4 Depth=1
	s_or_b64 exec, exec, s[0:1]
	s_and_saveexec_b64 s[0:1], s[6:7]
	s_cbranch_execz .LBB1_3
	s_branch .LBB1_19
.LBB1_15:                               ;   in Loop: Header=BB1_4 Depth=1
	v_mov_b32_e32 v20, s15
	v_add_co_u32_e64 v24, s[8:9], s14, v7
	v_addc_co_u32_e64 v25, s[8:9], v8, v20, s[8:9]
	global_load_ubyte v20, v[24:25], off
	s_or_b64 exec, exec, s[16:17]
	s_and_saveexec_b64 s[8:9], vcc
	s_cbranch_execz .LBB1_12
.LBB1_16:                               ;   in Loop: Header=BB1_4 Depth=1
	v_mov_b32_e32 v23, s15
	v_add_co_u32_e32 v24, vcc, s14, v1
	s_waitcnt vmcnt(0)
	v_add_u16_e32 v19, s22, v19
	v_addc_co_u32_e32 v25, vcc, v6, v23, vcc
	global_store_byte v[24:25], v19, off
	s_or_b64 exec, exec, s[8:9]
	s_and_saveexec_b64 s[8:9], s[0:1]
	s_cbranch_execz .LBB1_13
.LBB1_17:                               ;   in Loop: Header=BB1_4 Depth=1
	s_waitcnt vmcnt(0)
	v_add_u16_e32 v19, s22, v21
	v_mov_b32_e32 v21, s15
	v_add_co_u32_e32 v24, vcc, s14, v15
	v_addc_co_u32_e32 v25, vcc, v16, v21, vcc
	global_store_byte v[24:25], v19, off
	s_or_b64 exec, exec, s[8:9]
	s_and_saveexec_b64 s[0:1], s[2:3]
	s_cbranch_execz .LBB1_14
.LBB1_18:                               ;   in Loop: Header=BB1_4 Depth=1
	s_waitcnt vmcnt(0)
	v_add_u16_e32 v19, s22, v22
	v_mov_b32_e32 v21, s15
	v_add_co_u32_e32 v22, vcc, s14, v11
	v_addc_co_u32_e32 v23, vcc, v12, v21, vcc
	global_store_byte v[22:23], v19, off
	s_or_b64 exec, exec, s[0:1]
	s_and_saveexec_b64 s[0:1], s[6:7]
	s_cbranch_execz .LBB1_3
.LBB1_19:                               ;   in Loop: Header=BB1_4 Depth=1
	s_waitcnt vmcnt(0)
	v_add_u16_e32 v19, s22, v20
	v_mov_b32_e32 v21, s15
	v_add_co_u32_e32 v20, vcc, s14, v7
	v_addc_co_u32_e32 v21, vcc, v8, v21, vcc
	global_store_byte v[20:21], v19, off
	s_branch .LBB1_3
.LBB1_20:
	s_cbranch_execz .LBB1_22
	s_branch .LBB1_25
.LBB1_21:
.LBB1_22:
	v_lshlrev_b32_e32 v0, 2, v0
	v_mov_b32_e32 v1, 0
	v_cmp_gt_i64_e32 vcc, s[10:11], v[0:1]
	s_and_saveexec_b64 s[0:1], vcc
	s_cbranch_execz .LBB1_25
; %bb.23:
	s_load_dword s0, s[4:5], 0xd3c
	s_mov_b32 s1, 0
	s_mov_b64 s[2:3], 0
	s_lshr_b32 s6, s19, 16
	v_mov_b32_e32 v2, s20
	s_waitcnt lgkmcnt(0)
	s_and_b32 s0, s0, 0xffff
	s_lshl_b32 s7, s0, 2
	v_mov_b32_e32 v3, s1
	s_mov_b64 s[4:5], 0xffff
	v_mov_b32_e32 v4, 8
.LBB1_24:                               ; =>This Inner Loop Header: Depth=1
	v_add_co_u32_e32 v6, vcc, s18, v0
	v_addc_co_u32_e32 v7, vcc, v2, v1, vcc
	global_load_dword v5, v[6:7], off
	v_add_co_u32_e32 v0, vcc, s7, v0
	v_addc_co_u32_e32 v1, vcc, v3, v1, vcc
	v_cmp_le_i64_e32 vcc, s[10:11], v[0:1]
	v_cmp_lt_u64_e64 s[0:1], s[4:5], v[0:1]
	s_or_b64 s[0:1], vcc, s[0:1]
	s_and_b64 s[0:1], exec, s[0:1]
	s_or_b64 s[2:3], s[0:1], s[2:3]
	s_waitcnt vmcnt(0)
	v_add_u16_sdwa v10, v5, s6 dst_sel:DWORD dst_unused:UNUSED_PAD src0_sel:WORD_1 src1_sel:DWORD
	v_lshrrev_b32_e32 v9, 8, v5
	v_and_b32_e32 v10, 0xff, v10
	v_add_u16_e32 v8, s6, v5
	v_add_u16_sdwa v5, v5, s6 dst_sel:DWORD dst_unused:UNUSED_PAD src0_sel:BYTE_3 src1_sel:DWORD
	v_add_u16_e32 v9, s6, v9
	v_lshlrev_b32_e32 v10, 16, v10
	v_and_b32_e32 v8, 0xff, v8
	v_lshlrev_b32_sdwa v9, v4, v9 dst_sel:DWORD dst_unused:UNUSED_PAD src0_sel:DWORD src1_sel:BYTE_0
	v_lshl_or_b32 v5, v5, 24, v10
	v_or3_b32 v5, v5, v9, v8
	global_store_dword v[6:7], v5, off
	s_andn2_b64 exec, exec, s[2:3]
	s_cbranch_execnz .LBB1_24
.LBB1_25:
	s_endpgm
	.section	.rodata,"a",@progbits
	.p2align	6, 0x0
	.amdhsa_kernel _ZN2at6native12_GLOBAL__N_125multi_tensor_apply_kernelINS1_18TensorListMetadataILi1EEENS1_21BinaryOpScalarFunctorIaLi1ELi1ELi0EEEJSt4plusIaEaEEEvT_T0_DpT1_
		.amdhsa_group_segment_fixed_size 0
		.amdhsa_private_segment_fixed_size 0
		.amdhsa_kernarg_size 3632
		.amdhsa_user_sgpr_count 6
		.amdhsa_user_sgpr_private_segment_buffer 1
		.amdhsa_user_sgpr_dispatch_ptr 0
		.amdhsa_user_sgpr_queue_ptr 0
		.amdhsa_user_sgpr_kernarg_segment_ptr 1
		.amdhsa_user_sgpr_dispatch_id 0
		.amdhsa_user_sgpr_flat_scratch_init 0
		.amdhsa_user_sgpr_kernarg_preload_length 0
		.amdhsa_user_sgpr_kernarg_preload_offset 0
		.amdhsa_user_sgpr_private_segment_size 0
		.amdhsa_uses_dynamic_stack 0
		.amdhsa_system_sgpr_private_segment_wavefront_offset 0
		.amdhsa_system_sgpr_workgroup_id_x 1
		.amdhsa_system_sgpr_workgroup_id_y 0
		.amdhsa_system_sgpr_workgroup_id_z 0
		.amdhsa_system_sgpr_workgroup_info 0
		.amdhsa_system_vgpr_workitem_id 0
		.amdhsa_next_free_vgpr 26
		.amdhsa_next_free_sgpr 23
		.amdhsa_accum_offset 28
		.amdhsa_reserve_vcc 1
		.amdhsa_reserve_flat_scratch 0
		.amdhsa_float_round_mode_32 0
		.amdhsa_float_round_mode_16_64 0
		.amdhsa_float_denorm_mode_32 3
		.amdhsa_float_denorm_mode_16_64 3
		.amdhsa_dx10_clamp 1
		.amdhsa_ieee_mode 1
		.amdhsa_fp16_overflow 0
		.amdhsa_tg_split 0
		.amdhsa_exception_fp_ieee_invalid_op 0
		.amdhsa_exception_fp_denorm_src 0
		.amdhsa_exception_fp_ieee_div_zero 0
		.amdhsa_exception_fp_ieee_overflow 0
		.amdhsa_exception_fp_ieee_underflow 0
		.amdhsa_exception_fp_ieee_inexact 0
		.amdhsa_exception_int_div_zero 0
	.end_amdhsa_kernel
	.section	.text._ZN2at6native12_GLOBAL__N_125multi_tensor_apply_kernelINS1_18TensorListMetadataILi1EEENS1_21BinaryOpScalarFunctorIaLi1ELi1ELi0EEEJSt4plusIaEaEEEvT_T0_DpT1_,"axG",@progbits,_ZN2at6native12_GLOBAL__N_125multi_tensor_apply_kernelINS1_18TensorListMetadataILi1EEENS1_21BinaryOpScalarFunctorIaLi1ELi1ELi0EEEJSt4plusIaEaEEEvT_T0_DpT1_,comdat
.Lfunc_end1:
	.size	_ZN2at6native12_GLOBAL__N_125multi_tensor_apply_kernelINS1_18TensorListMetadataILi1EEENS1_21BinaryOpScalarFunctorIaLi1ELi1ELi0EEEJSt4plusIaEaEEEvT_T0_DpT1_, .Lfunc_end1-_ZN2at6native12_GLOBAL__N_125multi_tensor_apply_kernelINS1_18TensorListMetadataILi1EEENS1_21BinaryOpScalarFunctorIaLi1ELi1ELi0EEEJSt4plusIaEaEEEvT_T0_DpT1_
                                        ; -- End function
	.section	.AMDGPU.csdata,"",@progbits
; Kernel info:
; codeLenInByte = 1116
; NumSgprs: 27
; NumVgprs: 26
; NumAgprs: 0
; TotalNumVgprs: 26
; ScratchSize: 0
; MemoryBound: 0
; FloatMode: 240
; IeeeMode: 1
; LDSByteSize: 0 bytes/workgroup (compile time only)
; SGPRBlocks: 3
; VGPRBlocks: 3
; NumSGPRsForWavesPerEU: 27
; NumVGPRsForWavesPerEU: 26
; AccumOffset: 28
; Occupancy: 8
; WaveLimiterHint : 0
; COMPUTE_PGM_RSRC2:SCRATCH_EN: 0
; COMPUTE_PGM_RSRC2:USER_SGPR: 6
; COMPUTE_PGM_RSRC2:TRAP_HANDLER: 0
; COMPUTE_PGM_RSRC2:TGID_X_EN: 1
; COMPUTE_PGM_RSRC2:TGID_Y_EN: 0
; COMPUTE_PGM_RSRC2:TGID_Z_EN: 0
; COMPUTE_PGM_RSRC2:TIDIG_COMP_CNT: 0
; COMPUTE_PGM_RSRC3_GFX90A:ACCUM_OFFSET: 6
; COMPUTE_PGM_RSRC3_GFX90A:TG_SPLIT: 0
	.section	.text._ZN2at6native12_GLOBAL__N_125multi_tensor_apply_kernelINS1_18TensorListMetadataILi1EEENS1_21BinaryOpScalarFunctorIiLi1ELi1ELi0EEEJSt4plusIiEiEEEvT_T0_DpT1_,"axG",@progbits,_ZN2at6native12_GLOBAL__N_125multi_tensor_apply_kernelINS1_18TensorListMetadataILi1EEENS1_21BinaryOpScalarFunctorIiLi1ELi1ELi0EEEJSt4plusIiEiEEEvT_T0_DpT1_,comdat
	.globl	_ZN2at6native12_GLOBAL__N_125multi_tensor_apply_kernelINS1_18TensorListMetadataILi1EEENS1_21BinaryOpScalarFunctorIiLi1ELi1ELi0EEEJSt4plusIiEiEEEvT_T0_DpT1_ ; -- Begin function _ZN2at6native12_GLOBAL__N_125multi_tensor_apply_kernelINS1_18TensorListMetadataILi1EEENS1_21BinaryOpScalarFunctorIiLi1ELi1ELi0EEEJSt4plusIiEiEEEvT_T0_DpT1_
	.p2align	8
	.type	_ZN2at6native12_GLOBAL__N_125multi_tensor_apply_kernelINS1_18TensorListMetadataILi1EEENS1_21BinaryOpScalarFunctorIiLi1ELi1ELi0EEEJSt4plusIiEiEEEvT_T0_DpT1_,@function
_ZN2at6native12_GLOBAL__N_125multi_tensor_apply_kernelINS1_18TensorListMetadataILi1EEENS1_21BinaryOpScalarFunctorIiLi1ELi1ELi0EEEJSt4plusIiEiEEEvT_T0_DpT1_: ; @_ZN2at6native12_GLOBAL__N_125multi_tensor_apply_kernelINS1_18TensorListMetadataILi1EEENS1_21BinaryOpScalarFunctorIiLi1ELi1ELi0EEEJSt4plusIiEiEEEvT_T0_DpT1_
; %bb.0:
	v_mov_b32_e32 v1, s6
	global_load_ubyte v1, v1, s[4:5] offset:1760
	s_add_u32 s0, s4, s6
	s_mul_hi_u32 s1, s6, 3
	s_mul_i32 s6, s6, 3
	s_addc_u32 s2, s5, 0
	s_add_u32 s0, s0, s6
	s_addc_u32 s1, s2, s1
	s_load_dword s0, s[0:1], 0x820
	s_mov_b32 s7, 0
	s_waitcnt vmcnt(0)
	v_readfirstlane_b32 s1, v1
	s_lshl_b32 s1, s1, 3
	s_load_dword s22, s[4:5], 0xd2c
	s_load_dwordx2 s[2:3], s[4:5], s1 offset:0x370
	s_load_dwordx2 s[12:13], s[4:5], s1 offset:0x0
	s_waitcnt lgkmcnt(0)
	s_ashr_i32 s1, s0, 31
	s_lshl_b64 s[14:15], s[0:1], 18
	s_lshl_b64 s[0:1], s[0:1], 16
	s_and_b32 s6, s12, 15
	s_sub_u32 s10, s2, s0
	s_subb_u32 s11, s3, s1
	s_and_b32 s0, s2, 3
	s_mov_b32 s1, s7
	s_or_b64 s[0:1], s[6:7], s[0:1]
	s_cmp_eq_u64 s[0:1], 0
	s_cbranch_scc1 .LBB2_21
; %bb.1:
	v_cmp_lt_i64_e64 s[0:1], s[10:11], 1
	s_and_b64 vcc, exec, s[0:1]
	s_cbranch_vccnz .LBB2_20
; %bb.2:
	s_load_dword s0, s[4:5], 0xd3c
	v_mov_b32_e32 v2, 0x10000
	v_mov_b32_e32 v3, 0
	v_cmp_lt_u64_e32 vcc, s[10:11], v[2:3]
	v_lshlrev_b32_e32 v1, 2, v0
	s_waitcnt lgkmcnt(0)
	s_and_b32 s3, s0, 0xffff
	s_and_b64 s[0:1], vcc, exec
	s_cselect_b32 s17, s11, 0
	s_cselect_b32 s16, s10, 0x10000
	s_lshl_b32 s6, s3, 1
	s_lshl_b32 s23, s3, 2
	s_add_u32 s7, s12, s14
	s_addc_u32 s8, s13, s15
	v_mov_b32_e32 v5, s8
	v_add_co_u32_e32 v4, vcc, s7, v1
	s_mul_i32 s0, s3, 3
	v_addc_co_u32_e32 v5, vcc, 0, v5, vcc
	v_add_co_u32_e32 v1, vcc, s0, v0
	v_addc_co_u32_e64 v10, s[0:1], 0, 0, vcc
	v_add_co_u32_e32 v11, vcc, s6, v0
	v_addc_co_u32_e64 v12, s[0:1], 0, 0, vcc
	v_add_co_u32_e32 v13, vcc, s3, v0
	v_lshlrev_b32_e32 v6, 2, v13
	s_mov_b32 s2, 0
	v_addc_co_u32_e64 v14, s[0:1], 0, 0, vcc
	v_mov_b32_e32 v7, s8
	v_add_co_u32_e32 v6, vcc, s7, v6
	s_lshl_b32 s24, s3, 4
	s_mul_i32 s25, s3, 12
	s_mov_b32 s26, s2
	s_lshl_b32 s27, s3, 3
	s_mov_b32 s28, s2
	v_addc_co_u32_e32 v7, vcc, 0, v7, vcc
	s_mov_b64 s[18:19], 0
	v_pk_mov_b32 v[8:9], s[10:11], s[10:11] op_sel:[0,1]
	v_mov_b32_e32 v15, s2
	s_branch .LBB2_4
.LBB2_3:                                ;   in Loop: Header=BB2_4 Depth=1
	s_or_b64 exec, exec, s[0:1]
	s_add_u32 s18, s18, s23
	s_addc_u32 s19, s19, 0
	v_cmp_lt_i64_e32 vcc, s[18:19], v[8:9]
	v_cmp_lt_u64_e64 s[0:1], s[18:19], v[2:3]
	s_and_b64 s[0:1], vcc, s[0:1]
	v_add_co_u32_e32 v4, vcc, s24, v4
	v_addc_co_u32_e32 v5, vcc, v5, v15, vcc
	v_add_co_u32_e32 v6, vcc, s24, v6
	v_addc_co_u32_e32 v7, vcc, v7, v15, vcc
	s_and_b64 vcc, exec, s[0:1]
	s_cbranch_vccz .LBB2_20
.LBB2_4:                                ; =>This Inner Loop Header: Depth=1
	s_waitcnt vmcnt(0)
	v_mov_b32_e32 v17, s19
	v_add_co_u32_e32 v16, vcc, s18, v0
	v_addc_co_u32_e32 v17, vcc, 0, v17, vcc
	v_cmp_gt_u64_e32 vcc, s[16:17], v[16:17]
	v_mov_b32_e32 v16, 0
	s_and_saveexec_b64 s[0:1], vcc
	s_cbranch_execz .LBB2_6
; %bb.5:                                ;   in Loop: Header=BB2_4 Depth=1
	global_load_dword v16, v[4:5], off
.LBB2_6:                                ;   in Loop: Header=BB2_4 Depth=1
	s_or_b64 exec, exec, s[0:1]
	v_mov_b32_e32 v17, s19
	v_add_co_u32_e64 v18, s[0:1], s18, v13
	v_addc_co_u32_e64 v19, s[0:1], v14, v17, s[0:1]
	v_cmp_gt_u64_e64 s[0:1], s[16:17], v[18:19]
	v_mov_b32_e32 v18, 0
	s_and_saveexec_b64 s[2:3], s[0:1]
	s_cbranch_execz .LBB2_8
; %bb.7:                                ;   in Loop: Header=BB2_4 Depth=1
	global_load_dword v18, v[6:7], off
.LBB2_8:                                ;   in Loop: Header=BB2_4 Depth=1
	s_or_b64 exec, exec, s[2:3]
	v_mov_b32_e32 v17, s19
	v_add_co_u32_e64 v20, s[2:3], s18, v11
	v_addc_co_u32_e64 v21, s[2:3], v12, v17, s[2:3]
	v_cmp_gt_u64_e64 s[2:3], s[16:17], v[20:21]
	v_mov_b32_e32 v17, 0
	v_mov_b32_e32 v19, 0
	s_and_saveexec_b64 s[8:9], s[2:3]
	s_cbranch_execz .LBB2_10
; %bb.9:                                ;   in Loop: Header=BB2_4 Depth=1
	v_mov_b32_e32 v19, s28
	v_add_co_u32_e64 v20, s[6:7], s27, v4
	v_addc_co_u32_e64 v21, s[6:7], v5, v19, s[6:7]
	global_load_dword v19, v[20:21], off
.LBB2_10:                               ;   in Loop: Header=BB2_4 Depth=1
	s_or_b64 exec, exec, s[8:9]
	v_mov_b32_e32 v21, s19
	v_add_co_u32_e64 v20, s[6:7], s18, v1
	v_addc_co_u32_e64 v21, s[6:7], v10, v21, s[6:7]
	v_cmp_gt_u64_e64 s[6:7], s[16:17], v[20:21]
	s_and_saveexec_b64 s[20:21], s[6:7]
	s_cbranch_execnz .LBB2_15
; %bb.11:                               ;   in Loop: Header=BB2_4 Depth=1
	s_or_b64 exec, exec, s[20:21]
	s_and_saveexec_b64 s[8:9], vcc
	s_cbranch_execnz .LBB2_16
.LBB2_12:                               ;   in Loop: Header=BB2_4 Depth=1
	s_or_b64 exec, exec, s[8:9]
	s_and_saveexec_b64 s[8:9], s[0:1]
	s_cbranch_execnz .LBB2_17
.LBB2_13:                               ;   in Loop: Header=BB2_4 Depth=1
	s_or_b64 exec, exec, s[8:9]
	s_and_saveexec_b64 s[0:1], s[2:3]
	s_cbranch_execnz .LBB2_18
.LBB2_14:                               ;   in Loop: Header=BB2_4 Depth=1
	s_or_b64 exec, exec, s[0:1]
	s_and_saveexec_b64 s[0:1], s[6:7]
	s_cbranch_execz .LBB2_3
	s_branch .LBB2_19
.LBB2_15:                               ;   in Loop: Header=BB2_4 Depth=1
	v_mov_b32_e32 v17, s26
	v_add_co_u32_e64 v20, s[8:9], s25, v4
	v_addc_co_u32_e64 v21, s[8:9], v5, v17, s[8:9]
	global_load_dword v17, v[20:21], off
	s_or_b64 exec, exec, s[20:21]
	s_and_saveexec_b64 s[8:9], vcc
	s_cbranch_execz .LBB2_12
.LBB2_16:                               ;   in Loop: Header=BB2_4 Depth=1
	s_waitcnt vmcnt(0)
	v_add_u32_e32 v16, s22, v16
	global_store_dword v[4:5], v16, off
	s_or_b64 exec, exec, s[8:9]
	s_and_saveexec_b64 s[8:9], s[0:1]
	s_cbranch_execz .LBB2_13
.LBB2_17:                               ;   in Loop: Header=BB2_4 Depth=1
	s_waitcnt vmcnt(0)
	v_add_u32_e32 v16, s22, v18
	global_store_dword v[6:7], v16, off
	s_or_b64 exec, exec, s[8:9]
	s_and_saveexec_b64 s[0:1], s[2:3]
	s_cbranch_execz .LBB2_14
.LBB2_18:                               ;   in Loop: Header=BB2_4 Depth=1
	s_waitcnt vmcnt(0)
	v_add_u32_e32 v16, s22, v19
	v_mov_b32_e32 v19, s28
	v_add_co_u32_e32 v18, vcc, s27, v4
	v_addc_co_u32_e32 v19, vcc, v5, v19, vcc
	global_store_dword v[18:19], v16, off
	s_or_b64 exec, exec, s[0:1]
	s_and_saveexec_b64 s[0:1], s[6:7]
	s_cbranch_execz .LBB2_3
.LBB2_19:                               ;   in Loop: Header=BB2_4 Depth=1
	s_waitcnt vmcnt(0)
	v_add_u32_e32 v18, s22, v17
	v_mov_b32_e32 v17, s26
	v_add_co_u32_e32 v16, vcc, s25, v4
	v_addc_co_u32_e32 v17, vcc, v5, v17, vcc
	global_store_dword v[16:17], v18, off
	s_branch .LBB2_3
.LBB2_20:
	s_cbranch_execz .LBB2_22
	s_branch .LBB2_25
.LBB2_21:
.LBB2_22:
	v_mov_b32_e32 v3, 0
	v_lshlrev_b32_e32 v2, 2, v0
	s_mov_b32 s0, 0
	v_cmp_gt_i64_e32 vcc, s[10:11], v[2:3]
	s_and_saveexec_b64 s[2:3], vcc
	s_cbranch_execz .LBB2_25
; %bb.23:
	s_load_dword s1, s[4:5], 0xd3c
	v_lshlrev_b32_e32 v1, 4, v0
	s_mov_b32 s6, s22
	s_mov_b64 s[4:5], 0xffff
	s_waitcnt lgkmcnt(0)
	s_and_b32 s1, s1, 0xffff
	s_add_u32 s2, s12, s14
	s_addc_u32 s3, s13, s15
	v_mov_b32_e32 v2, s3
	v_add_co_u32_e32 v1, vcc, s2, v1
	v_addc_co_u32_e32 v2, vcc, 0, v2, vcc
	v_add_co_u32_e32 v4, vcc, 8, v1
	v_addc_co_u32_e32 v5, vcc, 0, v2, vcc
	s_lshl_b32 s7, s1, 4
	v_add_lshl_u32 v2, v0, s1, 2
	s_lshl_b32 s8, s1, 2
	s_mov_b64 s[2:3], 0
	v_mov_b32_e32 v0, s0
	v_mov_b32_e32 v1, s0
.LBB2_24:                               ; =>This Inner Loop Header: Depth=1
	global_load_dwordx4 v[6:9], v[4:5], off offset:-8
	v_cmp_le_i64_e32 vcc, s[10:11], v[2:3]
	v_cmp_lt_u64_e64 s[0:1], s[4:5], v[2:3]
	s_or_b64 s[0:1], vcc, s[0:1]
	s_and_b64 s[0:1], exec, s[0:1]
	s_or_b64 s[2:3], s[0:1], s[2:3]
	s_waitcnt vmcnt(0)
	v_add_u32_e32 v7, s6, v7
	v_add_u32_e32 v6, s22, v6
	;; [unrolled: 1-line block ×4, first 2 shown]
	global_store_dwordx4 v[4:5], v[6:9], off offset:-8
	v_add_co_u32_e32 v4, vcc, s7, v4
	v_addc_co_u32_e32 v5, vcc, v5, v0, vcc
	v_add_co_u32_e32 v2, vcc, s8, v2
	v_addc_co_u32_e32 v3, vcc, v3, v1, vcc
	s_andn2_b64 exec, exec, s[2:3]
	s_cbranch_execnz .LBB2_24
.LBB2_25:
	s_endpgm
	.section	.rodata,"a",@progbits
	.p2align	6, 0x0
	.amdhsa_kernel _ZN2at6native12_GLOBAL__N_125multi_tensor_apply_kernelINS1_18TensorListMetadataILi1EEENS1_21BinaryOpScalarFunctorIiLi1ELi1ELi0EEEJSt4plusIiEiEEEvT_T0_DpT1_
		.amdhsa_group_segment_fixed_size 0
		.amdhsa_private_segment_fixed_size 0
		.amdhsa_kernarg_size 3632
		.amdhsa_user_sgpr_count 6
		.amdhsa_user_sgpr_private_segment_buffer 1
		.amdhsa_user_sgpr_dispatch_ptr 0
		.amdhsa_user_sgpr_queue_ptr 0
		.amdhsa_user_sgpr_kernarg_segment_ptr 1
		.amdhsa_user_sgpr_dispatch_id 0
		.amdhsa_user_sgpr_flat_scratch_init 0
		.amdhsa_user_sgpr_kernarg_preload_length 0
		.amdhsa_user_sgpr_kernarg_preload_offset 0
		.amdhsa_user_sgpr_private_segment_size 0
		.amdhsa_uses_dynamic_stack 0
		.amdhsa_system_sgpr_private_segment_wavefront_offset 0
		.amdhsa_system_sgpr_workgroup_id_x 1
		.amdhsa_system_sgpr_workgroup_id_y 0
		.amdhsa_system_sgpr_workgroup_id_z 0
		.amdhsa_system_sgpr_workgroup_info 0
		.amdhsa_system_vgpr_workitem_id 0
		.amdhsa_next_free_vgpr 22
		.amdhsa_next_free_sgpr 29
		.amdhsa_accum_offset 24
		.amdhsa_reserve_vcc 1
		.amdhsa_reserve_flat_scratch 0
		.amdhsa_float_round_mode_32 0
		.amdhsa_float_round_mode_16_64 0
		.amdhsa_float_denorm_mode_32 3
		.amdhsa_float_denorm_mode_16_64 3
		.amdhsa_dx10_clamp 1
		.amdhsa_ieee_mode 1
		.amdhsa_fp16_overflow 0
		.amdhsa_tg_split 0
		.amdhsa_exception_fp_ieee_invalid_op 0
		.amdhsa_exception_fp_denorm_src 0
		.amdhsa_exception_fp_ieee_div_zero 0
		.amdhsa_exception_fp_ieee_overflow 0
		.amdhsa_exception_fp_ieee_underflow 0
		.amdhsa_exception_fp_ieee_inexact 0
		.amdhsa_exception_int_div_zero 0
	.end_amdhsa_kernel
	.section	.text._ZN2at6native12_GLOBAL__N_125multi_tensor_apply_kernelINS1_18TensorListMetadataILi1EEENS1_21BinaryOpScalarFunctorIiLi1ELi1ELi0EEEJSt4plusIiEiEEEvT_T0_DpT1_,"axG",@progbits,_ZN2at6native12_GLOBAL__N_125multi_tensor_apply_kernelINS1_18TensorListMetadataILi1EEENS1_21BinaryOpScalarFunctorIiLi1ELi1ELi0EEEJSt4plusIiEiEEEvT_T0_DpT1_,comdat
.Lfunc_end2:
	.size	_ZN2at6native12_GLOBAL__N_125multi_tensor_apply_kernelINS1_18TensorListMetadataILi1EEENS1_21BinaryOpScalarFunctorIiLi1ELi1ELi0EEEJSt4plusIiEiEEEvT_T0_DpT1_, .Lfunc_end2-_ZN2at6native12_GLOBAL__N_125multi_tensor_apply_kernelINS1_18TensorListMetadataILi1EEENS1_21BinaryOpScalarFunctorIiLi1ELi1ELi0EEEJSt4plusIiEiEEEvT_T0_DpT1_
                                        ; -- End function
	.section	.AMDGPU.csdata,"",@progbits
; Kernel info:
; codeLenInByte = 1024
; NumSgprs: 33
; NumVgprs: 22
; NumAgprs: 0
; TotalNumVgprs: 22
; ScratchSize: 0
; MemoryBound: 0
; FloatMode: 240
; IeeeMode: 1
; LDSByteSize: 0 bytes/workgroup (compile time only)
; SGPRBlocks: 4
; VGPRBlocks: 2
; NumSGPRsForWavesPerEU: 33
; NumVGPRsForWavesPerEU: 22
; AccumOffset: 24
; Occupancy: 8
; WaveLimiterHint : 0
; COMPUTE_PGM_RSRC2:SCRATCH_EN: 0
; COMPUTE_PGM_RSRC2:USER_SGPR: 6
; COMPUTE_PGM_RSRC2:TRAP_HANDLER: 0
; COMPUTE_PGM_RSRC2:TGID_X_EN: 1
; COMPUTE_PGM_RSRC2:TGID_Y_EN: 0
; COMPUTE_PGM_RSRC2:TGID_Z_EN: 0
; COMPUTE_PGM_RSRC2:TIDIG_COMP_CNT: 0
; COMPUTE_PGM_RSRC3_GFX90A:ACCUM_OFFSET: 5
; COMPUTE_PGM_RSRC3_GFX90A:TG_SPLIT: 0
	.section	.text._ZN2at6native12_GLOBAL__N_125multi_tensor_apply_kernelINS1_18TensorListMetadataILi1EEENS1_21BinaryOpScalarFunctorIlLi1ELi1ELi0EEEJSt4plusIlElEEEvT_T0_DpT1_,"axG",@progbits,_ZN2at6native12_GLOBAL__N_125multi_tensor_apply_kernelINS1_18TensorListMetadataILi1EEENS1_21BinaryOpScalarFunctorIlLi1ELi1ELi0EEEJSt4plusIlElEEEvT_T0_DpT1_,comdat
	.globl	_ZN2at6native12_GLOBAL__N_125multi_tensor_apply_kernelINS1_18TensorListMetadataILi1EEENS1_21BinaryOpScalarFunctorIlLi1ELi1ELi0EEEJSt4plusIlElEEEvT_T0_DpT1_ ; -- Begin function _ZN2at6native12_GLOBAL__N_125multi_tensor_apply_kernelINS1_18TensorListMetadataILi1EEENS1_21BinaryOpScalarFunctorIlLi1ELi1ELi0EEEJSt4plusIlElEEEvT_T0_DpT1_
	.p2align	8
	.type	_ZN2at6native12_GLOBAL__N_125multi_tensor_apply_kernelINS1_18TensorListMetadataILi1EEENS1_21BinaryOpScalarFunctorIlLi1ELi1ELi0EEEJSt4plusIlElEEEvT_T0_DpT1_,@function
_ZN2at6native12_GLOBAL__N_125multi_tensor_apply_kernelINS1_18TensorListMetadataILi1EEENS1_21BinaryOpScalarFunctorIlLi1ELi1ELi0EEEJSt4plusIlElEEEvT_T0_DpT1_: ; @_ZN2at6native12_GLOBAL__N_125multi_tensor_apply_kernelINS1_18TensorListMetadataILi1EEENS1_21BinaryOpScalarFunctorIlLi1ELi1ELi0EEEJSt4plusIlElEEEvT_T0_DpT1_
; %bb.0:
	v_mov_b32_e32 v1, s6
	global_load_ubyte v1, v1, s[4:5] offset:1760
	s_add_u32 s0, s4, s6
	s_mul_hi_u32 s1, s6, 3
	s_mul_i32 s6, s6, 3
	s_addc_u32 s2, s5, 0
	s_add_u32 s0, s0, s6
	s_addc_u32 s1, s2, s1
	s_load_dword s0, s[0:1], 0x820
	s_mov_b32 s7, 0
	s_waitcnt vmcnt(0)
	v_readfirstlane_b32 s1, v1
	s_lshl_b32 s1, s1, 3
	s_load_dwordx2 s[10:11], s[4:5], 0xd30
	s_load_dwordx2 s[2:3], s[4:5], s1 offset:0x370
	s_load_dwordx2 s[14:15], s[4:5], s1 offset:0x0
	s_waitcnt lgkmcnt(0)
	s_ashr_i32 s1, s0, 31
	s_lshl_b64 s[16:17], s[0:1], 19
	s_lshl_b64 s[0:1], s[0:1], 16
	s_and_b32 s6, s14, 31
	s_sub_u32 s12, s2, s0
	s_subb_u32 s13, s3, s1
	s_and_b32 s0, s2, 3
	s_mov_b32 s1, s7
	s_or_b64 s[0:1], s[6:7], s[0:1]
	s_cmp_eq_u64 s[0:1], 0
	s_cbranch_scc1 .LBB3_21
; %bb.1:
	v_cmp_lt_i64_e64 s[0:1], s[12:13], 1
	s_and_b64 vcc, exec, s[0:1]
	s_cbranch_vccnz .LBB3_20
; %bb.2:
	s_load_dword s0, s[4:5], 0xd44
	v_mov_b32_e32 v2, 0x10000
	v_mov_b32_e32 v3, 0
	v_cmp_lt_u64_e32 vcc, s[12:13], v[2:3]
	v_lshlrev_b32_e32 v1, 3, v0
	s_waitcnt lgkmcnt(0)
	s_and_b32 s3, s0, 0xffff
	s_and_b64 s[0:1], vcc, exec
	s_cselect_b32 s19, s13, 0
	s_cselect_b32 s18, s12, 0x10000
	s_lshl_b32 s6, s3, 1
	s_lshl_b32 s24, s3, 2
	s_add_u32 s7, s14, s16
	s_addc_u32 s8, s15, s17
	v_mov_b32_e32 v3, s8
	v_add_co_u32_e32 v2, vcc, s7, v1
	s_mul_i32 s0, s3, 3
	v_addc_co_u32_e32 v3, vcc, 0, v3, vcc
	v_add_co_u32_e32 v1, vcc, s0, v0
	v_addc_co_u32_e64 v16, s[0:1], 0, 0, vcc
	v_add_co_u32_e32 v17, vcc, s6, v0
	v_addc_co_u32_e64 v18, s[0:1], 0, 0, vcc
	v_add_co_u32_e32 v19, vcc, s3, v0
	v_lshlrev_b32_e32 v4, 3, v19
	s_mov_b32 s2, 0
	v_addc_co_u32_e64 v20, s[0:1], 0, 0, vcc
	v_mov_b32_e32 v5, s8
	v_add_co_u32_e32 v4, vcc, s7, v4
	s_lshl_b32 s25, s3, 5
	s_mul_i32 s26, s3, 24
	s_mov_b32 s27, s2
	s_lshl_b32 s28, s3, 4
	s_mov_b32 s29, s2
	v_addc_co_u32_e32 v5, vcc, 0, v5, vcc
	s_mov_b64 s[20:21], 0
	v_pk_mov_b32 v[6:7], s[12:13], s[12:13] op_sel:[0,1]
	v_mov_b32_e32 v21, s2
	s_branch .LBB3_4
.LBB3_3:                                ;   in Loop: Header=BB3_4 Depth=1
	s_or_b64 exec, exec, s[0:1]
	s_add_u32 s20, s20, s24
	s_waitcnt vmcnt(0)
	v_mov_b32_e32 v8, 0x10000
	s_addc_u32 s21, s21, 0
	v_mov_b32_e32 v9, 0
	v_cmp_lt_i64_e32 vcc, s[20:21], v[6:7]
	v_cmp_lt_u64_e64 s[0:1], s[20:21], v[8:9]
	s_and_b64 s[0:1], vcc, s[0:1]
	v_add_co_u32_e32 v2, vcc, s25, v2
	v_addc_co_u32_e32 v3, vcc, v3, v21, vcc
	v_add_co_u32_e32 v4, vcc, s25, v4
	v_addc_co_u32_e32 v5, vcc, v5, v21, vcc
	s_and_b64 vcc, exec, s[0:1]
	s_cbranch_vccz .LBB3_20
.LBB3_4:                                ; =>This Inner Loop Header: Depth=1
	v_mov_b32_e32 v9, s21
	v_add_co_u32_e32 v8, vcc, s20, v0
	v_addc_co_u32_e32 v9, vcc, 0, v9, vcc
	v_cmp_gt_u64_e32 vcc, s[18:19], v[8:9]
	v_pk_mov_b32 v[8:9], 0, 0
	v_pk_mov_b32 v[12:13], v[8:9], v[8:9] op_sel:[0,1]
	s_and_saveexec_b64 s[0:1], vcc
	s_cbranch_execz .LBB3_6
; %bb.5:                                ;   in Loop: Header=BB3_4 Depth=1
	global_load_dwordx2 v[12:13], v[2:3], off
.LBB3_6:                                ;   in Loop: Header=BB3_4 Depth=1
	s_or_b64 exec, exec, s[0:1]
	v_mov_b32_e32 v11, s21
	v_add_co_u32_e64 v10, s[0:1], s20, v19
	v_addc_co_u32_e64 v11, s[0:1], v20, v11, s[0:1]
	v_cmp_gt_u64_e64 s[0:1], s[18:19], v[10:11]
	s_and_saveexec_b64 s[2:3], s[0:1]
	s_cbranch_execz .LBB3_8
; %bb.7:                                ;   in Loop: Header=BB3_4 Depth=1
	global_load_dwordx2 v[8:9], v[4:5], off
.LBB3_8:                                ;   in Loop: Header=BB3_4 Depth=1
	s_or_b64 exec, exec, s[2:3]
	v_mov_b32_e32 v11, s21
	v_add_co_u32_e64 v10, s[2:3], s20, v17
	v_addc_co_u32_e64 v11, s[2:3], v18, v11, s[2:3]
	v_cmp_gt_u64_e64 s[2:3], s[18:19], v[10:11]
	v_pk_mov_b32 v[10:11], 0, 0
	v_pk_mov_b32 v[14:15], v[10:11], v[10:11] op_sel:[0,1]
	s_and_saveexec_b64 s[8:9], s[2:3]
	s_cbranch_execz .LBB3_10
; %bb.9:                                ;   in Loop: Header=BB3_4 Depth=1
	v_mov_b32_e32 v15, s29
	v_add_co_u32_e64 v14, s[6:7], s28, v2
	v_addc_co_u32_e64 v15, s[6:7], v3, v15, s[6:7]
	global_load_dwordx2 v[14:15], v[14:15], off
.LBB3_10:                               ;   in Loop: Header=BB3_4 Depth=1
	s_or_b64 exec, exec, s[8:9]
	v_mov_b32_e32 v23, s21
	v_add_co_u32_e64 v22, s[6:7], s20, v1
	v_addc_co_u32_e64 v23, s[6:7], v16, v23, s[6:7]
	v_cmp_gt_u64_e64 s[6:7], s[18:19], v[22:23]
	s_and_saveexec_b64 s[22:23], s[6:7]
	s_cbranch_execnz .LBB3_15
; %bb.11:                               ;   in Loop: Header=BB3_4 Depth=1
	s_or_b64 exec, exec, s[22:23]
	s_and_saveexec_b64 s[8:9], vcc
	s_cbranch_execnz .LBB3_16
.LBB3_12:                               ;   in Loop: Header=BB3_4 Depth=1
	s_or_b64 exec, exec, s[8:9]
	s_and_saveexec_b64 s[8:9], s[0:1]
	s_cbranch_execnz .LBB3_17
.LBB3_13:                               ;   in Loop: Header=BB3_4 Depth=1
	s_or_b64 exec, exec, s[8:9]
	s_and_saveexec_b64 s[0:1], s[2:3]
	s_cbranch_execnz .LBB3_18
.LBB3_14:                               ;   in Loop: Header=BB3_4 Depth=1
	s_or_b64 exec, exec, s[0:1]
	s_and_saveexec_b64 s[0:1], s[6:7]
	s_cbranch_execz .LBB3_3
	s_branch .LBB3_19
.LBB3_15:                               ;   in Loop: Header=BB3_4 Depth=1
	v_mov_b32_e32 v11, s27
	v_add_co_u32_e64 v10, s[8:9], s26, v2
	v_addc_co_u32_e64 v11, s[8:9], v3, v11, s[8:9]
	global_load_dwordx2 v[10:11], v[10:11], off
	s_or_b64 exec, exec, s[22:23]
	s_and_saveexec_b64 s[8:9], vcc
	s_cbranch_execz .LBB3_12
.LBB3_16:                               ;   in Loop: Header=BB3_4 Depth=1
	v_mov_b32_e32 v22, s11
	s_waitcnt vmcnt(0)
	v_add_co_u32_e32 v12, vcc, s10, v12
	v_addc_co_u32_e32 v13, vcc, v13, v22, vcc
	global_store_dwordx2 v[2:3], v[12:13], off
	s_or_b64 exec, exec, s[8:9]
	s_and_saveexec_b64 s[8:9], s[0:1]
	s_cbranch_execz .LBB3_13
.LBB3_17:                               ;   in Loop: Header=BB3_4 Depth=1
	s_waitcnt vmcnt(0)
	v_mov_b32_e32 v12, s11
	v_add_co_u32_e32 v8, vcc, s10, v8
	v_addc_co_u32_e32 v9, vcc, v9, v12, vcc
	global_store_dwordx2 v[4:5], v[8:9], off
	s_or_b64 exec, exec, s[8:9]
	s_and_saveexec_b64 s[0:1], s[2:3]
	s_cbranch_execz .LBB3_14
.LBB3_18:                               ;   in Loop: Header=BB3_4 Depth=1
	s_waitcnt vmcnt(0)
	v_mov_b32_e32 v9, s11
	v_add_co_u32_e32 v8, vcc, s10, v14
	v_addc_co_u32_e32 v9, vcc, v15, v9, vcc
	v_mov_b32_e32 v13, s29
	v_add_co_u32_e32 v12, vcc, s28, v2
	v_addc_co_u32_e32 v13, vcc, v3, v13, vcc
	global_store_dwordx2 v[12:13], v[8:9], off
	s_or_b64 exec, exec, s[0:1]
	s_and_saveexec_b64 s[0:1], s[6:7]
	s_cbranch_execz .LBB3_3
.LBB3_19:                               ;   in Loop: Header=BB3_4 Depth=1
	s_waitcnt vmcnt(0)
	v_mov_b32_e32 v9, s11
	v_add_co_u32_e32 v8, vcc, s10, v10
	v_addc_co_u32_e32 v9, vcc, v11, v9, vcc
	v_mov_b32_e32 v11, s27
	v_add_co_u32_e32 v10, vcc, s26, v2
	v_addc_co_u32_e32 v11, vcc, v3, v11, vcc
	global_store_dwordx2 v[10:11], v[8:9], off
	s_branch .LBB3_3
.LBB3_20:
	s_cbranch_execz .LBB3_22
	s_branch .LBB3_25
.LBB3_21:
.LBB3_22:
	v_mov_b32_e32 v3, 0
	v_lshlrev_b32_e32 v2, 2, v0
	s_mov_b32 s0, 0
	v_cmp_gt_i64_e32 vcc, s[12:13], v[2:3]
	s_and_saveexec_b64 s[2:3], vcc
	s_cbranch_execz .LBB3_25
; %bb.23:
	s_load_dword s1, s[4:5], 0xd44
	v_lshlrev_b32_e32 v1, 5, v0
	s_mov_b64 s[4:5], 0
	s_mov_b64 s[6:7], 0xffff
	v_mov_b32_e32 v5, s0
	s_waitcnt lgkmcnt(0)
	s_and_b32 s1, s1, 0xffff
	s_lshl_b32 s8, s1, 2
	s_add_u32 s2, s14, s16
	s_addc_u32 s3, s15, s17
	v_add_lshl_u32 v2, v0, s1, 2
	v_mov_b32_e32 v0, s3
	v_add_co_u32_e32 v1, vcc, s2, v1
	v_addc_co_u32_e32 v4, vcc, 0, v0, vcc
	v_add_co_u32_e32 v0, vcc, 16, v1
	v_addc_co_u32_e32 v1, vcc, 0, v4, vcc
	s_lshl_b32 s9, s1, 5
	v_mov_b32_e32 v4, s11
	v_mov_b32_e32 v6, s0
.LBB3_24:                               ; =>This Inner Loop Header: Depth=1
	global_load_dwordx4 v[8:11], v[0:1], off offset:-16
	global_load_dwordx4 v[12:15], v[0:1], off
	v_cmp_le_i64_e32 vcc, s[12:13], v[2:3]
	v_cmp_lt_u64_e64 s[0:1], s[6:7], v[2:3]
	s_or_b64 s[0:1], vcc, s[0:1]
	v_add_co_u32_e64 v2, s[2:3], s8, v2
	s_and_b64 s[0:1], exec, s[0:1]
	v_addc_co_u32_e64 v3, s[2:3], v3, v5, s[2:3]
	s_or_b64 s[4:5], s[0:1], s[4:5]
	s_waitcnt vmcnt(1)
	v_add_co_u32_e32 v8, vcc, s10, v8
	v_addc_co_u32_e32 v9, vcc, v9, v4, vcc
	v_add_co_u32_e32 v10, vcc, s10, v10
	v_addc_co_u32_e32 v11, vcc, v11, v4, vcc
	s_waitcnt vmcnt(0)
	v_add_co_u32_e32 v12, vcc, s10, v12
	v_addc_co_u32_e32 v13, vcc, v13, v4, vcc
	v_add_co_u32_e32 v14, vcc, s10, v14
	v_addc_co_u32_e32 v15, vcc, v15, v4, vcc
	global_store_dwordx4 v[0:1], v[8:11], off offset:-16
	global_store_dwordx4 v[0:1], v[12:15], off
	v_add_co_u32_e32 v0, vcc, s9, v0
	v_addc_co_u32_e32 v1, vcc, v1, v6, vcc
	s_andn2_b64 exec, exec, s[4:5]
	s_cbranch_execnz .LBB3_24
.LBB3_25:
	s_endpgm
	.section	.rodata,"a",@progbits
	.p2align	6, 0x0
	.amdhsa_kernel _ZN2at6native12_GLOBAL__N_125multi_tensor_apply_kernelINS1_18TensorListMetadataILi1EEENS1_21BinaryOpScalarFunctorIlLi1ELi1ELi0EEEJSt4plusIlElEEEvT_T0_DpT1_
		.amdhsa_group_segment_fixed_size 0
		.amdhsa_private_segment_fixed_size 0
		.amdhsa_kernarg_size 3640
		.amdhsa_user_sgpr_count 6
		.amdhsa_user_sgpr_private_segment_buffer 1
		.amdhsa_user_sgpr_dispatch_ptr 0
		.amdhsa_user_sgpr_queue_ptr 0
		.amdhsa_user_sgpr_kernarg_segment_ptr 1
		.amdhsa_user_sgpr_dispatch_id 0
		.amdhsa_user_sgpr_flat_scratch_init 0
		.amdhsa_user_sgpr_kernarg_preload_length 0
		.amdhsa_user_sgpr_kernarg_preload_offset 0
		.amdhsa_user_sgpr_private_segment_size 0
		.amdhsa_uses_dynamic_stack 0
		.amdhsa_system_sgpr_private_segment_wavefront_offset 0
		.amdhsa_system_sgpr_workgroup_id_x 1
		.amdhsa_system_sgpr_workgroup_id_y 0
		.amdhsa_system_sgpr_workgroup_id_z 0
		.amdhsa_system_sgpr_workgroup_info 0
		.amdhsa_system_vgpr_workitem_id 0
		.amdhsa_next_free_vgpr 24
		.amdhsa_next_free_sgpr 30
		.amdhsa_accum_offset 24
		.amdhsa_reserve_vcc 1
		.amdhsa_reserve_flat_scratch 0
		.amdhsa_float_round_mode_32 0
		.amdhsa_float_round_mode_16_64 0
		.amdhsa_float_denorm_mode_32 3
		.amdhsa_float_denorm_mode_16_64 3
		.amdhsa_dx10_clamp 1
		.amdhsa_ieee_mode 1
		.amdhsa_fp16_overflow 0
		.amdhsa_tg_split 0
		.amdhsa_exception_fp_ieee_invalid_op 0
		.amdhsa_exception_fp_denorm_src 0
		.amdhsa_exception_fp_ieee_div_zero 0
		.amdhsa_exception_fp_ieee_overflow 0
		.amdhsa_exception_fp_ieee_underflow 0
		.amdhsa_exception_fp_ieee_inexact 0
		.amdhsa_exception_int_div_zero 0
	.end_amdhsa_kernel
	.section	.text._ZN2at6native12_GLOBAL__N_125multi_tensor_apply_kernelINS1_18TensorListMetadataILi1EEENS1_21BinaryOpScalarFunctorIlLi1ELi1ELi0EEEJSt4plusIlElEEEvT_T0_DpT1_,"axG",@progbits,_ZN2at6native12_GLOBAL__N_125multi_tensor_apply_kernelINS1_18TensorListMetadataILi1EEENS1_21BinaryOpScalarFunctorIlLi1ELi1ELi0EEEJSt4plusIlElEEEvT_T0_DpT1_,comdat
.Lfunc_end3:
	.size	_ZN2at6native12_GLOBAL__N_125multi_tensor_apply_kernelINS1_18TensorListMetadataILi1EEENS1_21BinaryOpScalarFunctorIlLi1ELi1ELi0EEEJSt4plusIlElEEEvT_T0_DpT1_, .Lfunc_end3-_ZN2at6native12_GLOBAL__N_125multi_tensor_apply_kernelINS1_18TensorListMetadataILi1EEENS1_21BinaryOpScalarFunctorIlLi1ELi1ELi0EEEJSt4plusIlElEEEvT_T0_DpT1_
                                        ; -- End function
	.section	.AMDGPU.csdata,"",@progbits
; Kernel info:
; codeLenInByte = 1128
; NumSgprs: 34
; NumVgprs: 24
; NumAgprs: 0
; TotalNumVgprs: 24
; ScratchSize: 0
; MemoryBound: 0
; FloatMode: 240
; IeeeMode: 1
; LDSByteSize: 0 bytes/workgroup (compile time only)
; SGPRBlocks: 4
; VGPRBlocks: 2
; NumSGPRsForWavesPerEU: 34
; NumVGPRsForWavesPerEU: 24
; AccumOffset: 24
; Occupancy: 8
; WaveLimiterHint : 0
; COMPUTE_PGM_RSRC2:SCRATCH_EN: 0
; COMPUTE_PGM_RSRC2:USER_SGPR: 6
; COMPUTE_PGM_RSRC2:TRAP_HANDLER: 0
; COMPUTE_PGM_RSRC2:TGID_X_EN: 1
; COMPUTE_PGM_RSRC2:TGID_Y_EN: 0
; COMPUTE_PGM_RSRC2:TGID_Z_EN: 0
; COMPUTE_PGM_RSRC2:TIDIG_COMP_CNT: 0
; COMPUTE_PGM_RSRC3_GFX90A:ACCUM_OFFSET: 5
; COMPUTE_PGM_RSRC3_GFX90A:TG_SPLIT: 0
	.section	.text._ZN2at6native12_GLOBAL__N_125multi_tensor_apply_kernelINS1_18TensorListMetadataILi1EEENS1_21BinaryOpScalarFunctorIsLi1ELi1ELi0EEEJSt4plusIsEsEEEvT_T0_DpT1_,"axG",@progbits,_ZN2at6native12_GLOBAL__N_125multi_tensor_apply_kernelINS1_18TensorListMetadataILi1EEENS1_21BinaryOpScalarFunctorIsLi1ELi1ELi0EEEJSt4plusIsEsEEEvT_T0_DpT1_,comdat
	.globl	_ZN2at6native12_GLOBAL__N_125multi_tensor_apply_kernelINS1_18TensorListMetadataILi1EEENS1_21BinaryOpScalarFunctorIsLi1ELi1ELi0EEEJSt4plusIsEsEEEvT_T0_DpT1_ ; -- Begin function _ZN2at6native12_GLOBAL__N_125multi_tensor_apply_kernelINS1_18TensorListMetadataILi1EEENS1_21BinaryOpScalarFunctorIsLi1ELi1ELi0EEEJSt4plusIsEsEEEvT_T0_DpT1_
	.p2align	8
	.type	_ZN2at6native12_GLOBAL__N_125multi_tensor_apply_kernelINS1_18TensorListMetadataILi1EEENS1_21BinaryOpScalarFunctorIsLi1ELi1ELi0EEEJSt4plusIsEsEEEvT_T0_DpT1_,@function
_ZN2at6native12_GLOBAL__N_125multi_tensor_apply_kernelINS1_18TensorListMetadataILi1EEENS1_21BinaryOpScalarFunctorIsLi1ELi1ELi0EEEJSt4plusIsEsEEEvT_T0_DpT1_: ; @_ZN2at6native12_GLOBAL__N_125multi_tensor_apply_kernelINS1_18TensorListMetadataILi1EEENS1_21BinaryOpScalarFunctorIsLi1ELi1ELi0EEEJSt4plusIsEsEEEvT_T0_DpT1_
; %bb.0:
	v_mov_b32_e32 v1, s6
	global_load_ubyte v1, v1, s[4:5] offset:1760
	s_load_dword s0, s[4:5], 0xd28
	s_mul_i32 s2, s6, 3
	s_mul_hi_u32 s1, s6, 3
	s_mov_b32 s7, 0
	s_waitcnt lgkmcnt(0)
	s_lshr_b32 s22, s0, 16
	s_add_u32 s0, s4, s6
	s_addc_u32 s3, s5, 0
	s_add_u32 s0, s0, s2
	s_addc_u32 s1, s3, s1
	s_load_dword s0, s[0:1], 0x820
	s_waitcnt vmcnt(0)
	v_readfirstlane_b32 s2, v1
	s_lshl_b32 s1, s2, 3
	s_load_dwordx2 s[2:3], s[4:5], s1 offset:0x370
	s_load_dwordx2 s[12:13], s[4:5], s1 offset:0x0
	s_waitcnt lgkmcnt(0)
	s_ashr_i32 s1, s0, 31
	s_lshl_b64 s[14:15], s[0:1], 17
	s_lshl_b64 s[0:1], s[0:1], 16
	s_and_b32 s6, s12, 7
	s_sub_u32 s10, s2, s0
	s_subb_u32 s11, s3, s1
	s_and_b32 s0, s2, 3
	s_mov_b32 s1, s7
	s_or_b64 s[0:1], s[6:7], s[0:1]
	s_cmp_eq_u64 s[0:1], 0
	s_cbranch_scc1 .LBB4_21
; %bb.1:
	v_cmp_lt_i64_e64 s[0:1], s[10:11], 1
	s_and_b64 vcc, exec, s[0:1]
	s_cbranch_vccnz .LBB4_20
; %bb.2:
	s_load_dword s0, s[4:5], 0xd3c
	v_mov_b32_e32 v2, 0x10000
	v_mov_b32_e32 v3, 0
	v_cmp_lt_u64_e32 vcc, s[10:11], v[2:3]
	v_lshlrev_b32_e32 v1, 1, v0
	s_waitcnt lgkmcnt(0)
	s_and_b32 s2, s0, 0xffff
	s_and_b64 s[0:1], vcc, exec
	s_cselect_b32 s17, s11, 0
	s_cselect_b32 s16, s10, 0x10000
	s_lshl_b32 s3, s2, 1
	s_lshl_b32 s24, s2, 2
	s_add_u32 s6, s12, s14
	s_addc_u32 s7, s13, s15
	v_mov_b32_e32 v5, s7
	v_add_co_u32_e32 v4, vcc, s6, v1
	s_mul_i32 s0, s2, 3
	v_addc_co_u32_e32 v5, vcc, 0, v5, vcc
	v_add_co_u32_e32 v1, vcc, s0, v0
	v_addc_co_u32_e64 v10, s[0:1], 0, 0, vcc
	v_add_co_u32_e32 v11, vcc, s3, v0
	v_addc_co_u32_e64 v12, s[0:1], 0, 0, vcc
	v_add_co_u32_e32 v13, vcc, s2, v0
	v_lshlrev_b32_e32 v6, 1, v13
	s_mov_b32 s23, 0
	v_addc_co_u32_e64 v14, s[0:1], 0, 0, vcc
	v_mov_b32_e32 v7, s7
	v_add_co_u32_e32 v6, vcc, s6, v6
	s_lshl_b32 s25, s2, 3
	s_mul_i32 s26, s2, 6
	s_mov_b32 s27, s23
	v_addc_co_u32_e32 v7, vcc, 0, v7, vcc
	s_mov_b64 s[18:19], 0
	v_pk_mov_b32 v[8:9], s[10:11], s[10:11] op_sel:[0,1]
	v_mov_b32_e32 v15, s23
	s_branch .LBB4_4
.LBB4_3:                                ;   in Loop: Header=BB4_4 Depth=1
	s_or_b64 exec, exec, s[0:1]
	s_add_u32 s18, s18, s24
	s_addc_u32 s19, s19, 0
	v_cmp_lt_i64_e32 vcc, s[18:19], v[8:9]
	v_cmp_lt_u64_e64 s[0:1], s[18:19], v[2:3]
	s_and_b64 s[0:1], vcc, s[0:1]
	v_add_co_u32_e32 v4, vcc, s25, v4
	v_addc_co_u32_e32 v5, vcc, v5, v15, vcc
	v_add_co_u32_e32 v6, vcc, s25, v6
	v_addc_co_u32_e32 v7, vcc, v7, v15, vcc
	s_and_b64 vcc, exec, s[0:1]
	s_cbranch_vccz .LBB4_20
.LBB4_4:                                ; =>This Inner Loop Header: Depth=1
	s_waitcnt vmcnt(0)
	v_mov_b32_e32 v17, s19
	v_add_co_u32_e32 v16, vcc, s18, v0
	v_addc_co_u32_e32 v17, vcc, 0, v17, vcc
	v_cmp_gt_u64_e32 vcc, s[16:17], v[16:17]
	v_mov_b32_e32 v16, 0
	s_and_saveexec_b64 s[0:1], vcc
	s_cbranch_execz .LBB4_6
; %bb.5:                                ;   in Loop: Header=BB4_4 Depth=1
	global_load_ushort v16, v[4:5], off
.LBB4_6:                                ;   in Loop: Header=BB4_4 Depth=1
	s_or_b64 exec, exec, s[0:1]
	v_mov_b32_e32 v17, s19
	v_add_co_u32_e64 v18, s[0:1], s18, v13
	v_addc_co_u32_e64 v19, s[0:1], v14, v17, s[0:1]
	v_cmp_gt_u64_e64 s[0:1], s[16:17], v[18:19]
	v_mov_b32_e32 v18, 0
	s_and_saveexec_b64 s[2:3], s[0:1]
	s_cbranch_execz .LBB4_8
; %bb.7:                                ;   in Loop: Header=BB4_4 Depth=1
	global_load_ushort v18, v[6:7], off
.LBB4_8:                                ;   in Loop: Header=BB4_4 Depth=1
	s_or_b64 exec, exec, s[2:3]
	v_mov_b32_e32 v17, s19
	v_add_co_u32_e64 v20, s[2:3], s18, v11
	v_addc_co_u32_e64 v21, s[2:3], v12, v17, s[2:3]
	v_cmp_gt_u64_e64 s[2:3], s[16:17], v[20:21]
	v_mov_b32_e32 v17, 0
	v_mov_b32_e32 v19, 0
	s_and_saveexec_b64 s[8:9], s[2:3]
	s_cbranch_execz .LBB4_10
; %bb.9:                                ;   in Loop: Header=BB4_4 Depth=1
	v_mov_b32_e32 v19, s23
	v_add_co_u32_e64 v20, s[6:7], s24, v4
	v_addc_co_u32_e64 v21, s[6:7], v5, v19, s[6:7]
	global_load_ushort v19, v[20:21], off
.LBB4_10:                               ;   in Loop: Header=BB4_4 Depth=1
	s_or_b64 exec, exec, s[8:9]
	v_mov_b32_e32 v21, s19
	v_add_co_u32_e64 v20, s[6:7], s18, v1
	v_addc_co_u32_e64 v21, s[6:7], v10, v21, s[6:7]
	v_cmp_gt_u64_e64 s[6:7], s[16:17], v[20:21]
	s_and_saveexec_b64 s[20:21], s[6:7]
	s_cbranch_execnz .LBB4_15
; %bb.11:                               ;   in Loop: Header=BB4_4 Depth=1
	s_or_b64 exec, exec, s[20:21]
	s_and_saveexec_b64 s[8:9], vcc
	s_cbranch_execnz .LBB4_16
.LBB4_12:                               ;   in Loop: Header=BB4_4 Depth=1
	s_or_b64 exec, exec, s[8:9]
	s_and_saveexec_b64 s[8:9], s[0:1]
	s_cbranch_execnz .LBB4_17
.LBB4_13:                               ;   in Loop: Header=BB4_4 Depth=1
	s_or_b64 exec, exec, s[8:9]
	s_and_saveexec_b64 s[0:1], s[2:3]
	s_cbranch_execnz .LBB4_18
.LBB4_14:                               ;   in Loop: Header=BB4_4 Depth=1
	s_or_b64 exec, exec, s[0:1]
	s_and_saveexec_b64 s[0:1], s[6:7]
	s_cbranch_execz .LBB4_3
	s_branch .LBB4_19
.LBB4_15:                               ;   in Loop: Header=BB4_4 Depth=1
	v_mov_b32_e32 v17, s27
	v_add_co_u32_e64 v20, s[8:9], s26, v4
	v_addc_co_u32_e64 v21, s[8:9], v5, v17, s[8:9]
	global_load_ushort v17, v[20:21], off
	s_or_b64 exec, exec, s[20:21]
	s_and_saveexec_b64 s[8:9], vcc
	s_cbranch_execz .LBB4_12
.LBB4_16:                               ;   in Loop: Header=BB4_4 Depth=1
	s_waitcnt vmcnt(0)
	v_add_u16_e32 v16, s22, v16
	global_store_short v[4:5], v16, off
	s_or_b64 exec, exec, s[8:9]
	s_and_saveexec_b64 s[8:9], s[0:1]
	s_cbranch_execz .LBB4_13
.LBB4_17:                               ;   in Loop: Header=BB4_4 Depth=1
	s_waitcnt vmcnt(0)
	v_add_u16_e32 v16, s22, v18
	global_store_short v[6:7], v16, off
	s_or_b64 exec, exec, s[8:9]
	s_and_saveexec_b64 s[0:1], s[2:3]
	s_cbranch_execz .LBB4_14
.LBB4_18:                               ;   in Loop: Header=BB4_4 Depth=1
	s_waitcnt vmcnt(0)
	v_add_u16_e32 v16, s22, v19
	v_mov_b32_e32 v19, s23
	v_add_co_u32_e32 v18, vcc, s24, v4
	v_addc_co_u32_e32 v19, vcc, v5, v19, vcc
	global_store_short v[18:19], v16, off
	s_or_b64 exec, exec, s[0:1]
	s_and_saveexec_b64 s[0:1], s[6:7]
	s_cbranch_execz .LBB4_3
.LBB4_19:                               ;   in Loop: Header=BB4_4 Depth=1
	s_waitcnt vmcnt(0)
	v_add_u16_e32 v18, s22, v17
	v_mov_b32_e32 v17, s27
	v_add_co_u32_e32 v16, vcc, s26, v4
	v_addc_co_u32_e32 v17, vcc, v5, v17, vcc
	global_store_short v[16:17], v18, off
	s_branch .LBB4_3
.LBB4_20:
	s_cbranch_execz .LBB4_22
	s_branch .LBB4_25
.LBB4_21:
.LBB4_22:
	v_mov_b32_e32 v3, 0
	v_lshlrev_b32_e32 v2, 2, v0
	s_mov_b32 s0, 0
	v_cmp_gt_i64_e32 vcc, s[10:11], v[2:3]
	s_and_saveexec_b64 s[2:3], vcc
	s_cbranch_execz .LBB4_25
; %bb.23:
	s_load_dword s1, s[4:5], 0xd3c
	v_lshlrev_b32_e32 v1, 3, v0
	s_mov_b64 s[4:5], 0xffff
	s_waitcnt lgkmcnt(0)
	s_and_b32 s1, s1, 0xffff
	s_add_u32 s2, s12, s14
	s_addc_u32 s3, s13, s15
	v_mov_b32_e32 v2, s3
	v_add_co_u32_e32 v4, vcc, s2, v1
	v_addc_co_u32_e32 v5, vcc, 0, v2, vcc
	s_lshl_b32 s6, s1, 3
	v_add_lshl_u32 v2, v0, s1, 2
	s_lshl_b32 s7, s1, 2
	s_mov_b64 s[2:3], 0
	v_mov_b32_e32 v0, s0
	v_mov_b32_e32 v1, s0
.LBB4_24:                               ; =>This Inner Loop Header: Depth=1
	global_load_dwordx2 v[6:7], v[4:5], off
	v_cmp_le_i64_e32 vcc, s[10:11], v[2:3]
	v_cmp_lt_u64_e64 s[0:1], s[4:5], v[2:3]
	s_or_b64 s[0:1], vcc, s[0:1]
	s_and_b64 s[0:1], exec, s[0:1]
	s_or_b64 s[2:3], s[0:1], s[2:3]
	s_waitcnt vmcnt(0)
	v_add_u16_sdwa v8, v6, s22 dst_sel:WORD_1 dst_unused:UNUSED_PAD src0_sel:WORD_1 src1_sel:DWORD
	v_add_u16_sdwa v9, v7, s22 dst_sel:WORD_1 dst_unused:UNUSED_PAD src0_sel:WORD_1 src1_sel:DWORD
	v_add_u16_e32 v7, s22, v7
	v_add_u16_e32 v6, s22, v6
	v_or_b32_e32 v7, v9, v7
	v_or_b32_e32 v6, v8, v6
	global_store_dwordx2 v[4:5], v[6:7], off
	v_add_co_u32_e32 v4, vcc, s6, v4
	v_addc_co_u32_e32 v5, vcc, v5, v0, vcc
	v_add_co_u32_e32 v2, vcc, s7, v2
	v_addc_co_u32_e32 v3, vcc, v3, v1, vcc
	s_andn2_b64 exec, exec, s[2:3]
	s_cbranch_execnz .LBB4_24
.LBB4_25:
	s_endpgm
	.section	.rodata,"a",@progbits
	.p2align	6, 0x0
	.amdhsa_kernel _ZN2at6native12_GLOBAL__N_125multi_tensor_apply_kernelINS1_18TensorListMetadataILi1EEENS1_21BinaryOpScalarFunctorIsLi1ELi1ELi0EEEJSt4plusIsEsEEEvT_T0_DpT1_
		.amdhsa_group_segment_fixed_size 0
		.amdhsa_private_segment_fixed_size 0
		.amdhsa_kernarg_size 3632
		.amdhsa_user_sgpr_count 6
		.amdhsa_user_sgpr_private_segment_buffer 1
		.amdhsa_user_sgpr_dispatch_ptr 0
		.amdhsa_user_sgpr_queue_ptr 0
		.amdhsa_user_sgpr_kernarg_segment_ptr 1
		.amdhsa_user_sgpr_dispatch_id 0
		.amdhsa_user_sgpr_flat_scratch_init 0
		.amdhsa_user_sgpr_kernarg_preload_length 0
		.amdhsa_user_sgpr_kernarg_preload_offset 0
		.amdhsa_user_sgpr_private_segment_size 0
		.amdhsa_uses_dynamic_stack 0
		.amdhsa_system_sgpr_private_segment_wavefront_offset 0
		.amdhsa_system_sgpr_workgroup_id_x 1
		.amdhsa_system_sgpr_workgroup_id_y 0
		.amdhsa_system_sgpr_workgroup_id_z 0
		.amdhsa_system_sgpr_workgroup_info 0
		.amdhsa_system_vgpr_workitem_id 0
		.amdhsa_next_free_vgpr 22
		.amdhsa_next_free_sgpr 28
		.amdhsa_accum_offset 24
		.amdhsa_reserve_vcc 1
		.amdhsa_reserve_flat_scratch 0
		.amdhsa_float_round_mode_32 0
		.amdhsa_float_round_mode_16_64 0
		.amdhsa_float_denorm_mode_32 3
		.amdhsa_float_denorm_mode_16_64 3
		.amdhsa_dx10_clamp 1
		.amdhsa_ieee_mode 1
		.amdhsa_fp16_overflow 0
		.amdhsa_tg_split 0
		.amdhsa_exception_fp_ieee_invalid_op 0
		.amdhsa_exception_fp_denorm_src 0
		.amdhsa_exception_fp_ieee_div_zero 0
		.amdhsa_exception_fp_ieee_overflow 0
		.amdhsa_exception_fp_ieee_underflow 0
		.amdhsa_exception_fp_ieee_inexact 0
		.amdhsa_exception_int_div_zero 0
	.end_amdhsa_kernel
	.section	.text._ZN2at6native12_GLOBAL__N_125multi_tensor_apply_kernelINS1_18TensorListMetadataILi1EEENS1_21BinaryOpScalarFunctorIsLi1ELi1ELi0EEEJSt4plusIsEsEEEvT_T0_DpT1_,"axG",@progbits,_ZN2at6native12_GLOBAL__N_125multi_tensor_apply_kernelINS1_18TensorListMetadataILi1EEENS1_21BinaryOpScalarFunctorIsLi1ELi1ELi0EEEJSt4plusIsEsEEEvT_T0_DpT1_,comdat
.Lfunc_end4:
	.size	_ZN2at6native12_GLOBAL__N_125multi_tensor_apply_kernelINS1_18TensorListMetadataILi1EEENS1_21BinaryOpScalarFunctorIsLi1ELi1ELi0EEEJSt4plusIsEsEEEvT_T0_DpT1_, .Lfunc_end4-_ZN2at6native12_GLOBAL__N_125multi_tensor_apply_kernelINS1_18TensorListMetadataILi1EEENS1_21BinaryOpScalarFunctorIsLi1ELi1ELi0EEEJSt4plusIsEsEEEvT_T0_DpT1_
                                        ; -- End function
	.section	.AMDGPU.csdata,"",@progbits
; Kernel info:
; codeLenInByte = 1028
; NumSgprs: 32
; NumVgprs: 22
; NumAgprs: 0
; TotalNumVgprs: 22
; ScratchSize: 0
; MemoryBound: 0
; FloatMode: 240
; IeeeMode: 1
; LDSByteSize: 0 bytes/workgroup (compile time only)
; SGPRBlocks: 3
; VGPRBlocks: 2
; NumSGPRsForWavesPerEU: 32
; NumVGPRsForWavesPerEU: 22
; AccumOffset: 24
; Occupancy: 8
; WaveLimiterHint : 0
; COMPUTE_PGM_RSRC2:SCRATCH_EN: 0
; COMPUTE_PGM_RSRC2:USER_SGPR: 6
; COMPUTE_PGM_RSRC2:TRAP_HANDLER: 0
; COMPUTE_PGM_RSRC2:TGID_X_EN: 1
; COMPUTE_PGM_RSRC2:TGID_Y_EN: 0
; COMPUTE_PGM_RSRC2:TGID_Z_EN: 0
; COMPUTE_PGM_RSRC2:TIDIG_COMP_CNT: 0
; COMPUTE_PGM_RSRC3_GFX90A:ACCUM_OFFSET: 5
; COMPUTE_PGM_RSRC3_GFX90A:TG_SPLIT: 0
	.section	.text._ZN2at6native12_GLOBAL__N_125multi_tensor_apply_kernelINS1_18TensorListMetadataILi1EEENS1_21BinaryOpScalarFunctorIdLi1ELi1ELi0EEEJSt4plusIdEdEEEvT_T0_DpT1_,"axG",@progbits,_ZN2at6native12_GLOBAL__N_125multi_tensor_apply_kernelINS1_18TensorListMetadataILi1EEENS1_21BinaryOpScalarFunctorIdLi1ELi1ELi0EEEJSt4plusIdEdEEEvT_T0_DpT1_,comdat
	.globl	_ZN2at6native12_GLOBAL__N_125multi_tensor_apply_kernelINS1_18TensorListMetadataILi1EEENS1_21BinaryOpScalarFunctorIdLi1ELi1ELi0EEEJSt4plusIdEdEEEvT_T0_DpT1_ ; -- Begin function _ZN2at6native12_GLOBAL__N_125multi_tensor_apply_kernelINS1_18TensorListMetadataILi1EEENS1_21BinaryOpScalarFunctorIdLi1ELi1ELi0EEEJSt4plusIdEdEEEvT_T0_DpT1_
	.p2align	8
	.type	_ZN2at6native12_GLOBAL__N_125multi_tensor_apply_kernelINS1_18TensorListMetadataILi1EEENS1_21BinaryOpScalarFunctorIdLi1ELi1ELi0EEEJSt4plusIdEdEEEvT_T0_DpT1_,@function
_ZN2at6native12_GLOBAL__N_125multi_tensor_apply_kernelINS1_18TensorListMetadataILi1EEENS1_21BinaryOpScalarFunctorIdLi1ELi1ELi0EEEJSt4plusIdEdEEEvT_T0_DpT1_: ; @_ZN2at6native12_GLOBAL__N_125multi_tensor_apply_kernelINS1_18TensorListMetadataILi1EEENS1_21BinaryOpScalarFunctorIdLi1ELi1ELi0EEEJSt4plusIdEdEEEvT_T0_DpT1_
; %bb.0:
	v_mov_b32_e32 v1, s6
	global_load_ubyte v1, v1, s[4:5] offset:1760
	s_add_u32 s0, s4, s6
	s_mul_hi_u32 s1, s6, 3
	s_mul_i32 s6, s6, 3
	s_addc_u32 s2, s5, 0
	s_add_u32 s0, s0, s6
	s_addc_u32 s1, s2, s1
	s_load_dword s0, s[0:1], 0x820
	s_mov_b32 s7, 0
	s_waitcnt vmcnt(0)
	v_readfirstlane_b32 s1, v1
	s_lshl_b32 s1, s1, 3
	s_load_dwordx2 s[10:11], s[4:5], 0xd30
	s_load_dwordx2 s[2:3], s[4:5], s1 offset:0x370
	s_load_dwordx2 s[14:15], s[4:5], s1 offset:0x0
	s_waitcnt lgkmcnt(0)
	s_ashr_i32 s1, s0, 31
	s_lshl_b64 s[16:17], s[0:1], 19
	s_lshl_b64 s[0:1], s[0:1], 16
	s_and_b32 s6, s14, 31
	s_sub_u32 s12, s2, s0
	s_subb_u32 s13, s3, s1
	s_and_b32 s0, s2, 3
	s_mov_b32 s1, s7
	s_or_b64 s[0:1], s[6:7], s[0:1]
	s_cmp_eq_u64 s[0:1], 0
	s_cbranch_scc1 .LBB5_21
; %bb.1:
	v_cmp_lt_i64_e64 s[0:1], s[12:13], 1
	s_and_b64 vcc, exec, s[0:1]
	s_cbranch_vccnz .LBB5_20
; %bb.2:
	s_load_dword s0, s[4:5], 0xd44
	v_mov_b32_e32 v2, 0x10000
	v_mov_b32_e32 v3, 0
	v_cmp_lt_u64_e32 vcc, s[12:13], v[2:3]
	v_lshlrev_b32_e32 v1, 3, v0
	s_waitcnt lgkmcnt(0)
	s_and_b32 s3, s0, 0xffff
	s_and_b64 s[0:1], vcc, exec
	s_cselect_b32 s19, s13, 0
	s_cselect_b32 s18, s12, 0x10000
	s_lshl_b32 s6, s3, 1
	s_lshl_b32 s24, s3, 2
	s_add_u32 s7, s14, s16
	s_addc_u32 s8, s15, s17
	v_mov_b32_e32 v5, s8
	v_add_co_u32_e32 v4, vcc, s7, v1
	s_mul_i32 s0, s3, 3
	v_addc_co_u32_e32 v5, vcc, 0, v5, vcc
	v_add_co_u32_e32 v1, vcc, s0, v0
	v_addc_co_u32_e64 v18, s[0:1], 0, 0, vcc
	v_add_co_u32_e32 v19, vcc, s6, v0
	v_addc_co_u32_e64 v20, s[0:1], 0, 0, vcc
	v_add_co_u32_e32 v21, vcc, s3, v0
	v_lshlrev_b32_e32 v6, 3, v21
	s_mov_b32 s2, 0
	v_addc_co_u32_e64 v22, s[0:1], 0, 0, vcc
	v_mov_b32_e32 v7, s8
	v_add_co_u32_e32 v6, vcc, s7, v6
	s_lshl_b32 s25, s3, 5
	s_mul_i32 s26, s3, 24
	s_mov_b32 s27, s2
	s_lshl_b32 s28, s3, 4
	s_mov_b32 s29, s2
	v_addc_co_u32_e32 v7, vcc, 0, v7, vcc
	s_mov_b64 s[20:21], 0
	v_pk_mov_b32 v[8:9], s[12:13], s[12:13] op_sel:[0,1]
	v_mov_b32_e32 v23, s2
	s_branch .LBB5_4
.LBB5_3:                                ;   in Loop: Header=BB5_4 Depth=1
	s_or_b64 exec, exec, s[0:1]
	s_add_u32 s20, s20, s24
	s_addc_u32 s21, s21, 0
	v_cmp_lt_i64_e32 vcc, s[20:21], v[8:9]
	v_cmp_lt_u64_e64 s[0:1], s[20:21], v[2:3]
	s_and_b64 s[0:1], vcc, s[0:1]
	v_add_co_u32_e32 v4, vcc, s25, v4
	v_addc_co_u32_e32 v5, vcc, v5, v23, vcc
	v_add_co_u32_e32 v6, vcc, s25, v6
	v_addc_co_u32_e32 v7, vcc, v7, v23, vcc
	s_and_b64 vcc, exec, s[0:1]
	s_cbranch_vccz .LBB5_20
.LBB5_4:                                ; =>This Inner Loop Header: Depth=1
	s_waitcnt vmcnt(0)
	v_mov_b32_e32 v11, s21
	v_add_co_u32_e32 v10, vcc, s20, v0
	v_addc_co_u32_e32 v11, vcc, 0, v11, vcc
	v_cmp_gt_u64_e32 vcc, s[18:19], v[10:11]
	v_pk_mov_b32 v[10:11], 0, 0
	v_pk_mov_b32 v[12:13], v[10:11], v[10:11] op_sel:[0,1]
	s_and_saveexec_b64 s[0:1], vcc
	s_cbranch_execz .LBB5_6
; %bb.5:                                ;   in Loop: Header=BB5_4 Depth=1
	global_load_dwordx2 v[12:13], v[4:5], off
.LBB5_6:                                ;   in Loop: Header=BB5_4 Depth=1
	s_or_b64 exec, exec, s[0:1]
	v_mov_b32_e32 v15, s21
	v_add_co_u32_e64 v14, s[0:1], s20, v21
	v_addc_co_u32_e64 v15, s[0:1], v22, v15, s[0:1]
	v_cmp_gt_u64_e64 s[0:1], s[18:19], v[14:15]
	s_and_saveexec_b64 s[2:3], s[0:1]
	s_cbranch_execz .LBB5_8
; %bb.7:                                ;   in Loop: Header=BB5_4 Depth=1
	global_load_dwordx2 v[10:11], v[6:7], off
.LBB5_8:                                ;   in Loop: Header=BB5_4 Depth=1
	s_or_b64 exec, exec, s[2:3]
	v_mov_b32_e32 v15, s21
	v_add_co_u32_e64 v14, s[2:3], s20, v19
	v_addc_co_u32_e64 v15, s[2:3], v20, v15, s[2:3]
	v_cmp_gt_u64_e64 s[2:3], s[18:19], v[14:15]
	v_pk_mov_b32 v[14:15], 0, 0
	v_pk_mov_b32 v[16:17], v[14:15], v[14:15] op_sel:[0,1]
	s_and_saveexec_b64 s[8:9], s[2:3]
	s_cbranch_execz .LBB5_10
; %bb.9:                                ;   in Loop: Header=BB5_4 Depth=1
	v_mov_b32_e32 v17, s29
	v_add_co_u32_e64 v16, s[6:7], s28, v4
	v_addc_co_u32_e64 v17, s[6:7], v5, v17, s[6:7]
	global_load_dwordx2 v[16:17], v[16:17], off
.LBB5_10:                               ;   in Loop: Header=BB5_4 Depth=1
	s_or_b64 exec, exec, s[8:9]
	v_mov_b32_e32 v25, s21
	v_add_co_u32_e64 v24, s[6:7], s20, v1
	v_addc_co_u32_e64 v25, s[6:7], v18, v25, s[6:7]
	v_cmp_gt_u64_e64 s[6:7], s[18:19], v[24:25]
	s_and_saveexec_b64 s[22:23], s[6:7]
	s_cbranch_execnz .LBB5_15
; %bb.11:                               ;   in Loop: Header=BB5_4 Depth=1
	s_or_b64 exec, exec, s[22:23]
	s_and_saveexec_b64 s[8:9], vcc
	s_cbranch_execnz .LBB5_16
.LBB5_12:                               ;   in Loop: Header=BB5_4 Depth=1
	s_or_b64 exec, exec, s[8:9]
	s_and_saveexec_b64 s[8:9], s[0:1]
	s_cbranch_execnz .LBB5_17
.LBB5_13:                               ;   in Loop: Header=BB5_4 Depth=1
	s_or_b64 exec, exec, s[8:9]
	s_and_saveexec_b64 s[0:1], s[2:3]
	s_cbranch_execnz .LBB5_18
.LBB5_14:                               ;   in Loop: Header=BB5_4 Depth=1
	s_or_b64 exec, exec, s[0:1]
	s_and_saveexec_b64 s[0:1], s[6:7]
	s_cbranch_execz .LBB5_3
	s_branch .LBB5_19
.LBB5_15:                               ;   in Loop: Header=BB5_4 Depth=1
	v_mov_b32_e32 v15, s27
	v_add_co_u32_e64 v14, s[8:9], s26, v4
	v_addc_co_u32_e64 v15, s[8:9], v5, v15, s[8:9]
	global_load_dwordx2 v[14:15], v[14:15], off
	s_or_b64 exec, exec, s[22:23]
	s_and_saveexec_b64 s[8:9], vcc
	s_cbranch_execz .LBB5_12
.LBB5_16:                               ;   in Loop: Header=BB5_4 Depth=1
	s_waitcnt vmcnt(0)
	v_add_f64 v[12:13], v[12:13], s[10:11]
	global_store_dwordx2 v[4:5], v[12:13], off
	s_or_b64 exec, exec, s[8:9]
	s_and_saveexec_b64 s[8:9], s[0:1]
	s_cbranch_execz .LBB5_13
.LBB5_17:                               ;   in Loop: Header=BB5_4 Depth=1
	s_waitcnt vmcnt(0)
	v_add_f64 v[10:11], v[10:11], s[10:11]
	global_store_dwordx2 v[6:7], v[10:11], off
	s_or_b64 exec, exec, s[8:9]
	s_and_saveexec_b64 s[0:1], s[2:3]
	s_cbranch_execz .LBB5_14
.LBB5_18:                               ;   in Loop: Header=BB5_4 Depth=1
	s_waitcnt vmcnt(0)
	v_mov_b32_e32 v13, s29
	v_add_co_u32_e32 v12, vcc, s28, v4
	v_add_f64 v[10:11], v[16:17], s[10:11]
	v_addc_co_u32_e32 v13, vcc, v5, v13, vcc
	global_store_dwordx2 v[12:13], v[10:11], off
	s_or_b64 exec, exec, s[0:1]
	s_and_saveexec_b64 s[0:1], s[6:7]
	s_cbranch_execz .LBB5_3
.LBB5_19:                               ;   in Loop: Header=BB5_4 Depth=1
	s_waitcnt vmcnt(0)
	v_mov_b32_e32 v13, s27
	v_add_co_u32_e32 v12, vcc, s26, v4
	v_add_f64 v[10:11], v[14:15], s[10:11]
	v_addc_co_u32_e32 v13, vcc, v5, v13, vcc
	global_store_dwordx2 v[12:13], v[10:11], off
	s_branch .LBB5_3
.LBB5_20:
	s_cbranch_execz .LBB5_22
	s_branch .LBB5_25
.LBB5_21:
.LBB5_22:
	v_mov_b32_e32 v3, 0
	v_lshlrev_b32_e32 v2, 2, v0
	s_mov_b32 s0, 0
	v_cmp_gt_i64_e32 vcc, s[12:13], v[2:3]
	s_and_saveexec_b64 s[2:3], vcc
	s_cbranch_execz .LBB5_25
; %bb.23:
	s_load_dword s1, s[4:5], 0xd44
	v_lshlrev_b32_e32 v1, 5, v0
	s_mov_b64 s[4:5], 0
	s_mov_b64 s[6:7], 0xffff
	v_mov_b32_e32 v5, s0
	s_waitcnt lgkmcnt(0)
	s_and_b32 s1, s1, 0xffff
	s_lshl_b32 s8, s1, 2
	s_add_u32 s2, s14, s16
	s_addc_u32 s3, s15, s17
	v_add_lshl_u32 v2, v0, s1, 2
	v_mov_b32_e32 v0, s3
	v_add_co_u32_e32 v1, vcc, s2, v1
	v_addc_co_u32_e32 v4, vcc, 0, v0, vcc
	v_add_co_u32_e32 v0, vcc, 16, v1
	v_addc_co_u32_e32 v1, vcc, 0, v4, vcc
	s_lshl_b32 s9, s1, 5
	v_mov_b32_e32 v4, s0
.LBB5_24:                               ; =>This Inner Loop Header: Depth=1
	global_load_dwordx4 v[6:9], v[0:1], off offset:-16
	global_load_dwordx4 v[10:13], v[0:1], off
	v_cmp_le_i64_e32 vcc, s[12:13], v[2:3]
	v_cmp_lt_u64_e64 s[0:1], s[6:7], v[2:3]
	s_or_b64 s[0:1], vcc, s[0:1]
	v_add_co_u32_e64 v2, s[2:3], s8, v2
	s_and_b64 s[0:1], exec, s[0:1]
	v_addc_co_u32_e64 v3, s[2:3], v3, v4, s[2:3]
	s_or_b64 s[4:5], s[0:1], s[4:5]
	s_waitcnt vmcnt(1)
	v_add_f64 v[6:7], v[6:7], s[10:11]
	v_add_f64 v[8:9], v[8:9], s[10:11]
	s_waitcnt vmcnt(0)
	v_add_f64 v[10:11], v[10:11], s[10:11]
	v_add_f64 v[12:13], v[12:13], s[10:11]
	global_store_dwordx4 v[0:1], v[6:9], off offset:-16
	global_store_dwordx4 v[0:1], v[10:13], off
	v_add_co_u32_e32 v0, vcc, s9, v0
	v_addc_co_u32_e32 v1, vcc, v1, v5, vcc
	s_andn2_b64 exec, exec, s[4:5]
	s_cbranch_execnz .LBB5_24
.LBB5_25:
	s_endpgm
	.section	.rodata,"a",@progbits
	.p2align	6, 0x0
	.amdhsa_kernel _ZN2at6native12_GLOBAL__N_125multi_tensor_apply_kernelINS1_18TensorListMetadataILi1EEENS1_21BinaryOpScalarFunctorIdLi1ELi1ELi0EEEJSt4plusIdEdEEEvT_T0_DpT1_
		.amdhsa_group_segment_fixed_size 0
		.amdhsa_private_segment_fixed_size 0
		.amdhsa_kernarg_size 3640
		.amdhsa_user_sgpr_count 6
		.amdhsa_user_sgpr_private_segment_buffer 1
		.amdhsa_user_sgpr_dispatch_ptr 0
		.amdhsa_user_sgpr_queue_ptr 0
		.amdhsa_user_sgpr_kernarg_segment_ptr 1
		.amdhsa_user_sgpr_dispatch_id 0
		.amdhsa_user_sgpr_flat_scratch_init 0
		.amdhsa_user_sgpr_kernarg_preload_length 0
		.amdhsa_user_sgpr_kernarg_preload_offset 0
		.amdhsa_user_sgpr_private_segment_size 0
		.amdhsa_uses_dynamic_stack 0
		.amdhsa_system_sgpr_private_segment_wavefront_offset 0
		.amdhsa_system_sgpr_workgroup_id_x 1
		.amdhsa_system_sgpr_workgroup_id_y 0
		.amdhsa_system_sgpr_workgroup_id_z 0
		.amdhsa_system_sgpr_workgroup_info 0
		.amdhsa_system_vgpr_workitem_id 0
		.amdhsa_next_free_vgpr 26
		.amdhsa_next_free_sgpr 30
		.amdhsa_accum_offset 28
		.amdhsa_reserve_vcc 1
		.amdhsa_reserve_flat_scratch 0
		.amdhsa_float_round_mode_32 0
		.amdhsa_float_round_mode_16_64 0
		.amdhsa_float_denorm_mode_32 3
		.amdhsa_float_denorm_mode_16_64 3
		.amdhsa_dx10_clamp 1
		.amdhsa_ieee_mode 1
		.amdhsa_fp16_overflow 0
		.amdhsa_tg_split 0
		.amdhsa_exception_fp_ieee_invalid_op 0
		.amdhsa_exception_fp_denorm_src 0
		.amdhsa_exception_fp_ieee_div_zero 0
		.amdhsa_exception_fp_ieee_overflow 0
		.amdhsa_exception_fp_ieee_underflow 0
		.amdhsa_exception_fp_ieee_inexact 0
		.amdhsa_exception_int_div_zero 0
	.end_amdhsa_kernel
	.section	.text._ZN2at6native12_GLOBAL__N_125multi_tensor_apply_kernelINS1_18TensorListMetadataILi1EEENS1_21BinaryOpScalarFunctorIdLi1ELi1ELi0EEEJSt4plusIdEdEEEvT_T0_DpT1_,"axG",@progbits,_ZN2at6native12_GLOBAL__N_125multi_tensor_apply_kernelINS1_18TensorListMetadataILi1EEENS1_21BinaryOpScalarFunctorIdLi1ELi1ELi0EEEJSt4plusIdEdEEEvT_T0_DpT1_,comdat
.Lfunc_end5:
	.size	_ZN2at6native12_GLOBAL__N_125multi_tensor_apply_kernelINS1_18TensorListMetadataILi1EEENS1_21BinaryOpScalarFunctorIdLi1ELi1ELi0EEEJSt4plusIdEdEEEvT_T0_DpT1_, .Lfunc_end5-_ZN2at6native12_GLOBAL__N_125multi_tensor_apply_kernelINS1_18TensorListMetadataILi1EEENS1_21BinaryOpScalarFunctorIdLi1ELi1ELi0EEEJSt4plusIdEdEEEvT_T0_DpT1_
                                        ; -- End function
	.section	.AMDGPU.csdata,"",@progbits
; Kernel info:
; codeLenInByte = 1096
; NumSgprs: 34
; NumVgprs: 26
; NumAgprs: 0
; TotalNumVgprs: 26
; ScratchSize: 0
; MemoryBound: 0
; FloatMode: 240
; IeeeMode: 1
; LDSByteSize: 0 bytes/workgroup (compile time only)
; SGPRBlocks: 4
; VGPRBlocks: 3
; NumSGPRsForWavesPerEU: 34
; NumVGPRsForWavesPerEU: 26
; AccumOffset: 28
; Occupancy: 8
; WaveLimiterHint : 0
; COMPUTE_PGM_RSRC2:SCRATCH_EN: 0
; COMPUTE_PGM_RSRC2:USER_SGPR: 6
; COMPUTE_PGM_RSRC2:TRAP_HANDLER: 0
; COMPUTE_PGM_RSRC2:TGID_X_EN: 1
; COMPUTE_PGM_RSRC2:TGID_Y_EN: 0
; COMPUTE_PGM_RSRC2:TGID_Z_EN: 0
; COMPUTE_PGM_RSRC2:TIDIG_COMP_CNT: 0
; COMPUTE_PGM_RSRC3_GFX90A:ACCUM_OFFSET: 6
; COMPUTE_PGM_RSRC3_GFX90A:TG_SPLIT: 0
	.section	.text._ZN2at6native12_GLOBAL__N_125multi_tensor_apply_kernelINS1_18TensorListMetadataILi1EEENS1_21BinaryOpScalarFunctorIfLi1ELi1ELi0EEEJSt4plusIfEfEEEvT_T0_DpT1_,"axG",@progbits,_ZN2at6native12_GLOBAL__N_125multi_tensor_apply_kernelINS1_18TensorListMetadataILi1EEENS1_21BinaryOpScalarFunctorIfLi1ELi1ELi0EEEJSt4plusIfEfEEEvT_T0_DpT1_,comdat
	.globl	_ZN2at6native12_GLOBAL__N_125multi_tensor_apply_kernelINS1_18TensorListMetadataILi1EEENS1_21BinaryOpScalarFunctorIfLi1ELi1ELi0EEEJSt4plusIfEfEEEvT_T0_DpT1_ ; -- Begin function _ZN2at6native12_GLOBAL__N_125multi_tensor_apply_kernelINS1_18TensorListMetadataILi1EEENS1_21BinaryOpScalarFunctorIfLi1ELi1ELi0EEEJSt4plusIfEfEEEvT_T0_DpT1_
	.p2align	8
	.type	_ZN2at6native12_GLOBAL__N_125multi_tensor_apply_kernelINS1_18TensorListMetadataILi1EEENS1_21BinaryOpScalarFunctorIfLi1ELi1ELi0EEEJSt4plusIfEfEEEvT_T0_DpT1_,@function
_ZN2at6native12_GLOBAL__N_125multi_tensor_apply_kernelINS1_18TensorListMetadataILi1EEENS1_21BinaryOpScalarFunctorIfLi1ELi1ELi0EEEJSt4plusIfEfEEEvT_T0_DpT1_: ; @_ZN2at6native12_GLOBAL__N_125multi_tensor_apply_kernelINS1_18TensorListMetadataILi1EEENS1_21BinaryOpScalarFunctorIfLi1ELi1ELi0EEEJSt4plusIfEfEEEvT_T0_DpT1_
; %bb.0:
	v_mov_b32_e32 v1, s6
	global_load_ubyte v1, v1, s[4:5] offset:1760
	s_add_u32 s0, s4, s6
	s_mul_hi_u32 s1, s6, 3
	s_mul_i32 s6, s6, 3
	s_addc_u32 s2, s5, 0
	s_add_u32 s0, s0, s6
	s_addc_u32 s1, s2, s1
	s_load_dword s0, s[0:1], 0x820
	s_mov_b32 s7, 0
	s_waitcnt vmcnt(0)
	v_readfirstlane_b32 s1, v1
	s_lshl_b32 s1, s1, 3
	s_load_dword s10, s[4:5], 0xd2c
	s_load_dwordx2 s[2:3], s[4:5], s1 offset:0x370
	s_load_dwordx2 s[14:15], s[4:5], s1 offset:0x0
	s_waitcnt lgkmcnt(0)
	s_ashr_i32 s1, s0, 31
	s_lshl_b64 s[16:17], s[0:1], 18
	s_lshl_b64 s[0:1], s[0:1], 16
	s_and_b32 s6, s14, 15
	s_sub_u32 s12, s2, s0
	s_subb_u32 s13, s3, s1
	s_and_b32 s0, s2, 3
	s_mov_b32 s1, s7
	s_or_b64 s[0:1], s[6:7], s[0:1]
	s_cmp_eq_u64 s[0:1], 0
	s_cbranch_scc1 .LBB6_21
; %bb.1:
	v_cmp_lt_i64_e64 s[0:1], s[12:13], 1
	s_and_b64 vcc, exec, s[0:1]
	s_cbranch_vccnz .LBB6_20
; %bb.2:
	s_load_dword s0, s[4:5], 0xd3c
	v_mov_b32_e32 v2, 0x10000
	v_mov_b32_e32 v3, 0
	v_cmp_lt_u64_e32 vcc, s[12:13], v[2:3]
	v_lshlrev_b32_e32 v1, 2, v0
	s_waitcnt lgkmcnt(0)
	s_and_b32 s3, s0, 0xffff
	s_and_b64 s[0:1], vcc, exec
	s_cselect_b32 s19, s13, 0
	s_cselect_b32 s18, s12, 0x10000
	s_lshl_b32 s6, s3, 1
	s_lshl_b32 s11, s3, 2
	s_add_u32 s7, s14, s16
	s_addc_u32 s8, s15, s17
	v_mov_b32_e32 v5, s8
	v_add_co_u32_e32 v4, vcc, s7, v1
	s_mul_i32 s0, s3, 3
	v_addc_co_u32_e32 v5, vcc, 0, v5, vcc
	v_add_co_u32_e32 v1, vcc, s0, v0
	v_addc_co_u32_e64 v10, s[0:1], 0, 0, vcc
	v_add_co_u32_e32 v11, vcc, s6, v0
	v_addc_co_u32_e64 v12, s[0:1], 0, 0, vcc
	v_add_co_u32_e32 v13, vcc, s3, v0
	v_lshlrev_b32_e32 v6, 2, v13
	s_mov_b32 s2, 0
	v_addc_co_u32_e64 v14, s[0:1], 0, 0, vcc
	v_mov_b32_e32 v7, s8
	v_add_co_u32_e32 v6, vcc, s7, v6
	s_lshl_b32 s24, s3, 4
	s_mul_i32 s25, s3, 12
	s_mov_b32 s26, s2
	s_lshl_b32 s27, s3, 3
	s_mov_b32 s28, s2
	v_addc_co_u32_e32 v7, vcc, 0, v7, vcc
	s_mov_b64 s[20:21], 0
	v_pk_mov_b32 v[8:9], s[12:13], s[12:13] op_sel:[0,1]
	v_mov_b32_e32 v15, s2
	s_branch .LBB6_4
.LBB6_3:                                ;   in Loop: Header=BB6_4 Depth=1
	s_or_b64 exec, exec, s[0:1]
	s_add_u32 s20, s20, s11
	s_addc_u32 s21, s21, 0
	v_cmp_lt_i64_e32 vcc, s[20:21], v[8:9]
	v_cmp_lt_u64_e64 s[0:1], s[20:21], v[2:3]
	s_and_b64 s[0:1], vcc, s[0:1]
	v_add_co_u32_e32 v4, vcc, s24, v4
	v_addc_co_u32_e32 v5, vcc, v5, v15, vcc
	v_add_co_u32_e32 v6, vcc, s24, v6
	v_addc_co_u32_e32 v7, vcc, v7, v15, vcc
	s_and_b64 vcc, exec, s[0:1]
	s_cbranch_vccz .LBB6_20
.LBB6_4:                                ; =>This Inner Loop Header: Depth=1
	s_waitcnt vmcnt(0)
	v_mov_b32_e32 v17, s21
	v_add_co_u32_e32 v16, vcc, s20, v0
	v_addc_co_u32_e32 v17, vcc, 0, v17, vcc
	v_cmp_gt_u64_e32 vcc, s[18:19], v[16:17]
	v_mov_b32_e32 v16, 0
	s_and_saveexec_b64 s[0:1], vcc
	s_cbranch_execz .LBB6_6
; %bb.5:                                ;   in Loop: Header=BB6_4 Depth=1
	global_load_dword v16, v[4:5], off
.LBB6_6:                                ;   in Loop: Header=BB6_4 Depth=1
	s_or_b64 exec, exec, s[0:1]
	v_mov_b32_e32 v17, s21
	v_add_co_u32_e64 v18, s[0:1], s20, v13
	v_addc_co_u32_e64 v19, s[0:1], v14, v17, s[0:1]
	v_cmp_gt_u64_e64 s[0:1], s[18:19], v[18:19]
	v_mov_b32_e32 v18, 0
	s_and_saveexec_b64 s[2:3], s[0:1]
	s_cbranch_execz .LBB6_8
; %bb.7:                                ;   in Loop: Header=BB6_4 Depth=1
	global_load_dword v18, v[6:7], off
.LBB6_8:                                ;   in Loop: Header=BB6_4 Depth=1
	s_or_b64 exec, exec, s[2:3]
	v_mov_b32_e32 v17, s21
	v_add_co_u32_e64 v20, s[2:3], s20, v11
	v_addc_co_u32_e64 v21, s[2:3], v12, v17, s[2:3]
	v_cmp_gt_u64_e64 s[2:3], s[18:19], v[20:21]
	v_mov_b32_e32 v17, 0
	v_mov_b32_e32 v19, 0
	s_and_saveexec_b64 s[8:9], s[2:3]
	s_cbranch_execz .LBB6_10
; %bb.9:                                ;   in Loop: Header=BB6_4 Depth=1
	v_mov_b32_e32 v19, s28
	v_add_co_u32_e64 v20, s[6:7], s27, v4
	v_addc_co_u32_e64 v21, s[6:7], v5, v19, s[6:7]
	global_load_dword v19, v[20:21], off
.LBB6_10:                               ;   in Loop: Header=BB6_4 Depth=1
	s_or_b64 exec, exec, s[8:9]
	v_mov_b32_e32 v21, s21
	v_add_co_u32_e64 v20, s[6:7], s20, v1
	v_addc_co_u32_e64 v21, s[6:7], v10, v21, s[6:7]
	v_cmp_gt_u64_e64 s[6:7], s[18:19], v[20:21]
	s_and_saveexec_b64 s[22:23], s[6:7]
	s_cbranch_execnz .LBB6_15
; %bb.11:                               ;   in Loop: Header=BB6_4 Depth=1
	s_or_b64 exec, exec, s[22:23]
	s_and_saveexec_b64 s[8:9], vcc
	s_cbranch_execnz .LBB6_16
.LBB6_12:                               ;   in Loop: Header=BB6_4 Depth=1
	s_or_b64 exec, exec, s[8:9]
	s_and_saveexec_b64 s[8:9], s[0:1]
	s_cbranch_execnz .LBB6_17
.LBB6_13:                               ;   in Loop: Header=BB6_4 Depth=1
	s_or_b64 exec, exec, s[8:9]
	s_and_saveexec_b64 s[0:1], s[2:3]
	s_cbranch_execnz .LBB6_18
.LBB6_14:                               ;   in Loop: Header=BB6_4 Depth=1
	s_or_b64 exec, exec, s[0:1]
	s_and_saveexec_b64 s[0:1], s[6:7]
	s_cbranch_execz .LBB6_3
	s_branch .LBB6_19
.LBB6_15:                               ;   in Loop: Header=BB6_4 Depth=1
	v_mov_b32_e32 v17, s26
	v_add_co_u32_e64 v20, s[8:9], s25, v4
	v_addc_co_u32_e64 v21, s[8:9], v5, v17, s[8:9]
	global_load_dword v17, v[20:21], off
	s_or_b64 exec, exec, s[22:23]
	s_and_saveexec_b64 s[8:9], vcc
	s_cbranch_execz .LBB6_12
.LBB6_16:                               ;   in Loop: Header=BB6_4 Depth=1
	s_waitcnt vmcnt(0)
	v_add_f32_e32 v16, s10, v16
	global_store_dword v[4:5], v16, off
	s_or_b64 exec, exec, s[8:9]
	s_and_saveexec_b64 s[8:9], s[0:1]
	s_cbranch_execz .LBB6_13
.LBB6_17:                               ;   in Loop: Header=BB6_4 Depth=1
	s_waitcnt vmcnt(0)
	v_add_f32_e32 v16, s10, v18
	global_store_dword v[6:7], v16, off
	s_or_b64 exec, exec, s[8:9]
	s_and_saveexec_b64 s[0:1], s[2:3]
	s_cbranch_execz .LBB6_14
.LBB6_18:                               ;   in Loop: Header=BB6_4 Depth=1
	s_waitcnt vmcnt(0)
	v_add_f32_e32 v16, s10, v19
	v_mov_b32_e32 v19, s28
	v_add_co_u32_e32 v18, vcc, s27, v4
	v_addc_co_u32_e32 v19, vcc, v5, v19, vcc
	global_store_dword v[18:19], v16, off
	s_or_b64 exec, exec, s[0:1]
	s_and_saveexec_b64 s[0:1], s[6:7]
	s_cbranch_execz .LBB6_3
.LBB6_19:                               ;   in Loop: Header=BB6_4 Depth=1
	s_waitcnt vmcnt(0)
	v_add_f32_e32 v18, s10, v17
	v_mov_b32_e32 v17, s26
	v_add_co_u32_e32 v16, vcc, s25, v4
	v_addc_co_u32_e32 v17, vcc, v5, v17, vcc
	global_store_dword v[16:17], v18, off
	s_branch .LBB6_3
.LBB6_20:
	s_cbranch_execz .LBB6_22
	s_branch .LBB6_25
.LBB6_21:
.LBB6_22:
	v_mov_b32_e32 v3, 0
	v_lshlrev_b32_e32 v2, 2, v0
	s_mov_b32 s0, 0
	v_cmp_gt_i64_e32 vcc, s[12:13], v[2:3]
	s_and_saveexec_b64 s[2:3], vcc
	s_cbranch_execz .LBB6_25
; %bb.23:
	s_load_dword s1, s[4:5], 0xd3c
	v_lshlrev_b32_e32 v1, 4, v0
	s_mov_b32 s11, s10
	s_mov_b64 s[4:5], 0xffff
	s_waitcnt lgkmcnt(0)
	s_and_b32 s1, s1, 0xffff
	s_add_u32 s2, s14, s16
	s_addc_u32 s3, s15, s17
	v_mov_b32_e32 v2, s3
	v_add_co_u32_e32 v1, vcc, s2, v1
	v_addc_co_u32_e32 v2, vcc, 0, v2, vcc
	v_add_co_u32_e32 v4, vcc, 8, v1
	v_addc_co_u32_e32 v5, vcc, 0, v2, vcc
	s_lshl_b32 s6, s1, 4
	v_add_lshl_u32 v2, v0, s1, 2
	s_lshl_b32 s7, s1, 2
	s_mov_b64 s[2:3], 0
	v_mov_b32_e32 v0, s0
	v_mov_b32_e32 v1, s0
.LBB6_24:                               ; =>This Inner Loop Header: Depth=1
	global_load_dwordx4 v[6:9], v[4:5], off offset:-8
	v_cmp_le_i64_e32 vcc, s[12:13], v[2:3]
	v_cmp_lt_u64_e64 s[0:1], s[4:5], v[2:3]
	s_or_b64 s[0:1], vcc, s[0:1]
	s_and_b64 s[0:1], exec, s[0:1]
	s_or_b64 s[2:3], s[0:1], s[2:3]
	s_waitcnt vmcnt(0)
	v_pk_add_f32 v[6:7], v[6:7], s[10:11]
	v_pk_add_f32 v[8:9], v[8:9], s[10:11]
	global_store_dwordx4 v[4:5], v[6:9], off offset:-8
	v_add_co_u32_e32 v4, vcc, s6, v4
	v_addc_co_u32_e32 v5, vcc, v5, v0, vcc
	v_add_co_u32_e32 v2, vcc, s7, v2
	v_addc_co_u32_e32 v3, vcc, v3, v1, vcc
	s_andn2_b64 exec, exec, s[2:3]
	s_cbranch_execnz .LBB6_24
.LBB6_25:
	s_endpgm
	.section	.rodata,"a",@progbits
	.p2align	6, 0x0
	.amdhsa_kernel _ZN2at6native12_GLOBAL__N_125multi_tensor_apply_kernelINS1_18TensorListMetadataILi1EEENS1_21BinaryOpScalarFunctorIfLi1ELi1ELi0EEEJSt4plusIfEfEEEvT_T0_DpT1_
		.amdhsa_group_segment_fixed_size 0
		.amdhsa_private_segment_fixed_size 0
		.amdhsa_kernarg_size 3632
		.amdhsa_user_sgpr_count 6
		.amdhsa_user_sgpr_private_segment_buffer 1
		.amdhsa_user_sgpr_dispatch_ptr 0
		.amdhsa_user_sgpr_queue_ptr 0
		.amdhsa_user_sgpr_kernarg_segment_ptr 1
		.amdhsa_user_sgpr_dispatch_id 0
		.amdhsa_user_sgpr_flat_scratch_init 0
		.amdhsa_user_sgpr_kernarg_preload_length 0
		.amdhsa_user_sgpr_kernarg_preload_offset 0
		.amdhsa_user_sgpr_private_segment_size 0
		.amdhsa_uses_dynamic_stack 0
		.amdhsa_system_sgpr_private_segment_wavefront_offset 0
		.amdhsa_system_sgpr_workgroup_id_x 1
		.amdhsa_system_sgpr_workgroup_id_y 0
		.amdhsa_system_sgpr_workgroup_id_z 0
		.amdhsa_system_sgpr_workgroup_info 0
		.amdhsa_system_vgpr_workitem_id 0
		.amdhsa_next_free_vgpr 22
		.amdhsa_next_free_sgpr 29
		.amdhsa_accum_offset 24
		.amdhsa_reserve_vcc 1
		.amdhsa_reserve_flat_scratch 0
		.amdhsa_float_round_mode_32 0
		.amdhsa_float_round_mode_16_64 0
		.amdhsa_float_denorm_mode_32 3
		.amdhsa_float_denorm_mode_16_64 3
		.amdhsa_dx10_clamp 1
		.amdhsa_ieee_mode 1
		.amdhsa_fp16_overflow 0
		.amdhsa_tg_split 0
		.amdhsa_exception_fp_ieee_invalid_op 0
		.amdhsa_exception_fp_denorm_src 0
		.amdhsa_exception_fp_ieee_div_zero 0
		.amdhsa_exception_fp_ieee_overflow 0
		.amdhsa_exception_fp_ieee_underflow 0
		.amdhsa_exception_fp_ieee_inexact 0
		.amdhsa_exception_int_div_zero 0
	.end_amdhsa_kernel
	.section	.text._ZN2at6native12_GLOBAL__N_125multi_tensor_apply_kernelINS1_18TensorListMetadataILi1EEENS1_21BinaryOpScalarFunctorIfLi1ELi1ELi0EEEJSt4plusIfEfEEEvT_T0_DpT1_,"axG",@progbits,_ZN2at6native12_GLOBAL__N_125multi_tensor_apply_kernelINS1_18TensorListMetadataILi1EEENS1_21BinaryOpScalarFunctorIfLi1ELi1ELi0EEEJSt4plusIfEfEEEvT_T0_DpT1_,comdat
.Lfunc_end6:
	.size	_ZN2at6native12_GLOBAL__N_125multi_tensor_apply_kernelINS1_18TensorListMetadataILi1EEENS1_21BinaryOpScalarFunctorIfLi1ELi1ELi0EEEJSt4plusIfEfEEEvT_T0_DpT1_, .Lfunc_end6-_ZN2at6native12_GLOBAL__N_125multi_tensor_apply_kernelINS1_18TensorListMetadataILi1EEENS1_21BinaryOpScalarFunctorIfLi1ELi1ELi0EEEJSt4plusIfEfEEEvT_T0_DpT1_
                                        ; -- End function
	.section	.AMDGPU.csdata,"",@progbits
; Kernel info:
; codeLenInByte = 1024
; NumSgprs: 33
; NumVgprs: 22
; NumAgprs: 0
; TotalNumVgprs: 22
; ScratchSize: 0
; MemoryBound: 0
; FloatMode: 240
; IeeeMode: 1
; LDSByteSize: 0 bytes/workgroup (compile time only)
; SGPRBlocks: 4
; VGPRBlocks: 2
; NumSGPRsForWavesPerEU: 33
; NumVGPRsForWavesPerEU: 22
; AccumOffset: 24
; Occupancy: 8
; WaveLimiterHint : 0
; COMPUTE_PGM_RSRC2:SCRATCH_EN: 0
; COMPUTE_PGM_RSRC2:USER_SGPR: 6
; COMPUTE_PGM_RSRC2:TRAP_HANDLER: 0
; COMPUTE_PGM_RSRC2:TGID_X_EN: 1
; COMPUTE_PGM_RSRC2:TGID_Y_EN: 0
; COMPUTE_PGM_RSRC2:TGID_Z_EN: 0
; COMPUTE_PGM_RSRC2:TIDIG_COMP_CNT: 0
; COMPUTE_PGM_RSRC3_GFX90A:ACCUM_OFFSET: 5
; COMPUTE_PGM_RSRC3_GFX90A:TG_SPLIT: 0
	.section	.text._ZN2at6native12_GLOBAL__N_125multi_tensor_apply_kernelINS1_18TensorListMetadataILi1EEENS1_21BinaryOpScalarFunctorIN3c107complexIdEELi1ELi1ELi0EEEJSt4plusIS8_ES8_EEEvT_T0_DpT1_,"axG",@progbits,_ZN2at6native12_GLOBAL__N_125multi_tensor_apply_kernelINS1_18TensorListMetadataILi1EEENS1_21BinaryOpScalarFunctorIN3c107complexIdEELi1ELi1ELi0EEEJSt4plusIS8_ES8_EEEvT_T0_DpT1_,comdat
	.globl	_ZN2at6native12_GLOBAL__N_125multi_tensor_apply_kernelINS1_18TensorListMetadataILi1EEENS1_21BinaryOpScalarFunctorIN3c107complexIdEELi1ELi1ELi0EEEJSt4plusIS8_ES8_EEEvT_T0_DpT1_ ; -- Begin function _ZN2at6native12_GLOBAL__N_125multi_tensor_apply_kernelINS1_18TensorListMetadataILi1EEENS1_21BinaryOpScalarFunctorIN3c107complexIdEELi1ELi1ELi0EEEJSt4plusIS8_ES8_EEEvT_T0_DpT1_
	.p2align	8
	.type	_ZN2at6native12_GLOBAL__N_125multi_tensor_apply_kernelINS1_18TensorListMetadataILi1EEENS1_21BinaryOpScalarFunctorIN3c107complexIdEELi1ELi1ELi0EEEJSt4plusIS8_ES8_EEEvT_T0_DpT1_,@function
_ZN2at6native12_GLOBAL__N_125multi_tensor_apply_kernelINS1_18TensorListMetadataILi1EEENS1_21BinaryOpScalarFunctorIN3c107complexIdEELi1ELi1ELi0EEEJSt4plusIS8_ES8_EEEvT_T0_DpT1_: ; @_ZN2at6native12_GLOBAL__N_125multi_tensor_apply_kernelINS1_18TensorListMetadataILi1EEENS1_21BinaryOpScalarFunctorIN3c107complexIdEELi1ELi1ELi0EEEJSt4plusIS8_ES8_EEEvT_T0_DpT1_
; %bb.0:
	v_mov_b32_e32 v1, s6
	global_load_ubyte v1, v1, s[4:5] offset:1760
	s_add_u32 s0, s4, s6
	s_mul_hi_u32 s1, s6, 3
	s_mul_i32 s6, s6, 3
	s_addc_u32 s2, s5, 0
	s_add_u32 s0, s0, s6
	s_addc_u32 s1, s2, s1
	s_load_dword s0, s[0:1], 0x820
	s_mov_b32 s7, 0
	s_load_dwordx4 s[12:15], s[4:5], 0xd30
	s_waitcnt vmcnt(0)
	v_readfirstlane_b32 s1, v1
	s_lshl_b32 s1, s1, 3
	s_load_dwordx2 s[16:17], s[4:5], s1 offset:0x0
	s_load_dwordx2 s[2:3], s[4:5], s1 offset:0x370
	s_waitcnt lgkmcnt(0)
	s_ashr_i32 s1, s0, 31
	s_lshl_b64 s[18:19], s[0:1], 20
	s_add_u32 s26, s16, s18
	s_addc_u32 s27, s17, s19
	s_and_b32 s6, s26, 63
	s_lshl_b64 s[0:1], s[0:1], 16
	s_sub_u32 s10, s2, s0
	s_subb_u32 s11, s3, s1
	s_and_b32 s0, s2, 3
	s_mov_b32 s1, s7
	s_or_b64 s[0:1], s[6:7], s[0:1]
	s_cmp_eq_u64 s[0:1], 0
	s_cbranch_scc1 .LBB7_21
; %bb.1:
	v_cmp_lt_i64_e64 s[0:1], s[10:11], 1
	s_and_b64 vcc, exec, s[0:1]
	s_cbranch_vccnz .LBB7_20
; %bb.2:
	s_load_dword s0, s[4:5], 0xd4c
	v_mov_b32_e32 v2, 0x10000
	v_mov_b32_e32 v3, 0
	v_cmp_lt_u64_e32 vcc, s[10:11], v[2:3]
	v_mov_b32_e32 v19, 0
	s_waitcnt lgkmcnt(0)
	s_and_b32 s2, s0, 0xffff
	s_and_b64 s[0:1], vcc, exec
	s_mul_i32 s6, s2, 3
	v_lshlrev_b32_e32 v18, 4, v0
	v_add_co_u32_e32 v23, vcc, s2, v0
	v_addc_co_u32_e64 v25, s[0:1], 0, 0, vcc
	v_mad_u64_u32 v[20:21], s[0:1], s2, 48, v[18:19]
	v_add_co_u32_e32 v19, vcc, s6, v0
	v_addc_co_u32_e64 v26, s[0:1], 0, 0, vcc
	s_cselect_b32 s21, s11, 0
	s_cselect_b32 s20, s10, 0x10000
	s_lshl_b32 s0, s2, 5
	s_lshl_b32 s3, s2, 1
	v_add_co_u32_e32 v2, vcc, s0, v18
	v_addc_co_u32_e64 v1, s[0:1], 0, 0, vcc
	v_add_co_u32_e32 v27, vcc, s3, v0
	s_lshl_b32 s28, s2, 2
	s_lshl_b32 s29, s2, 6
	v_or_b32_e32 v20, 8, v20
	v_lshlrev_b32_e32 v22, 4, v23
	v_or_b32_e32 v24, 8, v2
	v_addc_co_u32_e64 v28, s[0:1], 0, 0, vcc
	s_mov_b64 s[22:23], 0
	s_branch .LBB7_4
.LBB7_3:                                ;   in Loop: Header=BB7_4 Depth=1
	s_or_b64 exec, exec, s[0:1]
	s_add_u32 s22, s22, s28
	s_addc_u32 s23, s23, 0
	s_waitcnt vmcnt(0)
	v_pk_mov_b32 v[2:3], s[10:11], s[10:11] op_sel:[0,1]
	v_cmp_lt_i64_e32 vcc, s[22:23], v[2:3]
	v_mov_b32_e32 v2, 0x10000
	v_mov_b32_e32 v3, 0
	v_cmp_lt_u64_e64 s[0:1], s[22:23], v[2:3]
	s_and_b64 s[0:1], vcc, s[0:1]
	s_add_u32 s26, s26, s29
	s_addc_u32 s27, s27, 0
	s_and_b64 vcc, exec, s[0:1]
	s_cbranch_vccz .LBB7_20
.LBB7_4:                                ; =>This Inner Loop Header: Depth=1
	v_mov_b32_e32 v3, s23
	v_add_co_u32_e32 v2, vcc, s22, v0
	v_addc_co_u32_e32 v3, vcc, 0, v3, vcc
	v_pk_mov_b32 v[4:5], 0, 0
	v_cmp_gt_u64_e32 vcc, s[20:21], v[2:3]
	v_pk_mov_b32 v[8:9], v[4:5], v[4:5] op_sel:[0,1]
	v_pk_mov_b32 v[6:7], v[4:5], v[4:5] op_sel:[0,1]
	s_and_saveexec_b64 s[2:3], vcc
	s_cbranch_execz .LBB7_6
; %bb.5:                                ;   in Loop: Header=BB7_4 Depth=1
	v_mov_b32_e32 v3, s27
	v_add_co_u32_e64 v2, s[0:1], s26, v18
	v_addc_co_u32_e64 v3, s[0:1], 0, v3, s[0:1]
	global_load_dwordx4 v[6:9], v[2:3], off
.LBB7_6:                                ;   in Loop: Header=BB7_4 Depth=1
	s_or_b64 exec, exec, s[2:3]
	v_mov_b32_e32 v3, s23
	v_add_co_u32_e64 v2, s[0:1], s22, v23
	v_addc_co_u32_e64 v3, s[0:1], v25, v3, s[0:1]
	v_cmp_gt_u64_e64 s[0:1], s[20:21], v[2:3]
	v_pk_mov_b32 v[2:3], v[4:5], v[4:5] op_sel:[0,1]
	s_and_saveexec_b64 s[6:7], s[0:1]
	s_cbranch_execz .LBB7_8
; %bb.7:                                ;   in Loop: Header=BB7_4 Depth=1
	v_mov_b32_e32 v3, s27
	v_add_co_u32_e64 v2, s[2:3], s26, v22
	v_addc_co_u32_e64 v3, s[2:3], 0, v3, s[2:3]
	global_load_dwordx4 v[2:5], v[2:3], off
.LBB7_8:                                ;   in Loop: Header=BB7_4 Depth=1
	s_or_b64 exec, exec, s[6:7]
	v_mov_b32_e32 v11, s23
	v_add_co_u32_e64 v10, s[2:3], s22, v27
	v_addc_co_u32_e64 v11, s[2:3], v28, v11, s[2:3]
	v_pk_mov_b32 v[12:13], 0, 0
	v_cmp_gt_u64_e64 s[2:3], s[20:21], v[10:11]
	v_pk_mov_b32 v[16:17], v[12:13], v[12:13] op_sel:[0,1]
	v_pk_mov_b32 v[14:15], v[12:13], v[12:13] op_sel:[0,1]
	s_and_saveexec_b64 s[8:9], s[2:3]
	s_cbranch_execz .LBB7_10
; %bb.9:                                ;   in Loop: Header=BB7_4 Depth=1
	v_mov_b32_e32 v11, s27
	v_add_co_u32_e64 v10, s[6:7], s26, v24
	v_addc_co_u32_e64 v11, s[6:7], v11, v1, s[6:7]
	global_load_dwordx4 v[14:17], v[10:11], off offset:-8
.LBB7_10:                               ;   in Loop: Header=BB7_4 Depth=1
	s_or_b64 exec, exec, s[8:9]
	v_mov_b32_e32 v11, s23
	v_add_co_u32_e64 v10, s[6:7], s22, v19
	v_addc_co_u32_e64 v11, s[6:7], v26, v11, s[6:7]
	v_cmp_gt_u64_e64 s[6:7], s[20:21], v[10:11]
	v_pk_mov_b32 v[10:11], v[12:13], v[12:13] op_sel:[0,1]
	s_and_saveexec_b64 s[24:25], s[6:7]
	s_cbranch_execnz .LBB7_15
; %bb.11:                               ;   in Loop: Header=BB7_4 Depth=1
	s_or_b64 exec, exec, s[24:25]
	s_and_saveexec_b64 s[8:9], vcc
	s_cbranch_execnz .LBB7_16
.LBB7_12:                               ;   in Loop: Header=BB7_4 Depth=1
	s_or_b64 exec, exec, s[8:9]
	s_and_saveexec_b64 s[8:9], s[0:1]
	s_cbranch_execnz .LBB7_17
.LBB7_13:                               ;   in Loop: Header=BB7_4 Depth=1
	s_or_b64 exec, exec, s[8:9]
	s_and_saveexec_b64 s[0:1], s[2:3]
	s_cbranch_execnz .LBB7_18
.LBB7_14:                               ;   in Loop: Header=BB7_4 Depth=1
	s_or_b64 exec, exec, s[0:1]
	s_and_saveexec_b64 s[0:1], s[6:7]
	s_cbranch_execz .LBB7_3
	s_branch .LBB7_19
.LBB7_15:                               ;   in Loop: Header=BB7_4 Depth=1
	v_mov_b32_e32 v11, s27
	v_add_co_u32_e64 v10, s[8:9], s26, v20
	v_addc_co_u32_e64 v11, s[8:9], v11, v21, s[8:9]
	global_load_dwordx4 v[10:13], v[10:11], off offset:-8
	s_or_b64 exec, exec, s[24:25]
	s_and_saveexec_b64 s[8:9], vcc
	s_cbranch_execz .LBB7_12
.LBB7_16:                               ;   in Loop: Header=BB7_4 Depth=1
	v_mov_b32_e32 v29, s27
	v_add_co_u32_e32 v30, vcc, s26, v18
	v_addc_co_u32_e32 v31, vcc, 0, v29, vcc
	s_waitcnt vmcnt(0)
	v_add_f64 v[6:7], s[12:13], v[6:7]
	v_add_f64 v[8:9], s[14:15], v[8:9]
	global_store_dwordx4 v[30:31], v[6:9], off
	s_or_b64 exec, exec, s[8:9]
	s_and_saveexec_b64 s[8:9], s[0:1]
	s_cbranch_execz .LBB7_13
.LBB7_17:                               ;   in Loop: Header=BB7_4 Depth=1
	s_waitcnt vmcnt(0)
	v_mov_b32_e32 v7, s27
	v_add_co_u32_e32 v6, vcc, s26, v22
	v_add_f64 v[2:3], s[12:13], v[2:3]
	v_add_f64 v[4:5], s[14:15], v[4:5]
	v_addc_co_u32_e32 v7, vcc, 0, v7, vcc
	global_store_dwordx4 v[6:7], v[2:5], off
	s_or_b64 exec, exec, s[8:9]
	s_and_saveexec_b64 s[0:1], s[2:3]
	s_cbranch_execz .LBB7_14
.LBB7_18:                               ;   in Loop: Header=BB7_4 Depth=1
	s_waitcnt vmcnt(0)
	v_mov_b32_e32 v7, s27
	v_add_co_u32_e32 v6, vcc, s26, v24
	v_add_f64 v[2:3], s[12:13], v[14:15]
	v_add_f64 v[4:5], s[14:15], v[16:17]
	v_addc_co_u32_e32 v7, vcc, v7, v1, vcc
	global_store_dwordx4 v[6:7], v[2:5], off offset:-8
	s_or_b64 exec, exec, s[0:1]
	s_and_saveexec_b64 s[0:1], s[6:7]
	s_cbranch_execz .LBB7_3
.LBB7_19:                               ;   in Loop: Header=BB7_4 Depth=1
	s_waitcnt vmcnt(0)
	v_mov_b32_e32 v7, s27
	v_add_co_u32_e32 v6, vcc, s26, v20
	v_add_f64 v[2:3], s[12:13], v[10:11]
	v_add_f64 v[4:5], s[14:15], v[12:13]
	v_addc_co_u32_e32 v7, vcc, v7, v21, vcc
	global_store_dwordx4 v[6:7], v[2:5], off offset:-8
	s_branch .LBB7_3
.LBB7_20:
	s_cbranch_execz .LBB7_22
	s_branch .LBB7_25
.LBB7_21:
.LBB7_22:
	v_mov_b32_e32 v3, 0
	v_lshlrev_b32_e32 v2, 2, v0
	s_mov_b32 s0, 0
	v_cmp_gt_i64_e32 vcc, s[10:11], v[2:3]
	s_and_saveexec_b64 s[2:3], vcc
	s_cbranch_execz .LBB7_25
; %bb.23:
	s_load_dword s1, s[4:5], 0xd4c
	v_lshlrev_b32_e32 v1, 6, v0
	s_mov_b64 s[4:5], 0
	s_mov_b64 s[6:7], 0xffff
	v_mov_b32_e32 v5, s0
	s_waitcnt lgkmcnt(0)
	s_and_b32 s1, s1, 0xffff
	s_lshl_b32 s8, s1, 2
	s_add_u32 s2, s16, s18
	s_addc_u32 s3, s17, s19
	v_add_lshl_u32 v2, v0, s1, 2
	v_mov_b32_e32 v4, s3
	v_add_co_u32_e32 v0, vcc, s2, v1
	v_addc_co_u32_e32 v1, vcc, 0, v4, vcc
	s_lshl_b32 s9, s1, 6
	v_mov_b32_e32 v4, s0
.LBB7_24:                               ; =>This Inner Loop Header: Depth=1
	global_load_dwordx4 v[6:9], v[0:1], off
	global_load_dwordx4 v[10:13], v[0:1], off offset:16
	global_load_dwordx4 v[14:17], v[0:1], off offset:32
	;; [unrolled: 1-line block ×3, first 2 shown]
	v_cmp_le_i64_e32 vcc, s[10:11], v[2:3]
	v_cmp_lt_u64_e64 s[0:1], s[6:7], v[2:3]
	s_or_b64 s[0:1], vcc, s[0:1]
	v_add_co_u32_e64 v2, s[2:3], s8, v2
	s_and_b64 s[0:1], exec, s[0:1]
	v_addc_co_u32_e64 v3, s[2:3], v3, v4, s[2:3]
	s_or_b64 s[4:5], s[0:1], s[4:5]
	s_waitcnt vmcnt(3)
	v_add_f64 v[6:7], s[12:13], v[6:7]
	v_add_f64 v[8:9], s[14:15], v[8:9]
	s_waitcnt vmcnt(2)
	v_add_f64 v[10:11], s[12:13], v[10:11]
	v_add_f64 v[12:13], s[14:15], v[12:13]
	;; [unrolled: 3-line block ×4, first 2 shown]
	global_store_dwordx4 v[0:1], v[6:9], off
	global_store_dwordx4 v[0:1], v[10:13], off offset:16
	global_store_dwordx4 v[0:1], v[14:17], off offset:32
	;; [unrolled: 1-line block ×3, first 2 shown]
	v_add_co_u32_e32 v0, vcc, s9, v0
	v_addc_co_u32_e32 v1, vcc, v1, v5, vcc
	s_andn2_b64 exec, exec, s[4:5]
	s_cbranch_execnz .LBB7_24
.LBB7_25:
	s_endpgm
	.section	.rodata,"a",@progbits
	.p2align	6, 0x0
	.amdhsa_kernel _ZN2at6native12_GLOBAL__N_125multi_tensor_apply_kernelINS1_18TensorListMetadataILi1EEENS1_21BinaryOpScalarFunctorIN3c107complexIdEELi1ELi1ELi0EEEJSt4plusIS8_ES8_EEEvT_T0_DpT1_
		.amdhsa_group_segment_fixed_size 0
		.amdhsa_private_segment_fixed_size 0
		.amdhsa_kernarg_size 3648
		.amdhsa_user_sgpr_count 6
		.amdhsa_user_sgpr_private_segment_buffer 1
		.amdhsa_user_sgpr_dispatch_ptr 0
		.amdhsa_user_sgpr_queue_ptr 0
		.amdhsa_user_sgpr_kernarg_segment_ptr 1
		.amdhsa_user_sgpr_dispatch_id 0
		.amdhsa_user_sgpr_flat_scratch_init 0
		.amdhsa_user_sgpr_kernarg_preload_length 0
		.amdhsa_user_sgpr_kernarg_preload_offset 0
		.amdhsa_user_sgpr_private_segment_size 0
		.amdhsa_uses_dynamic_stack 0
		.amdhsa_system_sgpr_private_segment_wavefront_offset 0
		.amdhsa_system_sgpr_workgroup_id_x 1
		.amdhsa_system_sgpr_workgroup_id_y 0
		.amdhsa_system_sgpr_workgroup_id_z 0
		.amdhsa_system_sgpr_workgroup_info 0
		.amdhsa_system_vgpr_workitem_id 0
		.amdhsa_next_free_vgpr 32
		.amdhsa_next_free_sgpr 30
		.amdhsa_accum_offset 32
		.amdhsa_reserve_vcc 1
		.amdhsa_reserve_flat_scratch 0
		.amdhsa_float_round_mode_32 0
		.amdhsa_float_round_mode_16_64 0
		.amdhsa_float_denorm_mode_32 3
		.amdhsa_float_denorm_mode_16_64 3
		.amdhsa_dx10_clamp 1
		.amdhsa_ieee_mode 1
		.amdhsa_fp16_overflow 0
		.amdhsa_tg_split 0
		.amdhsa_exception_fp_ieee_invalid_op 0
		.amdhsa_exception_fp_denorm_src 0
		.amdhsa_exception_fp_ieee_div_zero 0
		.amdhsa_exception_fp_ieee_overflow 0
		.amdhsa_exception_fp_ieee_underflow 0
		.amdhsa_exception_fp_ieee_inexact 0
		.amdhsa_exception_int_div_zero 0
	.end_amdhsa_kernel
	.section	.text._ZN2at6native12_GLOBAL__N_125multi_tensor_apply_kernelINS1_18TensorListMetadataILi1EEENS1_21BinaryOpScalarFunctorIN3c107complexIdEELi1ELi1ELi0EEEJSt4plusIS8_ES8_EEEvT_T0_DpT1_,"axG",@progbits,_ZN2at6native12_GLOBAL__N_125multi_tensor_apply_kernelINS1_18TensorListMetadataILi1EEENS1_21BinaryOpScalarFunctorIN3c107complexIdEELi1ELi1ELi0EEEJSt4plusIS8_ES8_EEEvT_T0_DpT1_,comdat
.Lfunc_end7:
	.size	_ZN2at6native12_GLOBAL__N_125multi_tensor_apply_kernelINS1_18TensorListMetadataILi1EEENS1_21BinaryOpScalarFunctorIN3c107complexIdEELi1ELi1ELi0EEEJSt4plusIS8_ES8_EEEvT_T0_DpT1_, .Lfunc_end7-_ZN2at6native12_GLOBAL__N_125multi_tensor_apply_kernelINS1_18TensorListMetadataILi1EEENS1_21BinaryOpScalarFunctorIN3c107complexIdEELi1ELi1ELi0EEEJSt4plusIS8_ES8_EEEvT_T0_DpT1_
                                        ; -- End function
	.section	.AMDGPU.csdata,"",@progbits
; Kernel info:
; codeLenInByte = 1280
; NumSgprs: 34
; NumVgprs: 32
; NumAgprs: 0
; TotalNumVgprs: 32
; ScratchSize: 0
; MemoryBound: 1
; FloatMode: 240
; IeeeMode: 1
; LDSByteSize: 0 bytes/workgroup (compile time only)
; SGPRBlocks: 4
; VGPRBlocks: 3
; NumSGPRsForWavesPerEU: 34
; NumVGPRsForWavesPerEU: 32
; AccumOffset: 32
; Occupancy: 8
; WaveLimiterHint : 0
; COMPUTE_PGM_RSRC2:SCRATCH_EN: 0
; COMPUTE_PGM_RSRC2:USER_SGPR: 6
; COMPUTE_PGM_RSRC2:TRAP_HANDLER: 0
; COMPUTE_PGM_RSRC2:TGID_X_EN: 1
; COMPUTE_PGM_RSRC2:TGID_Y_EN: 0
; COMPUTE_PGM_RSRC2:TGID_Z_EN: 0
; COMPUTE_PGM_RSRC2:TIDIG_COMP_CNT: 0
; COMPUTE_PGM_RSRC3_GFX90A:ACCUM_OFFSET: 7
; COMPUTE_PGM_RSRC3_GFX90A:TG_SPLIT: 0
	.section	.text._ZN2at6native12_GLOBAL__N_125multi_tensor_apply_kernelINS1_18TensorListMetadataILi1EEENS1_21BinaryOpScalarFunctorIN3c107complexIfEELi1ELi1ELi0EEEJSt4plusIS8_ES8_EEEvT_T0_DpT1_,"axG",@progbits,_ZN2at6native12_GLOBAL__N_125multi_tensor_apply_kernelINS1_18TensorListMetadataILi1EEENS1_21BinaryOpScalarFunctorIN3c107complexIfEELi1ELi1ELi0EEEJSt4plusIS8_ES8_EEEvT_T0_DpT1_,comdat
	.globl	_ZN2at6native12_GLOBAL__N_125multi_tensor_apply_kernelINS1_18TensorListMetadataILi1EEENS1_21BinaryOpScalarFunctorIN3c107complexIfEELi1ELi1ELi0EEEJSt4plusIS8_ES8_EEEvT_T0_DpT1_ ; -- Begin function _ZN2at6native12_GLOBAL__N_125multi_tensor_apply_kernelINS1_18TensorListMetadataILi1EEENS1_21BinaryOpScalarFunctorIN3c107complexIfEELi1ELi1ELi0EEEJSt4plusIS8_ES8_EEEvT_T0_DpT1_
	.p2align	8
	.type	_ZN2at6native12_GLOBAL__N_125multi_tensor_apply_kernelINS1_18TensorListMetadataILi1EEENS1_21BinaryOpScalarFunctorIN3c107complexIfEELi1ELi1ELi0EEEJSt4plusIS8_ES8_EEEvT_T0_DpT1_,@function
_ZN2at6native12_GLOBAL__N_125multi_tensor_apply_kernelINS1_18TensorListMetadataILi1EEENS1_21BinaryOpScalarFunctorIN3c107complexIfEELi1ELi1ELi0EEEJSt4plusIS8_ES8_EEEvT_T0_DpT1_: ; @_ZN2at6native12_GLOBAL__N_125multi_tensor_apply_kernelINS1_18TensorListMetadataILi1EEENS1_21BinaryOpScalarFunctorIN3c107complexIfEELi1ELi1ELi0EEEJSt4plusIS8_ES8_EEEvT_T0_DpT1_
; %bb.0:
	v_mov_b32_e32 v1, s8
	global_load_ubyte v1, v1, s[6:7] offset:1760
	s_load_dwordx2 s[2:3], s[4:5], 0x4
	s_mul_i32 s4, s8, 3
	s_mul_hi_u32 s0, s8, 3
	v_and_b32_e32 v2, 0x3ff, v0
	v_bfe_u32 v3, v0, 10, 10
	s_waitcnt lgkmcnt(0)
	s_lshr_b32 s2, s2, 16
	s_mul_i32 s10, s2, s3
	s_add_u32 s2, s6, s8
	s_addc_u32 s5, s7, 0
	s_add_u32 s4, s2, s4
	s_addc_u32 s5, s5, s0
	s_load_dword s2, s[4:5], 0x820
	s_mov_b32 s1, 0
	v_bfe_u32 v0, v0, 20, 10
	s_waitcnt vmcnt(0)
	v_readfirstlane_b32 s0, v1
	s_lshl_b32 s0, s0, 3
	s_load_dwordx2 s[8:9], s[6:7], 0xd30
	s_load_dwordx2 s[4:5], s[6:7], s0 offset:0x370
	s_load_dwordx2 s[12:13], s[6:7], s0 offset:0x0
	v_mul_lo_u32 v1, s10, v2
	v_mad_u32_u24 v1, v3, s3, v1
	s_waitcnt lgkmcnt(0)
	s_ashr_i32 s3, s2, 31
	s_lshl_b64 s[14:15], s[2:3], 19
	s_add_u32 s22, s12, s14
	s_addc_u32 s23, s13, s15
	s_and_b32 s0, s22, 31
	s_lshl_b64 s[2:3], s[2:3], 16
	s_sub_u32 s10, s4, s2
	s_subb_u32 s11, s5, s3
	s_and_b32 s2, s4, 3
	s_mov_b32 s3, s1
	s_or_b64 s[0:1], s[0:1], s[2:3]
	s_cmp_eq_u64 s[0:1], 0
	v_add_lshl_u32 v4, v1, v0, 3
	s_cbranch_scc1 .LBB8_20
; %bb.1:
	v_cmp_lt_i64_e64 s[0:1], s[10:11], 1
	s_and_b64 vcc, exec, s[0:1]
	s_cbranch_vccnz .LBB8_18
; %bb.2:
	s_load_dword s0, s[6:7], 0xd44
	v_mov_b32_e32 v6, 0x10000
	v_mov_b32_e32 v7, 0
	v_cmp_lt_u64_e32 vcc, s[10:11], v[6:7]
	v_mov_b32_e32 v1, 0
	s_waitcnt lgkmcnt(0)
	s_and_b32 s2, s0, 0xffff
	s_and_b64 s[0:1], vcc, exec
	s_mul_i32 s4, s2, 3
	s_mov_b64 s[0:1], src_shared_base
	v_lshlrev_b32_e32 v0, 3, v2
	v_add_co_u32_e32 v5, vcc, s4, v2
	v_mov_b32_e32 v3, s1
	v_mad_u64_u32 v[6:7], s[0:1], s2, 24, v[0:1]
	v_addc_co_u32_e64 v9, s[0:1], 0, 0, vcc
	s_cselect_b32 s17, s11, 0
	s_cselect_b32 s16, s10, 0x10000
	s_lshl_b32 s0, s2, 4
	s_lshl_b32 s3, s2, 1
	v_add_co_u32_e32 v24, vcc, s0, v0
	v_addc_co_u32_e64 v25, s[0:1], 0, 0, vcc
	v_add_co_u32_e32 v26, vcc, s3, v2
	v_addc_co_u32_e64 v27, s[0:1], 0, 0, vcc
	v_add_co_u32_e32 v28, vcc, s2, v2
	s_lshl_b32 s24, s2, 2
	s_lshl_b32 s25, s2, 5
	v_addc_co_u32_e64 v29, s[0:1], 0, 0, vcc
	v_lshlrev_b32_e32 v8, 3, v28
	s_mov_b64 s[18:19], 0
	v_mov_b32_e32 v10, v1
	v_mov_b32_e32 v11, v1
	v_pk_mov_b32 v[12:13], s[10:11], s[10:11] op_sel:[0,1]
	s_branch .LBB8_4
.LBB8_3:                                ;   in Loop: Header=BB8_4 Depth=1
	s_or_b64 exec, exec, s[0:1]
	s_add_u32 s18, s18, s24
	v_mov_b32_e32 v14, 0xffff
	s_addc_u32 s19, s19, 0
	v_mov_b32_e32 v15, 0
	v_cmp_ge_i64_e32 vcc, s[18:19], v[12:13]
	v_cmp_gt_u64_e64 s[0:1], s[18:19], v[14:15]
	s_or_b64 s[0:1], vcc, s[0:1]
	s_add_u32 s22, s22, s25
	s_addc_u32 s23, s23, 0
	s_and_b64 vcc, exec, s[0:1]
	s_cbranch_vccnz .LBB8_18
.LBB8_4:                                ; =>This Inner Loop Header: Depth=1
	v_mov_b32_e32 v1, s19
	v_add_co_u32_e32 v14, vcc, s18, v2
	v_addc_co_u32_e32 v15, vcc, 0, v1, vcc
	v_cmp_gt_u64_e32 vcc, s[16:17], v[14:15]
	v_mov_b32_e32 v16, 0
	v_mov_b32_e32 v17, 0
	s_and_saveexec_b64 s[2:3], vcc
	s_cbranch_execz .LBB8_6
; %bb.5:                                ;   in Loop: Header=BB8_4 Depth=1
	v_mov_b32_e32 v1, s23
	v_add_co_u32_e64 v14, s[0:1], s22, v0
	v_addc_co_u32_e64 v15, s[0:1], 0, v1, s[0:1]
	global_load_dwordx2 v[16:17], v[14:15], off
.LBB8_6:                                ;   in Loop: Header=BB8_4 Depth=1
	s_or_b64 exec, exec, s[2:3]
	v_mov_b32_e32 v1, s19
	v_add_co_u32_e64 v14, s[0:1], s18, v28
	v_addc_co_u32_e64 v15, s[0:1], v29, v1, s[0:1]
	v_cmp_gt_u64_e64 s[0:1], s[16:17], v[14:15]
	v_mov_b32_e32 v14, 0
	v_mov_b32_e32 v18, 0
	v_mov_b32_e32 v19, 0
	s_and_saveexec_b64 s[4:5], s[0:1]
	s_cbranch_execz .LBB8_8
; %bb.7:                                ;   in Loop: Header=BB8_4 Depth=1
	v_mov_b32_e32 v1, s23
	v_add_co_u32_e64 v18, s[2:3], s22, v8
	v_addc_co_u32_e64 v19, s[2:3], 0, v1, s[2:3]
	global_load_dwordx2 v[18:19], v[18:19], off
.LBB8_8:                                ;   in Loop: Header=BB8_4 Depth=1
	s_or_b64 exec, exec, s[4:5]
	v_mov_b32_e32 v1, s19
	v_add_co_u32_e64 v20, s[2:3], s18, v26
	v_addc_co_u32_e64 v21, s[2:3], v27, v1, s[2:3]
	v_cmp_gt_u64_e64 s[2:3], s[16:17], v[20:21]
	v_mov_b32_e32 v15, 0
	s_and_saveexec_b64 s[20:21], s[2:3]
	s_cbranch_execz .LBB8_10
; %bb.9:                                ;   in Loop: Header=BB8_4 Depth=1
	v_mov_b32_e32 v1, s23
	v_add_co_u32_e64 v14, s[4:5], s22, v24
	v_addc_co_u32_e64 v15, s[4:5], v1, v25, s[4:5]
	global_load_dwordx2 v[14:15], v[14:15], off
.LBB8_10:                               ;   in Loop: Header=BB8_4 Depth=1
	s_or_b64 exec, exec, s[20:21]
	v_mov_b32_e32 v1, s19
	v_add_co_u32_e64 v22, s[4:5], s18, v5
	v_addc_co_u32_e64 v23, s[4:5], v9, v1, s[4:5]
	v_mov_b32_e32 v1, s23
	v_add_co_u32_e64 v20, s[4:5], s22, v6
	v_addc_co_u32_e64 v21, s[4:5], v1, v7, s[4:5]
	v_cmp_gt_u64_e64 s[4:5], s[16:17], v[22:23]
	ds_write_b64 v4, v[10:11]
	v_cndmask_b32_e64 v23, v3, v21, s[4:5]
	v_cndmask_b32_e64 v22, v4, v20, s[4:5]
	flat_load_dwordx2 v[22:23], v[22:23]
	s_waitcnt vmcnt(0) lgkmcnt(0)
	v_pk_add_f32 v[22:23], s[8:9], v[22:23]
	ds_write_b64 v4, v[22:23]
	s_and_saveexec_b64 s[20:21], vcc
	s_cbranch_execnz .LBB8_14
; %bb.11:                               ;   in Loop: Header=BB8_4 Depth=1
	s_or_b64 exec, exec, s[20:21]
	s_and_saveexec_b64 s[20:21], s[0:1]
	s_cbranch_execnz .LBB8_15
.LBB8_12:                               ;   in Loop: Header=BB8_4 Depth=1
	s_or_b64 exec, exec, s[20:21]
	s_and_saveexec_b64 s[0:1], s[2:3]
	s_cbranch_execnz .LBB8_16
.LBB8_13:                               ;   in Loop: Header=BB8_4 Depth=1
	s_or_b64 exec, exec, s[0:1]
	s_and_saveexec_b64 s[0:1], s[4:5]
	s_cbranch_execz .LBB8_3
	s_branch .LBB8_17
.LBB8_14:                               ;   in Loop: Header=BB8_4 Depth=1
	v_mov_b32_e32 v1, s23
	v_add_co_u32_e32 v30, vcc, s22, v0
	v_addc_co_u32_e32 v31, vcc, 0, v1, vcc
	v_pk_add_f32 v[16:17], v[16:17], s[8:9]
	global_store_dwordx2 v[30:31], v[16:17], off
	s_or_b64 exec, exec, s[20:21]
	s_and_saveexec_b64 s[20:21], s[0:1]
	s_cbranch_execz .LBB8_12
.LBB8_15:                               ;   in Loop: Header=BB8_4 Depth=1
	v_pk_add_f32 v[16:17], v[18:19], s[8:9]
	v_mov_b32_e32 v1, s23
	v_add_co_u32_e32 v18, vcc, s22, v8
	v_addc_co_u32_e32 v19, vcc, 0, v1, vcc
	global_store_dwordx2 v[18:19], v[16:17], off
	s_or_b64 exec, exec, s[20:21]
	s_and_saveexec_b64 s[0:1], s[2:3]
	s_cbranch_execz .LBB8_13
.LBB8_16:                               ;   in Loop: Header=BB8_4 Depth=1
	v_mov_b32_e32 v1, s23
	v_add_co_u32_e32 v16, vcc, s22, v24
	v_pk_add_f32 v[14:15], v[14:15], s[8:9]
	v_addc_co_u32_e32 v17, vcc, v1, v25, vcc
	global_store_dwordx2 v[16:17], v[14:15], off
	s_or_b64 exec, exec, s[0:1]
	s_and_saveexec_b64 s[0:1], s[4:5]
	s_cbranch_execz .LBB8_3
.LBB8_17:                               ;   in Loop: Header=BB8_4 Depth=1
	global_store_dwordx2 v[20:21], v[22:23], off
	s_branch .LBB8_3
.LBB8_18:
	s_cbranch_execz .LBB8_21
.LBB8_19:
	s_endpgm
.LBB8_20:
.LBB8_21:
	v_mov_b32_e32 v7, 0
	v_lshlrev_b32_e32 v6, 2, v2
	s_mov_b32 s0, 0
	v_cmp_gt_i64_e32 vcc, s[10:11], v[6:7]
	s_and_saveexec_b64 s[2:3], vcc
	s_cbranch_execz .LBB8_19
; %bb.22:
	s_load_dword s1, s[6:7], 0xd44
	v_lshlrev_b32_e32 v0, 5, v2
	s_mov_b64 s[4:5], 0
	s_mov_b64 s[6:7], 0xffff
	v_mov_b32_e32 v5, s0
	s_waitcnt lgkmcnt(0)
	s_and_b32 s1, s1, 0xffff
	s_lshl_b32 s16, s1, 2
	s_add_u32 s2, s12, s14
	s_addc_u32 s3, s13, s15
	v_mov_b32_e32 v1, s3
	v_add_co_u32_e32 v0, vcc, s2, v0
	v_addc_co_u32_e32 v1, vcc, 0, v1, vcc
	v_add_co_u32_e32 v8, vcc, 16, v0
	v_add_lshl_u32 v6, v2, s1, 2
	v_addc_co_u32_e32 v9, vcc, 0, v1, vcc
	s_lshl_b32 s12, s1, 5
	v_mov_b32_e32 v10, s0
.LBB8_23:                               ; =>This Inner Loop Header: Depth=1
	global_load_dwordx4 v[0:3], v[8:9], off
	global_load_dwordx4 v[12:15], v[8:9], off offset:-16
	v_cmp_le_i64_e32 vcc, s[10:11], v[6:7]
	v_cmp_lt_u64_e64 s[0:1], s[6:7], v[6:7]
	s_or_b64 s[0:1], vcc, s[0:1]
	v_add_co_u32_e64 v6, s[2:3], s16, v6
	s_and_b64 s[0:1], exec, s[0:1]
	v_addc_co_u32_e64 v7, s[2:3], v7, v5, s[2:3]
	s_or_b64 s[4:5], s[0:1], s[4:5]
	s_waitcnt vmcnt(1)
	v_pk_add_f32 v[2:3], s[8:9], v[2:3]
	s_waitcnt vmcnt(0)
	v_pk_add_f32 v[12:13], v[12:13], s[8:9]
	v_pk_add_f32 v[14:15], v[14:15], s[8:9]
	;; [unrolled: 1-line block ×3, first 2 shown]
	global_store_dwordx4 v[8:9], v[12:15], off offset:-16
	global_store_dwordx4 v[8:9], v[0:3], off
	v_add_co_u32_e32 v8, vcc, s12, v8
	v_addc_co_u32_e32 v9, vcc, v9, v10, vcc
	s_andn2_b64 exec, exec, s[4:5]
	s_cbranch_execnz .LBB8_23
; %bb.24:
	s_or_b64 exec, exec, s[4:5]
	ds_write_b64 v4, v[2:3]
	s_endpgm
	.section	.rodata,"a",@progbits
	.p2align	6, 0x0
	.amdhsa_kernel _ZN2at6native12_GLOBAL__N_125multi_tensor_apply_kernelINS1_18TensorListMetadataILi1EEENS1_21BinaryOpScalarFunctorIN3c107complexIfEELi1ELi1ELi0EEEJSt4plusIS8_ES8_EEEvT_T0_DpT1_
		.amdhsa_group_segment_fixed_size 4096
		.amdhsa_private_segment_fixed_size 0
		.amdhsa_kernarg_size 3640
		.amdhsa_user_sgpr_count 8
		.amdhsa_user_sgpr_private_segment_buffer 1
		.amdhsa_user_sgpr_dispatch_ptr 1
		.amdhsa_user_sgpr_queue_ptr 0
		.amdhsa_user_sgpr_kernarg_segment_ptr 1
		.amdhsa_user_sgpr_dispatch_id 0
		.amdhsa_user_sgpr_flat_scratch_init 0
		.amdhsa_user_sgpr_kernarg_preload_length 0
		.amdhsa_user_sgpr_kernarg_preload_offset 0
		.amdhsa_user_sgpr_private_segment_size 0
		.amdhsa_uses_dynamic_stack 0
		.amdhsa_system_sgpr_private_segment_wavefront_offset 0
		.amdhsa_system_sgpr_workgroup_id_x 1
		.amdhsa_system_sgpr_workgroup_id_y 0
		.amdhsa_system_sgpr_workgroup_id_z 0
		.amdhsa_system_sgpr_workgroup_info 0
		.amdhsa_system_vgpr_workitem_id 2
		.amdhsa_next_free_vgpr 32
		.amdhsa_next_free_sgpr 26
		.amdhsa_accum_offset 32
		.amdhsa_reserve_vcc 1
		.amdhsa_reserve_flat_scratch 0
		.amdhsa_float_round_mode_32 0
		.amdhsa_float_round_mode_16_64 0
		.amdhsa_float_denorm_mode_32 3
		.amdhsa_float_denorm_mode_16_64 3
		.amdhsa_dx10_clamp 1
		.amdhsa_ieee_mode 1
		.amdhsa_fp16_overflow 0
		.amdhsa_tg_split 0
		.amdhsa_exception_fp_ieee_invalid_op 0
		.amdhsa_exception_fp_denorm_src 0
		.amdhsa_exception_fp_ieee_div_zero 0
		.amdhsa_exception_fp_ieee_overflow 0
		.amdhsa_exception_fp_ieee_underflow 0
		.amdhsa_exception_fp_ieee_inexact 0
		.amdhsa_exception_int_div_zero 0
	.end_amdhsa_kernel
	.section	.text._ZN2at6native12_GLOBAL__N_125multi_tensor_apply_kernelINS1_18TensorListMetadataILi1EEENS1_21BinaryOpScalarFunctorIN3c107complexIfEELi1ELi1ELi0EEEJSt4plusIS8_ES8_EEEvT_T0_DpT1_,"axG",@progbits,_ZN2at6native12_GLOBAL__N_125multi_tensor_apply_kernelINS1_18TensorListMetadataILi1EEENS1_21BinaryOpScalarFunctorIN3c107complexIfEELi1ELi1ELi0EEEJSt4plusIS8_ES8_EEEvT_T0_DpT1_,comdat
.Lfunc_end8:
	.size	_ZN2at6native12_GLOBAL__N_125multi_tensor_apply_kernelINS1_18TensorListMetadataILi1EEENS1_21BinaryOpScalarFunctorIN3c107complexIfEELi1ELi1ELi0EEEJSt4plusIS8_ES8_EEEvT_T0_DpT1_, .Lfunc_end8-_ZN2at6native12_GLOBAL__N_125multi_tensor_apply_kernelINS1_18TensorListMetadataILi1EEENS1_21BinaryOpScalarFunctorIN3c107complexIfEELi1ELi1ELi0EEEJSt4plusIS8_ES8_EEEvT_T0_DpT1_
                                        ; -- End function
	.section	.AMDGPU.csdata,"",@progbits
; Kernel info:
; codeLenInByte = 1212
; NumSgprs: 30
; NumVgprs: 32
; NumAgprs: 0
; TotalNumVgprs: 32
; ScratchSize: 0
; MemoryBound: 0
; FloatMode: 240
; IeeeMode: 1
; LDSByteSize: 4096 bytes/workgroup (compile time only)
; SGPRBlocks: 3
; VGPRBlocks: 3
; NumSGPRsForWavesPerEU: 30
; NumVGPRsForWavesPerEU: 32
; AccumOffset: 32
; Occupancy: 8
; WaveLimiterHint : 0
; COMPUTE_PGM_RSRC2:SCRATCH_EN: 0
; COMPUTE_PGM_RSRC2:USER_SGPR: 8
; COMPUTE_PGM_RSRC2:TRAP_HANDLER: 0
; COMPUTE_PGM_RSRC2:TGID_X_EN: 1
; COMPUTE_PGM_RSRC2:TGID_Y_EN: 0
; COMPUTE_PGM_RSRC2:TGID_Z_EN: 0
; COMPUTE_PGM_RSRC2:TIDIG_COMP_CNT: 2
; COMPUTE_PGM_RSRC3_GFX90A:ACCUM_OFFSET: 7
; COMPUTE_PGM_RSRC3_GFX90A:TG_SPLIT: 0
	.section	.text._ZN2at6native12_GLOBAL__N_125multi_tensor_apply_kernelINS1_18TensorListMetadataILi1EEENS1_21BinaryOpScalarFunctorIbLi1ELi1ELi0EEEJSt4plusIbEbEEEvT_T0_DpT1_,"axG",@progbits,_ZN2at6native12_GLOBAL__N_125multi_tensor_apply_kernelINS1_18TensorListMetadataILi1EEENS1_21BinaryOpScalarFunctorIbLi1ELi1ELi0EEEJSt4plusIbEbEEEvT_T0_DpT1_,comdat
	.globl	_ZN2at6native12_GLOBAL__N_125multi_tensor_apply_kernelINS1_18TensorListMetadataILi1EEENS1_21BinaryOpScalarFunctorIbLi1ELi1ELi0EEEJSt4plusIbEbEEEvT_T0_DpT1_ ; -- Begin function _ZN2at6native12_GLOBAL__N_125multi_tensor_apply_kernelINS1_18TensorListMetadataILi1EEENS1_21BinaryOpScalarFunctorIbLi1ELi1ELi0EEEJSt4plusIbEbEEEvT_T0_DpT1_
	.p2align	8
	.type	_ZN2at6native12_GLOBAL__N_125multi_tensor_apply_kernelINS1_18TensorListMetadataILi1EEENS1_21BinaryOpScalarFunctorIbLi1ELi1ELi0EEEJSt4plusIbEbEEEvT_T0_DpT1_,@function
_ZN2at6native12_GLOBAL__N_125multi_tensor_apply_kernelINS1_18TensorListMetadataILi1EEENS1_21BinaryOpScalarFunctorIbLi1ELi1ELi0EEEJSt4plusIbEbEEEvT_T0_DpT1_: ; @_ZN2at6native12_GLOBAL__N_125multi_tensor_apply_kernelINS1_18TensorListMetadataILi1EEENS1_21BinaryOpScalarFunctorIbLi1ELi1ELi0EEEJSt4plusIbEbEEEvT_T0_DpT1_
; %bb.0:
	v_mov_b32_e32 v1, s6
	global_load_ubyte v1, v1, s[4:5] offset:1760
	s_load_dword s0, s[4:5], 0xd28
	s_mul_i32 s2, s6, 3
	s_mul_hi_u32 s1, s6, 3
	s_waitcnt lgkmcnt(0)
	s_lshr_b32 s8, s0, 16
	s_add_u32 s0, s4, s6
	s_addc_u32 s3, s5, 0
	s_add_u32 s0, s0, s2
	s_addc_u32 s1, s3, s1
	s_load_dword s2, s[0:1], 0x820
	v_and_b32_e64 v6, s8, 1
	s_waitcnt vmcnt(0)
	v_readfirstlane_b32 s0, v1
	s_lshl_b32 s3, s0, 3
	s_load_dwordx2 s[0:1], s[4:5], s3 offset:0x0
	s_load_dwordx2 s[6:7], s[4:5], s3 offset:0x370
	s_waitcnt lgkmcnt(0)
	s_ashr_i32 s3, s2, 31
	s_lshl_b64 s[2:3], s[2:3], 16
	s_add_u32 s18, s0, s2
	s_addc_u32 s19, s1, s3
	s_sub_u32 s10, s6, s2
	s_subb_u32 s11, s7, s3
	s_or_b32 s6, s6, s18
	s_and_b32 s6, s6, 3
	s_cmp_eq_u32 s6, 0
	s_cbranch_scc1 .LBB9_21
; %bb.1:
	v_cmp_lt_i64_e64 s[6:7], s[10:11], 1
	s_and_b64 vcc, exec, s[6:7]
	s_cbranch_vccnz .LBB9_20
; %bb.2:
	s_load_dword s6, s[4:5], 0xd3c
	v_mov_b32_e32 v2, 0x10000
	v_mov_b32_e32 v3, 0
	v_cmp_lt_u64_e32 vcc, s[10:11], v[2:3]
	v_mov_b32_e32 v1, s3
	s_waitcnt lgkmcnt(0)
	s_and_b32 s8, s6, 0xffff
	s_and_b64 s[6:7], vcc, exec
	s_cselect_b32 s13, s11, 0
	s_cselect_b32 s12, s10, 0x10000
	s_lshl_b32 s9, s8, 1
	s_mul_i32 s6, s8, 3
	s_lshl_b32 s20, s8, 2
	s_add_u32 s7, s2, s6
	v_add_co_u32_e32 v4, vcc, s2, v0
	s_addc_u32 s14, s3, 0
	v_addc_co_u32_e32 v5, vcc, 0, v1, vcc
	s_add_u32 s7, s0, s7
	v_mov_b32_e32 v7, s1
	v_add_co_u32_e32 v1, vcc, s0, v4
	s_addc_u32 s14, s1, s14
	v_addc_co_u32_e32 v7, vcc, v7, v5, vcc
	s_add_u32 s2, s2, s9
	v_mov_b32_e32 v9, s14
	v_add_co_u32_e32 v8, vcc, s7, v0
	s_addc_u32 s3, s3, 0
	v_addc_co_u32_e32 v9, vcc, 0, v9, vcc
	s_add_u32 s2, s0, s2
	v_add_co_u32_e32 v10, vcc, s6, v0
	s_addc_u32 s3, s1, s3
	v_addc_co_u32_e64 v11, s[6:7], 0, 0, vcc
	v_mov_b32_e32 v13, s3
	v_add_co_u32_e32 v12, vcc, s2, v0
	v_addc_co_u32_e32 v13, vcc, 0, v13, vcc
	s_add_u32 s0, s0, s8
	v_add_co_u32_e32 v14, vcc, s9, v0
	s_addc_u32 s1, s1, 0
	v_addc_co_u32_e64 v15, s[2:3], 0, 0, vcc
	v_mov_b32_e32 v17, s1
	v_add_co_u32_e32 v16, vcc, s0, v4
	v_addc_co_u32_e32 v17, vcc, v17, v5, vcc
	v_add_co_u32_e32 v18, vcc, s8, v0
	v_addc_co_u32_e64 v19, s[0:1], 0, 0, vcc
	s_mov_b64 s[14:15], 0
	v_pk_mov_b32 v[4:5], s[10:11], s[10:11] op_sel:[0,1]
	s_branch .LBB9_4
.LBB9_3:                                ;   in Loop: Header=BB9_4 Depth=1
	s_or_b64 exec, exec, s[0:1]
	s_add_u32 s14, s14, s20
	s_addc_u32 s15, s15, 0
	v_cmp_lt_i64_e32 vcc, s[14:15], v[4:5]
	v_cmp_lt_u64_e64 s[0:1], s[14:15], v[2:3]
	s_and_b64 s[0:1], vcc, s[0:1]
	s_and_b64 vcc, exec, s[0:1]
	s_cbranch_vccz .LBB9_20
.LBB9_4:                                ; =>This Inner Loop Header: Depth=1
	s_waitcnt vmcnt(0)
	v_mov_b32_e32 v21, s15
	v_add_co_u32_e32 v20, vcc, s14, v0
	v_addc_co_u32_e32 v21, vcc, 0, v21, vcc
	v_cmp_gt_u64_e32 vcc, s[12:13], v[20:21]
	v_mov_b32_e32 v20, 0
	s_and_saveexec_b64 s[2:3], vcc
	s_cbranch_execz .LBB9_6
; %bb.5:                                ;   in Loop: Header=BB9_4 Depth=1
	v_mov_b32_e32 v21, s15
	v_add_co_u32_e64 v20, s[0:1], s14, v1
	v_addc_co_u32_e64 v21, s[0:1], v7, v21, s[0:1]
	global_load_ubyte v20, v[20:21], off
.LBB9_6:                                ;   in Loop: Header=BB9_4 Depth=1
	s_or_b64 exec, exec, s[2:3]
	v_mov_b32_e32 v21, s15
	v_add_co_u32_e64 v22, s[0:1], s14, v18
	v_addc_co_u32_e64 v23, s[0:1], v19, v21, s[0:1]
	v_cmp_gt_u64_e64 s[0:1], s[12:13], v[22:23]
	v_mov_b32_e32 v22, 0
	s_and_saveexec_b64 s[6:7], s[0:1]
	s_cbranch_execz .LBB9_8
; %bb.7:                                ;   in Loop: Header=BB9_4 Depth=1
	v_mov_b32_e32 v21, s15
	v_add_co_u32_e64 v22, s[2:3], s14, v16
	v_addc_co_u32_e64 v23, s[2:3], v17, v21, s[2:3]
	global_load_ubyte v22, v[22:23], off
.LBB9_8:                                ;   in Loop: Header=BB9_4 Depth=1
	s_or_b64 exec, exec, s[6:7]
	v_mov_b32_e32 v21, s15
	v_add_co_u32_e64 v24, s[2:3], s14, v14
	v_addc_co_u32_e64 v25, s[2:3], v15, v21, s[2:3]
	v_cmp_gt_u64_e64 s[2:3], s[12:13], v[24:25]
	v_mov_b32_e32 v21, 0
	v_mov_b32_e32 v23, 0
	s_and_saveexec_b64 s[8:9], s[2:3]
	s_cbranch_execz .LBB9_10
; %bb.9:                                ;   in Loop: Header=BB9_4 Depth=1
	v_mov_b32_e32 v23, s15
	v_add_co_u32_e64 v24, s[6:7], s14, v12
	v_addc_co_u32_e64 v25, s[6:7], v13, v23, s[6:7]
	global_load_ubyte v23, v[24:25], off
.LBB9_10:                               ;   in Loop: Header=BB9_4 Depth=1
	s_or_b64 exec, exec, s[8:9]
	v_mov_b32_e32 v25, s15
	v_add_co_u32_e64 v24, s[6:7], s14, v10
	v_addc_co_u32_e64 v25, s[6:7], v11, v25, s[6:7]
	v_cmp_gt_u64_e64 s[6:7], s[12:13], v[24:25]
	s_and_saveexec_b64 s[16:17], s[6:7]
	s_cbranch_execnz .LBB9_15
; %bb.11:                               ;   in Loop: Header=BB9_4 Depth=1
	s_or_b64 exec, exec, s[16:17]
	s_and_saveexec_b64 s[8:9], vcc
	s_cbranch_execnz .LBB9_16
.LBB9_12:                               ;   in Loop: Header=BB9_4 Depth=1
	s_or_b64 exec, exec, s[8:9]
	s_and_saveexec_b64 s[8:9], s[0:1]
	s_cbranch_execnz .LBB9_17
.LBB9_13:                               ;   in Loop: Header=BB9_4 Depth=1
	s_or_b64 exec, exec, s[8:9]
	s_and_saveexec_b64 s[0:1], s[2:3]
	s_cbranch_execnz .LBB9_18
.LBB9_14:                               ;   in Loop: Header=BB9_4 Depth=1
	s_or_b64 exec, exec, s[0:1]
	s_and_saveexec_b64 s[0:1], s[6:7]
	s_cbranch_execz .LBB9_3
	s_branch .LBB9_19
.LBB9_15:                               ;   in Loop: Header=BB9_4 Depth=1
	v_mov_b32_e32 v21, s15
	v_add_co_u32_e64 v24, s[8:9], s14, v8
	v_addc_co_u32_e64 v25, s[8:9], v9, v21, s[8:9]
	global_load_ubyte v21, v[24:25], off
	s_or_b64 exec, exec, s[16:17]
	s_and_saveexec_b64 s[8:9], vcc
	s_cbranch_execz .LBB9_12
.LBB9_16:                               ;   in Loop: Header=BB9_4 Depth=1
	v_mov_b32_e32 v25, s15
	v_add_co_u32_e32 v24, vcc, s14, v1
	s_waitcnt vmcnt(0)
	v_or_b32_e32 v20, v20, v6
	v_addc_co_u32_e32 v25, vcc, v7, v25, vcc
	global_store_byte v[24:25], v20, off
	s_or_b64 exec, exec, s[8:9]
	s_and_saveexec_b64 s[8:9], s[0:1]
	s_cbranch_execz .LBB9_13
.LBB9_17:                               ;   in Loop: Header=BB9_4 Depth=1
	s_waitcnt vmcnt(0)
	v_or_b32_e32 v20, v22, v6
	v_mov_b32_e32 v22, s15
	v_add_co_u32_e32 v24, vcc, s14, v16
	v_addc_co_u32_e32 v25, vcc, v17, v22, vcc
	global_store_byte v[24:25], v20, off
	s_or_b64 exec, exec, s[8:9]
	s_and_saveexec_b64 s[0:1], s[2:3]
	s_cbranch_execz .LBB9_14
.LBB9_18:                               ;   in Loop: Header=BB9_4 Depth=1
	s_waitcnt vmcnt(0)
	v_or_b32_e32 v20, v23, v6
	v_mov_b32_e32 v23, s15
	v_add_co_u32_e32 v22, vcc, s14, v12
	v_addc_co_u32_e32 v23, vcc, v13, v23, vcc
	global_store_byte v[22:23], v20, off
	s_or_b64 exec, exec, s[0:1]
	s_and_saveexec_b64 s[0:1], s[6:7]
	s_cbranch_execz .LBB9_3
.LBB9_19:                               ;   in Loop: Header=BB9_4 Depth=1
	s_waitcnt vmcnt(0)
	v_or_b32_e32 v22, v21, v6
	v_mov_b32_e32 v21, s15
	v_add_co_u32_e32 v20, vcc, s14, v8
	v_addc_co_u32_e32 v21, vcc, v9, v21, vcc
	global_store_byte v[20:21], v22, off
	s_branch .LBB9_3
.LBB9_20:
	s_cbranch_execz .LBB9_22
	s_branch .LBB9_25
.LBB9_21:
.LBB9_22:
	v_lshlrev_b32_e32 v0, 2, v0
	v_mov_b32_e32 v1, 0
	v_cmp_gt_i64_e32 vcc, s[10:11], v[0:1]
	s_and_saveexec_b64 s[0:1], vcc
	s_cbranch_execz .LBB9_25
; %bb.23:
	s_load_dword s0, s[4:5], 0xd3c
	s_mov_b32 s1, 0
	s_mov_b64 s[2:3], 0
	v_mov_b32_e32 v2, s19
	v_mov_b32_e32 v3, s1
	s_waitcnt lgkmcnt(0)
	s_and_b32 s0, s0, 0xffff
	s_lshl_b32 s6, s0, 2
	s_mov_b64 s[4:5], 0xffff
	v_mov_b32_e32 v4, 8
.LBB9_24:                               ; =>This Inner Loop Header: Depth=1
	v_add_co_u32_e32 v8, vcc, s18, v0
	v_addc_co_u32_e32 v9, vcc, v2, v1, vcc
	global_load_dword v5, v[8:9], off
	v_add_co_u32_e32 v0, vcc, s6, v0
	v_addc_co_u32_e32 v1, vcc, v3, v1, vcc
	v_cmp_le_i64_e32 vcc, s[10:11], v[0:1]
	v_cmp_lt_u64_e64 s[0:1], s[4:5], v[0:1]
	s_or_b64 s[0:1], vcc, s[0:1]
	s_and_b64 s[0:1], exec, s[0:1]
	s_or_b64 s[2:3], s[0:1], s[2:3]
	s_waitcnt vmcnt(0)
	v_or_b32_sdwa v11, v5, v6 dst_sel:DWORD dst_unused:UNUSED_PAD src0_sel:WORD_1 src1_sel:DWORD
	v_lshrrev_b32_e32 v10, 8, v5
	v_and_b32_e32 v11, 0xff, v11
	v_or_b32_e32 v7, v5, v6
	v_or_b32_sdwa v5, v5, v6 dst_sel:DWORD dst_unused:UNUSED_PAD src0_sel:BYTE_3 src1_sel:DWORD
	v_or_b32_e32 v10, v10, v6
	v_lshlrev_b32_e32 v11, 16, v11
	v_and_b32_e32 v7, 0xff, v7
	v_lshlrev_b32_sdwa v10, v4, v10 dst_sel:DWORD dst_unused:UNUSED_PAD src0_sel:DWORD src1_sel:BYTE_0
	v_lshl_or_b32 v5, v5, 24, v11
	v_or3_b32 v5, v5, v10, v7
	global_store_dword v[8:9], v5, off
	s_andn2_b64 exec, exec, s[2:3]
	s_cbranch_execnz .LBB9_24
.LBB9_25:
	s_endpgm
	.section	.rodata,"a",@progbits
	.p2align	6, 0x0
	.amdhsa_kernel _ZN2at6native12_GLOBAL__N_125multi_tensor_apply_kernelINS1_18TensorListMetadataILi1EEENS1_21BinaryOpScalarFunctorIbLi1ELi1ELi0EEEJSt4plusIbEbEEEvT_T0_DpT1_
		.amdhsa_group_segment_fixed_size 0
		.amdhsa_private_segment_fixed_size 0
		.amdhsa_kernarg_size 3632
		.amdhsa_user_sgpr_count 6
		.amdhsa_user_sgpr_private_segment_buffer 1
		.amdhsa_user_sgpr_dispatch_ptr 0
		.amdhsa_user_sgpr_queue_ptr 0
		.amdhsa_user_sgpr_kernarg_segment_ptr 1
		.amdhsa_user_sgpr_dispatch_id 0
		.amdhsa_user_sgpr_flat_scratch_init 0
		.amdhsa_user_sgpr_kernarg_preload_length 0
		.amdhsa_user_sgpr_kernarg_preload_offset 0
		.amdhsa_user_sgpr_private_segment_size 0
		.amdhsa_uses_dynamic_stack 0
		.amdhsa_system_sgpr_private_segment_wavefront_offset 0
		.amdhsa_system_sgpr_workgroup_id_x 1
		.amdhsa_system_sgpr_workgroup_id_y 0
		.amdhsa_system_sgpr_workgroup_id_z 0
		.amdhsa_system_sgpr_workgroup_info 0
		.amdhsa_system_vgpr_workitem_id 0
		.amdhsa_next_free_vgpr 26
		.amdhsa_next_free_sgpr 21
		.amdhsa_accum_offset 28
		.amdhsa_reserve_vcc 1
		.amdhsa_reserve_flat_scratch 0
		.amdhsa_float_round_mode_32 0
		.amdhsa_float_round_mode_16_64 0
		.amdhsa_float_denorm_mode_32 3
		.amdhsa_float_denorm_mode_16_64 3
		.amdhsa_dx10_clamp 1
		.amdhsa_ieee_mode 1
		.amdhsa_fp16_overflow 0
		.amdhsa_tg_split 0
		.amdhsa_exception_fp_ieee_invalid_op 0
		.amdhsa_exception_fp_denorm_src 0
		.amdhsa_exception_fp_ieee_div_zero 0
		.amdhsa_exception_fp_ieee_overflow 0
		.amdhsa_exception_fp_ieee_underflow 0
		.amdhsa_exception_fp_ieee_inexact 0
		.amdhsa_exception_int_div_zero 0
	.end_amdhsa_kernel
	.section	.text._ZN2at6native12_GLOBAL__N_125multi_tensor_apply_kernelINS1_18TensorListMetadataILi1EEENS1_21BinaryOpScalarFunctorIbLi1ELi1ELi0EEEJSt4plusIbEbEEEvT_T0_DpT1_,"axG",@progbits,_ZN2at6native12_GLOBAL__N_125multi_tensor_apply_kernelINS1_18TensorListMetadataILi1EEENS1_21BinaryOpScalarFunctorIbLi1ELi1ELi0EEEJSt4plusIbEbEEEvT_T0_DpT1_,comdat
.Lfunc_end9:
	.size	_ZN2at6native12_GLOBAL__N_125multi_tensor_apply_kernelINS1_18TensorListMetadataILi1EEENS1_21BinaryOpScalarFunctorIbLi1ELi1ELi0EEEJSt4plusIbEbEEEvT_T0_DpT1_, .Lfunc_end9-_ZN2at6native12_GLOBAL__N_125multi_tensor_apply_kernelINS1_18TensorListMetadataILi1EEENS1_21BinaryOpScalarFunctorIbLi1ELi1ELi0EEEJSt4plusIbEbEEEvT_T0_DpT1_
                                        ; -- End function
	.section	.AMDGPU.csdata,"",@progbits
; Kernel info:
; codeLenInByte = 1124
; NumSgprs: 25
; NumVgprs: 26
; NumAgprs: 0
; TotalNumVgprs: 26
; ScratchSize: 0
; MemoryBound: 0
; FloatMode: 240
; IeeeMode: 1
; LDSByteSize: 0 bytes/workgroup (compile time only)
; SGPRBlocks: 3
; VGPRBlocks: 3
; NumSGPRsForWavesPerEU: 25
; NumVGPRsForWavesPerEU: 26
; AccumOffset: 28
; Occupancy: 8
; WaveLimiterHint : 0
; COMPUTE_PGM_RSRC2:SCRATCH_EN: 0
; COMPUTE_PGM_RSRC2:USER_SGPR: 6
; COMPUTE_PGM_RSRC2:TRAP_HANDLER: 0
; COMPUTE_PGM_RSRC2:TGID_X_EN: 1
; COMPUTE_PGM_RSRC2:TGID_Y_EN: 0
; COMPUTE_PGM_RSRC2:TGID_Z_EN: 0
; COMPUTE_PGM_RSRC2:TIDIG_COMP_CNT: 0
; COMPUTE_PGM_RSRC3_GFX90A:ACCUM_OFFSET: 6
; COMPUTE_PGM_RSRC3_GFX90A:TG_SPLIT: 0
	.section	.text._ZN2at6native12_GLOBAL__N_125multi_tensor_apply_kernelINS1_18TensorListMetadataILi1EEENS1_21BinaryOpScalarFunctorIN3c104HalfELi1ELi1ELi0EEEJSt4plusIfEfEEEvT_T0_DpT1_,"axG",@progbits,_ZN2at6native12_GLOBAL__N_125multi_tensor_apply_kernelINS1_18TensorListMetadataILi1EEENS1_21BinaryOpScalarFunctorIN3c104HalfELi1ELi1ELi0EEEJSt4plusIfEfEEEvT_T0_DpT1_,comdat
	.globl	_ZN2at6native12_GLOBAL__N_125multi_tensor_apply_kernelINS1_18TensorListMetadataILi1EEENS1_21BinaryOpScalarFunctorIN3c104HalfELi1ELi1ELi0EEEJSt4plusIfEfEEEvT_T0_DpT1_ ; -- Begin function _ZN2at6native12_GLOBAL__N_125multi_tensor_apply_kernelINS1_18TensorListMetadataILi1EEENS1_21BinaryOpScalarFunctorIN3c104HalfELi1ELi1ELi0EEEJSt4plusIfEfEEEvT_T0_DpT1_
	.p2align	8
	.type	_ZN2at6native12_GLOBAL__N_125multi_tensor_apply_kernelINS1_18TensorListMetadataILi1EEENS1_21BinaryOpScalarFunctorIN3c104HalfELi1ELi1ELi0EEEJSt4plusIfEfEEEvT_T0_DpT1_,@function
_ZN2at6native12_GLOBAL__N_125multi_tensor_apply_kernelINS1_18TensorListMetadataILi1EEENS1_21BinaryOpScalarFunctorIN3c104HalfELi1ELi1ELi0EEEJSt4plusIfEfEEEvT_T0_DpT1_: ; @_ZN2at6native12_GLOBAL__N_125multi_tensor_apply_kernelINS1_18TensorListMetadataILi1EEENS1_21BinaryOpScalarFunctorIN3c104HalfELi1ELi1ELi0EEEJSt4plusIfEfEEEvT_T0_DpT1_
; %bb.0:
	v_mov_b32_e32 v1, s6
	global_load_ubyte v1, v1, s[4:5] offset:1760
	s_add_u32 s0, s4, s6
	s_mul_hi_u32 s1, s6, 3
	s_mul_i32 s6, s6, 3
	s_addc_u32 s2, s5, 0
	s_add_u32 s0, s0, s6
	s_addc_u32 s1, s2, s1
	s_load_dword s0, s[0:1], 0x820
	s_mov_b32 s7, 0
	s_waitcnt vmcnt(0)
	v_readfirstlane_b32 s1, v1
	s_lshl_b32 s1, s1, 3
	s_load_dword s10, s[4:5], 0xd2c
	s_load_dwordx2 s[2:3], s[4:5], s1 offset:0x370
	s_load_dwordx2 s[14:15], s[4:5], s1 offset:0x0
	s_waitcnt lgkmcnt(0)
	s_ashr_i32 s1, s0, 31
	s_lshl_b64 s[16:17], s[0:1], 17
	s_lshl_b64 s[0:1], s[0:1], 16
	s_and_b32 s6, s14, 7
	s_sub_u32 s12, s2, s0
	s_subb_u32 s13, s3, s1
	s_and_b32 s0, s2, 3
	s_mov_b32 s1, s7
	s_or_b64 s[0:1], s[6:7], s[0:1]
	s_cmp_eq_u64 s[0:1], 0
	s_cbranch_scc1 .LBB10_21
; %bb.1:
	v_cmp_lt_i64_e64 s[0:1], s[12:13], 1
	s_and_b64 vcc, exec, s[0:1]
	s_cbranch_vccnz .LBB10_20
; %bb.2:
	s_load_dword s0, s[4:5], 0xd3c
	v_mov_b32_e32 v2, 0x10000
	v_mov_b32_e32 v3, 0
	v_cmp_lt_u64_e32 vcc, s[12:13], v[2:3]
	v_lshlrev_b32_e32 v1, 1, v0
	s_waitcnt lgkmcnt(0)
	s_and_b32 s2, s0, 0xffff
	s_and_b64 s[0:1], vcc, exec
	s_cselect_b32 s19, s13, 0
	s_cselect_b32 s18, s12, 0x10000
	s_lshl_b32 s3, s2, 1
	s_lshl_b32 s24, s2, 2
	s_add_u32 s6, s14, s16
	s_addc_u32 s7, s15, s17
	v_mov_b32_e32 v5, s7
	v_add_co_u32_e32 v4, vcc, s6, v1
	s_mul_i32 s0, s2, 3
	v_addc_co_u32_e32 v5, vcc, 0, v5, vcc
	v_add_co_u32_e32 v1, vcc, s0, v0
	v_addc_co_u32_e64 v10, s[0:1], 0, 0, vcc
	v_add_co_u32_e32 v11, vcc, s3, v0
	v_addc_co_u32_e64 v12, s[0:1], 0, 0, vcc
	v_add_co_u32_e32 v13, vcc, s2, v0
	v_lshlrev_b32_e32 v6, 1, v13
	s_mov_b32 s11, 0
	v_addc_co_u32_e64 v14, s[0:1], 0, 0, vcc
	v_mov_b32_e32 v7, s7
	v_add_co_u32_e32 v6, vcc, s6, v6
	s_lshl_b32 s25, s2, 3
	s_mul_i32 s26, s2, 6
	s_mov_b32 s27, s11
	v_addc_co_u32_e32 v7, vcc, 0, v7, vcc
	s_mov_b64 s[20:21], 0
	v_pk_mov_b32 v[8:9], s[12:13], s[12:13] op_sel:[0,1]
	v_mov_b32_e32 v15, s11
	s_branch .LBB10_4
.LBB10_3:                               ;   in Loop: Header=BB10_4 Depth=1
	s_or_b64 exec, exec, s[0:1]
	s_add_u32 s20, s20, s24
	s_addc_u32 s21, s21, 0
	v_cmp_lt_i64_e32 vcc, s[20:21], v[8:9]
	v_cmp_lt_u64_e64 s[0:1], s[20:21], v[2:3]
	s_and_b64 s[0:1], vcc, s[0:1]
	v_add_co_u32_e32 v4, vcc, s25, v4
	v_addc_co_u32_e32 v5, vcc, v5, v15, vcc
	v_add_co_u32_e32 v6, vcc, s25, v6
	v_addc_co_u32_e32 v7, vcc, v7, v15, vcc
	s_and_b64 vcc, exec, s[0:1]
	s_cbranch_vccz .LBB10_20
.LBB10_4:                               ; =>This Inner Loop Header: Depth=1
	s_waitcnt vmcnt(0)
	v_mov_b32_e32 v17, s21
	v_add_co_u32_e32 v16, vcc, s20, v0
	v_addc_co_u32_e32 v17, vcc, 0, v17, vcc
	v_cmp_gt_u64_e32 vcc, s[18:19], v[16:17]
	v_mov_b32_e32 v16, 0
	s_and_saveexec_b64 s[0:1], vcc
	s_cbranch_execz .LBB10_6
; %bb.5:                                ;   in Loop: Header=BB10_4 Depth=1
	global_load_ushort v16, v[4:5], off
.LBB10_6:                               ;   in Loop: Header=BB10_4 Depth=1
	s_or_b64 exec, exec, s[0:1]
	v_mov_b32_e32 v17, s21
	v_add_co_u32_e64 v18, s[0:1], s20, v13
	v_addc_co_u32_e64 v19, s[0:1], v14, v17, s[0:1]
	v_cmp_gt_u64_e64 s[0:1], s[18:19], v[18:19]
	v_mov_b32_e32 v18, 0
	s_and_saveexec_b64 s[2:3], s[0:1]
	s_cbranch_execz .LBB10_8
; %bb.7:                                ;   in Loop: Header=BB10_4 Depth=1
	global_load_ushort v18, v[6:7], off
.LBB10_8:                               ;   in Loop: Header=BB10_4 Depth=1
	s_or_b64 exec, exec, s[2:3]
	v_mov_b32_e32 v17, s21
	v_add_co_u32_e64 v20, s[2:3], s20, v11
	v_addc_co_u32_e64 v21, s[2:3], v12, v17, s[2:3]
	v_cmp_gt_u64_e64 s[2:3], s[18:19], v[20:21]
	v_mov_b32_e32 v17, 0
	v_mov_b32_e32 v19, 0
	s_and_saveexec_b64 s[8:9], s[2:3]
	s_cbranch_execz .LBB10_10
; %bb.9:                                ;   in Loop: Header=BB10_4 Depth=1
	v_mov_b32_e32 v19, s11
	v_add_co_u32_e64 v20, s[6:7], s24, v4
	v_addc_co_u32_e64 v21, s[6:7], v5, v19, s[6:7]
	global_load_ushort v19, v[20:21], off
.LBB10_10:                              ;   in Loop: Header=BB10_4 Depth=1
	s_or_b64 exec, exec, s[8:9]
	v_mov_b32_e32 v21, s21
	v_add_co_u32_e64 v20, s[6:7], s20, v1
	v_addc_co_u32_e64 v21, s[6:7], v10, v21, s[6:7]
	v_cmp_gt_u64_e64 s[6:7], s[18:19], v[20:21]
	s_and_saveexec_b64 s[22:23], s[6:7]
	s_cbranch_execnz .LBB10_15
; %bb.11:                               ;   in Loop: Header=BB10_4 Depth=1
	s_or_b64 exec, exec, s[22:23]
	s_and_saveexec_b64 s[8:9], vcc
	s_cbranch_execnz .LBB10_16
.LBB10_12:                              ;   in Loop: Header=BB10_4 Depth=1
	s_or_b64 exec, exec, s[8:9]
	s_and_saveexec_b64 s[8:9], s[0:1]
	s_cbranch_execnz .LBB10_17
.LBB10_13:                              ;   in Loop: Header=BB10_4 Depth=1
	s_or_b64 exec, exec, s[8:9]
	s_and_saveexec_b64 s[0:1], s[2:3]
	s_cbranch_execnz .LBB10_18
.LBB10_14:                              ;   in Loop: Header=BB10_4 Depth=1
	s_or_b64 exec, exec, s[0:1]
	s_and_saveexec_b64 s[0:1], s[6:7]
	s_cbranch_execz .LBB10_3
	s_branch .LBB10_19
.LBB10_15:                              ;   in Loop: Header=BB10_4 Depth=1
	v_mov_b32_e32 v17, s27
	v_add_co_u32_e64 v20, s[8:9], s26, v4
	v_addc_co_u32_e64 v21, s[8:9], v5, v17, s[8:9]
	global_load_ushort v17, v[20:21], off
	s_or_b64 exec, exec, s[22:23]
	s_and_saveexec_b64 s[8:9], vcc
	s_cbranch_execz .LBB10_12
.LBB10_16:                              ;   in Loop: Header=BB10_4 Depth=1
	s_waitcnt vmcnt(0)
	v_cvt_f32_f16_e32 v16, v16
	v_add_f32_e32 v16, s10, v16
	v_cvt_f16_f32_e32 v16, v16
	global_store_short v[4:5], v16, off
	s_or_b64 exec, exec, s[8:9]
	s_and_saveexec_b64 s[8:9], s[0:1]
	s_cbranch_execz .LBB10_13
.LBB10_17:                              ;   in Loop: Header=BB10_4 Depth=1
	s_waitcnt vmcnt(0)
	v_cvt_f32_f16_e32 v16, v18
	v_add_f32_e32 v16, s10, v16
	v_cvt_f16_f32_e32 v16, v16
	global_store_short v[6:7], v16, off
	s_or_b64 exec, exec, s[8:9]
	s_and_saveexec_b64 s[0:1], s[2:3]
	s_cbranch_execz .LBB10_14
.LBB10_18:                              ;   in Loop: Header=BB10_4 Depth=1
	s_waitcnt vmcnt(0)
	v_cvt_f32_f16_e32 v16, v19
	v_mov_b32_e32 v19, s11
	v_add_co_u32_e32 v18, vcc, s24, v4
	v_add_f32_e32 v16, s10, v16
	v_cvt_f16_f32_e32 v16, v16
	v_addc_co_u32_e32 v19, vcc, v5, v19, vcc
	global_store_short v[18:19], v16, off
	s_or_b64 exec, exec, s[0:1]
	s_and_saveexec_b64 s[0:1], s[6:7]
	s_cbranch_execz .LBB10_3
.LBB10_19:                              ;   in Loop: Header=BB10_4 Depth=1
	s_waitcnt vmcnt(0)
	v_cvt_f32_f16_e32 v16, v17
	v_mov_b32_e32 v17, s27
	v_add_f32_e32 v16, s10, v16
	v_cvt_f16_f32_e32 v18, v16
	v_add_co_u32_e32 v16, vcc, s26, v4
	v_addc_co_u32_e32 v17, vcc, v5, v17, vcc
	global_store_short v[16:17], v18, off
	s_branch .LBB10_3
.LBB10_20:
	s_cbranch_execz .LBB10_22
	s_branch .LBB10_25
.LBB10_21:
.LBB10_22:
	v_mov_b32_e32 v3, 0
	v_lshlrev_b32_e32 v2, 2, v0
	s_mov_b32 s0, 0
	v_cmp_gt_i64_e32 vcc, s[12:13], v[2:3]
	s_and_saveexec_b64 s[2:3], vcc
	s_cbranch_execz .LBB10_25
; %bb.23:
	s_load_dword s1, s[4:5], 0xd3c
	v_lshlrev_b32_e32 v1, 3, v0
	s_mov_b32 s11, s10
	s_mov_b32 s2, s10
	;; [unrolled: 1-line block ×3, first 2 shown]
	s_waitcnt lgkmcnt(0)
	s_and_b32 s1, s1, 0xffff
	s_add_u32 s4, s14, s16
	s_addc_u32 s5, s15, s17
	v_mov_b32_e32 v2, s5
	v_add_co_u32_e32 v4, vcc, s4, v1
	v_addc_co_u32_e32 v5, vcc, 0, v2, vcc
	s_lshl_b32 s8, s1, 3
	v_add_lshl_u32 v2, v0, s1, 2
	s_lshl_b32 s9, s1, 2
	s_mov_b64 s[4:5], 0
	s_mov_b64 s[6:7], 0xffff
	v_mov_b32_e32 v0, s0
	v_mov_b32_e32 v1, s0
.LBB10_24:                              ; =>This Inner Loop Header: Depth=1
	global_load_dwordx2 v[6:7], v[4:5], off
	v_cmp_le_i64_e32 vcc, s[12:13], v[2:3]
	v_cmp_lt_u64_e64 s[0:1], s[6:7], v[2:3]
	s_or_b64 s[0:1], vcc, s[0:1]
	s_and_b64 s[0:1], exec, s[0:1]
	s_or_b64 s[4:5], s[0:1], s[4:5]
	s_waitcnt vmcnt(0)
	v_cvt_f32_f16_sdwa v9, v6 dst_sel:DWORD dst_unused:UNUSED_PAD src0_sel:WORD_1
	v_cvt_f32_f16_sdwa v11, v7 dst_sel:DWORD dst_unused:UNUSED_PAD src0_sel:WORD_1
	v_cvt_f32_f16_e32 v10, v7
	v_cvt_f32_f16_e32 v8, v6
	v_pk_add_f32 v[6:7], s[2:3], v[10:11]
	v_pk_add_f32 v[8:9], s[10:11], v[8:9]
	v_cvt_f16_f32_e32 v7, v7
	v_cvt_f16_f32_e32 v6, v6
	;; [unrolled: 1-line block ×4, first 2 shown]
	v_pack_b32_f16 v7, v6, v7
	v_pack_b32_f16 v6, v8, v9
	global_store_dwordx2 v[4:5], v[6:7], off
	v_add_co_u32_e32 v4, vcc, s8, v4
	v_addc_co_u32_e32 v5, vcc, v5, v0, vcc
	v_add_co_u32_e32 v2, vcc, s9, v2
	v_addc_co_u32_e32 v3, vcc, v3, v1, vcc
	s_andn2_b64 exec, exec, s[4:5]
	s_cbranch_execnz .LBB10_24
.LBB10_25:
	s_endpgm
	.section	.rodata,"a",@progbits
	.p2align	6, 0x0
	.amdhsa_kernel _ZN2at6native12_GLOBAL__N_125multi_tensor_apply_kernelINS1_18TensorListMetadataILi1EEENS1_21BinaryOpScalarFunctorIN3c104HalfELi1ELi1ELi0EEEJSt4plusIfEfEEEvT_T0_DpT1_
		.amdhsa_group_segment_fixed_size 0
		.amdhsa_private_segment_fixed_size 0
		.amdhsa_kernarg_size 3632
		.amdhsa_user_sgpr_count 6
		.amdhsa_user_sgpr_private_segment_buffer 1
		.amdhsa_user_sgpr_dispatch_ptr 0
		.amdhsa_user_sgpr_queue_ptr 0
		.amdhsa_user_sgpr_kernarg_segment_ptr 1
		.amdhsa_user_sgpr_dispatch_id 0
		.amdhsa_user_sgpr_flat_scratch_init 0
		.amdhsa_user_sgpr_kernarg_preload_length 0
		.amdhsa_user_sgpr_kernarg_preload_offset 0
		.amdhsa_user_sgpr_private_segment_size 0
		.amdhsa_uses_dynamic_stack 0
		.amdhsa_system_sgpr_private_segment_wavefront_offset 0
		.amdhsa_system_sgpr_workgroup_id_x 1
		.amdhsa_system_sgpr_workgroup_id_y 0
		.amdhsa_system_sgpr_workgroup_id_z 0
		.amdhsa_system_sgpr_workgroup_info 0
		.amdhsa_system_vgpr_workitem_id 0
		.amdhsa_next_free_vgpr 22
		.amdhsa_next_free_sgpr 28
		.amdhsa_accum_offset 24
		.amdhsa_reserve_vcc 1
		.amdhsa_reserve_flat_scratch 0
		.amdhsa_float_round_mode_32 0
		.amdhsa_float_round_mode_16_64 0
		.amdhsa_float_denorm_mode_32 3
		.amdhsa_float_denorm_mode_16_64 3
		.amdhsa_dx10_clamp 1
		.amdhsa_ieee_mode 1
		.amdhsa_fp16_overflow 0
		.amdhsa_tg_split 0
		.amdhsa_exception_fp_ieee_invalid_op 0
		.amdhsa_exception_fp_denorm_src 0
		.amdhsa_exception_fp_ieee_div_zero 0
		.amdhsa_exception_fp_ieee_overflow 0
		.amdhsa_exception_fp_ieee_underflow 0
		.amdhsa_exception_fp_ieee_inexact 0
		.amdhsa_exception_int_div_zero 0
	.end_amdhsa_kernel
	.section	.text._ZN2at6native12_GLOBAL__N_125multi_tensor_apply_kernelINS1_18TensorListMetadataILi1EEENS1_21BinaryOpScalarFunctorIN3c104HalfELi1ELi1ELi0EEEJSt4plusIfEfEEEvT_T0_DpT1_,"axG",@progbits,_ZN2at6native12_GLOBAL__N_125multi_tensor_apply_kernelINS1_18TensorListMetadataILi1EEENS1_21BinaryOpScalarFunctorIN3c104HalfELi1ELi1ELi0EEEJSt4plusIfEfEEEvT_T0_DpT1_,comdat
.Lfunc_end10:
	.size	_ZN2at6native12_GLOBAL__N_125multi_tensor_apply_kernelINS1_18TensorListMetadataILi1EEENS1_21BinaryOpScalarFunctorIN3c104HalfELi1ELi1ELi0EEEJSt4plusIfEfEEEvT_T0_DpT1_, .Lfunc_end10-_ZN2at6native12_GLOBAL__N_125multi_tensor_apply_kernelINS1_18TensorListMetadataILi1EEENS1_21BinaryOpScalarFunctorIN3c104HalfELi1ELi1ELi0EEEJSt4plusIfEfEEEvT_T0_DpT1_
                                        ; -- End function
	.section	.AMDGPU.csdata,"",@progbits
; Kernel info:
; codeLenInByte = 1104
; NumSgprs: 32
; NumVgprs: 22
; NumAgprs: 0
; TotalNumVgprs: 22
; ScratchSize: 0
; MemoryBound: 0
; FloatMode: 240
; IeeeMode: 1
; LDSByteSize: 0 bytes/workgroup (compile time only)
; SGPRBlocks: 3
; VGPRBlocks: 2
; NumSGPRsForWavesPerEU: 32
; NumVGPRsForWavesPerEU: 22
; AccumOffset: 24
; Occupancy: 8
; WaveLimiterHint : 0
; COMPUTE_PGM_RSRC2:SCRATCH_EN: 0
; COMPUTE_PGM_RSRC2:USER_SGPR: 6
; COMPUTE_PGM_RSRC2:TRAP_HANDLER: 0
; COMPUTE_PGM_RSRC2:TGID_X_EN: 1
; COMPUTE_PGM_RSRC2:TGID_Y_EN: 0
; COMPUTE_PGM_RSRC2:TGID_Z_EN: 0
; COMPUTE_PGM_RSRC2:TIDIG_COMP_CNT: 0
; COMPUTE_PGM_RSRC3_GFX90A:ACCUM_OFFSET: 5
; COMPUTE_PGM_RSRC3_GFX90A:TG_SPLIT: 0
	.section	.text._ZN2at6native12_GLOBAL__N_125multi_tensor_apply_kernelINS1_18TensorListMetadataILi1EEENS1_21BinaryOpScalarFunctorIN3c108BFloat16ELi1ELi1ELi0EEEJSt4plusIfEfEEEvT_T0_DpT1_,"axG",@progbits,_ZN2at6native12_GLOBAL__N_125multi_tensor_apply_kernelINS1_18TensorListMetadataILi1EEENS1_21BinaryOpScalarFunctorIN3c108BFloat16ELi1ELi1ELi0EEEJSt4plusIfEfEEEvT_T0_DpT1_,comdat
	.globl	_ZN2at6native12_GLOBAL__N_125multi_tensor_apply_kernelINS1_18TensorListMetadataILi1EEENS1_21BinaryOpScalarFunctorIN3c108BFloat16ELi1ELi1ELi0EEEJSt4plusIfEfEEEvT_T0_DpT1_ ; -- Begin function _ZN2at6native12_GLOBAL__N_125multi_tensor_apply_kernelINS1_18TensorListMetadataILi1EEENS1_21BinaryOpScalarFunctorIN3c108BFloat16ELi1ELi1ELi0EEEJSt4plusIfEfEEEvT_T0_DpT1_
	.p2align	8
	.type	_ZN2at6native12_GLOBAL__N_125multi_tensor_apply_kernelINS1_18TensorListMetadataILi1EEENS1_21BinaryOpScalarFunctorIN3c108BFloat16ELi1ELi1ELi0EEEJSt4plusIfEfEEEvT_T0_DpT1_,@function
_ZN2at6native12_GLOBAL__N_125multi_tensor_apply_kernelINS1_18TensorListMetadataILi1EEENS1_21BinaryOpScalarFunctorIN3c108BFloat16ELi1ELi1ELi0EEEJSt4plusIfEfEEEvT_T0_DpT1_: ; @_ZN2at6native12_GLOBAL__N_125multi_tensor_apply_kernelINS1_18TensorListMetadataILi1EEENS1_21BinaryOpScalarFunctorIN3c108BFloat16ELi1ELi1ELi0EEEJSt4plusIfEfEEEvT_T0_DpT1_
; %bb.0:
	v_mov_b32_e32 v1, s6
	global_load_ubyte v1, v1, s[4:5] offset:1760
	s_add_u32 s0, s4, s6
	s_mul_hi_u32 s1, s6, 3
	s_mul_i32 s6, s6, 3
	s_addc_u32 s2, s5, 0
	s_add_u32 s0, s0, s6
	s_addc_u32 s1, s2, s1
	s_load_dword s0, s[0:1], 0x820
	s_mov_b32 s7, 0
	s_waitcnt vmcnt(0)
	v_readfirstlane_b32 s1, v1
	s_lshl_b32 s1, s1, 3
	s_load_dword s22, s[4:5], 0xd2c
	s_load_dwordx2 s[2:3], s[4:5], s1 offset:0x370
	s_load_dwordx2 s[12:13], s[4:5], s1 offset:0x0
	s_waitcnt lgkmcnt(0)
	s_ashr_i32 s1, s0, 31
	s_lshl_b64 s[14:15], s[0:1], 17
	s_lshl_b64 s[0:1], s[0:1], 16
	s_and_b32 s6, s12, 7
	s_sub_u32 s10, s2, s0
	s_subb_u32 s11, s3, s1
	s_and_b32 s0, s2, 3
	s_mov_b32 s1, s7
	s_or_b64 s[0:1], s[6:7], s[0:1]
	s_cmp_eq_u64 s[0:1], 0
	s_cbranch_scc1 .LBB11_21
; %bb.1:
	v_cmp_lt_i64_e64 s[0:1], s[10:11], 1
	s_and_b64 vcc, exec, s[0:1]
	s_cbranch_vccnz .LBB11_20
; %bb.2:
	s_load_dword s0, s[4:5], 0xd3c
	v_mov_b32_e32 v2, 0x10000
	v_mov_b32_e32 v3, 0
	v_cmp_lt_u64_e32 vcc, s[10:11], v[2:3]
	v_lshlrev_b32_e32 v1, 1, v0
	s_waitcnt lgkmcnt(0)
	s_and_b32 s2, s0, 0xffff
	s_and_b64 s[0:1], vcc, exec
	s_cselect_b32 s17, s11, 0
	s_cselect_b32 s16, s10, 0x10000
	s_lshl_b32 s3, s2, 1
	s_lshl_b32 s24, s2, 2
	s_add_u32 s6, s12, s14
	s_addc_u32 s7, s13, s15
	v_mov_b32_e32 v5, s7
	v_add_co_u32_e32 v4, vcc, s6, v1
	s_mul_i32 s0, s2, 3
	v_addc_co_u32_e32 v5, vcc, 0, v5, vcc
	v_add_co_u32_e32 v1, vcc, s0, v0
	v_addc_co_u32_e64 v10, s[0:1], 0, 0, vcc
	v_add_co_u32_e32 v11, vcc, s3, v0
	v_addc_co_u32_e64 v12, s[0:1], 0, 0, vcc
	v_add_co_u32_e32 v13, vcc, s2, v0
	v_lshlrev_b32_e32 v6, 1, v13
	s_mov_b32 s23, 0
	v_addc_co_u32_e64 v14, s[0:1], 0, 0, vcc
	v_mov_b32_e32 v7, s7
	v_add_co_u32_e32 v6, vcc, s6, v6
	s_lshl_b32 s25, s2, 3
	s_mul_i32 s26, s2, 6
	s_mov_b32 s27, s23
	v_addc_co_u32_e32 v7, vcc, 0, v7, vcc
	s_mov_b64 s[18:19], 0
	s_movk_i32 s28, 0x7fff
	v_pk_mov_b32 v[8:9], s[10:11], s[10:11] op_sel:[0,1]
	v_mov_b32_e32 v15, s23
	v_mov_b32_e32 v16, 0x7fc0
	s_branch .LBB11_4
.LBB11_3:                               ;   in Loop: Header=BB11_4 Depth=1
	s_or_b64 exec, exec, s[0:1]
	s_add_u32 s18, s18, s24
	s_addc_u32 s19, s19, 0
	v_cmp_lt_i64_e32 vcc, s[18:19], v[8:9]
	v_cmp_lt_u64_e64 s[0:1], s[18:19], v[2:3]
	s_and_b64 s[0:1], vcc, s[0:1]
	v_add_co_u32_e32 v4, vcc, s25, v4
	v_addc_co_u32_e32 v5, vcc, v5, v15, vcc
	v_add_co_u32_e32 v6, vcc, s25, v6
	v_addc_co_u32_e32 v7, vcc, v7, v15, vcc
	s_and_b64 vcc, exec, s[0:1]
	s_cbranch_vccz .LBB11_20
.LBB11_4:                               ; =>This Inner Loop Header: Depth=1
	s_waitcnt vmcnt(0)
	v_mov_b32_e32 v17, s19
	v_add_co_u32_e32 v18, vcc, s18, v0
	v_addc_co_u32_e32 v19, vcc, 0, v17, vcc
	v_cmp_gt_u64_e32 vcc, s[16:17], v[18:19]
	v_mov_b32_e32 v18, 0
	s_and_saveexec_b64 s[0:1], vcc
	s_cbranch_execz .LBB11_6
; %bb.5:                                ;   in Loop: Header=BB11_4 Depth=1
	global_load_ushort v18, v[4:5], off
.LBB11_6:                               ;   in Loop: Header=BB11_4 Depth=1
	s_or_b64 exec, exec, s[0:1]
	v_mov_b32_e32 v17, s19
	v_add_co_u32_e64 v20, s[0:1], s18, v13
	v_addc_co_u32_e64 v21, s[0:1], v14, v17, s[0:1]
	v_cmp_gt_u64_e64 s[0:1], s[16:17], v[20:21]
	v_mov_b32_e32 v19, 0
	s_and_saveexec_b64 s[2:3], s[0:1]
	s_cbranch_execz .LBB11_8
; %bb.7:                                ;   in Loop: Header=BB11_4 Depth=1
	global_load_ushort v19, v[6:7], off
.LBB11_8:                               ;   in Loop: Header=BB11_4 Depth=1
	s_or_b64 exec, exec, s[2:3]
	v_mov_b32_e32 v17, s19
	v_add_co_u32_e64 v20, s[2:3], s18, v11
	v_addc_co_u32_e64 v21, s[2:3], v12, v17, s[2:3]
	v_cmp_gt_u64_e64 s[2:3], s[16:17], v[20:21]
	v_mov_b32_e32 v17, 0
	v_mov_b32_e32 v20, 0
	s_and_saveexec_b64 s[8:9], s[2:3]
	s_cbranch_execz .LBB11_10
; %bb.9:                                ;   in Loop: Header=BB11_4 Depth=1
	v_mov_b32_e32 v21, s23
	v_add_co_u32_e64 v20, s[6:7], s24, v4
	v_addc_co_u32_e64 v21, s[6:7], v5, v21, s[6:7]
	global_load_ushort v20, v[20:21], off
.LBB11_10:                              ;   in Loop: Header=BB11_4 Depth=1
	s_or_b64 exec, exec, s[8:9]
	v_mov_b32_e32 v21, s19
	v_add_co_u32_e64 v22, s[6:7], s18, v1
	v_addc_co_u32_e64 v23, s[6:7], v10, v21, s[6:7]
	v_cmp_gt_u64_e64 s[6:7], s[16:17], v[22:23]
	s_and_saveexec_b64 s[20:21], s[6:7]
	s_cbranch_execnz .LBB11_15
; %bb.11:                               ;   in Loop: Header=BB11_4 Depth=1
	s_or_b64 exec, exec, s[20:21]
	s_and_saveexec_b64 s[8:9], vcc
	s_cbranch_execnz .LBB11_16
.LBB11_12:                              ;   in Loop: Header=BB11_4 Depth=1
	s_or_b64 exec, exec, s[8:9]
	s_and_saveexec_b64 s[8:9], s[0:1]
	s_cbranch_execnz .LBB11_17
.LBB11_13:                              ;   in Loop: Header=BB11_4 Depth=1
	s_or_b64 exec, exec, s[8:9]
	s_and_saveexec_b64 s[0:1], s[2:3]
	s_cbranch_execnz .LBB11_18
.LBB11_14:                              ;   in Loop: Header=BB11_4 Depth=1
	s_or_b64 exec, exec, s[0:1]
	s_and_saveexec_b64 s[0:1], s[6:7]
	s_cbranch_execz .LBB11_3
	s_branch .LBB11_19
.LBB11_15:                              ;   in Loop: Header=BB11_4 Depth=1
	v_mov_b32_e32 v17, s27
	v_add_co_u32_e64 v22, s[8:9], s26, v4
	v_addc_co_u32_e64 v23, s[8:9], v5, v17, s[8:9]
	global_load_ushort v17, v[22:23], off
	s_or_b64 exec, exec, s[20:21]
	s_and_saveexec_b64 s[8:9], vcc
	s_cbranch_execz .LBB11_12
.LBB11_16:                              ;   in Loop: Header=BB11_4 Depth=1
	s_waitcnt vmcnt(0)
	v_lshlrev_b32_e32 v18, 16, v18
	v_add_f32_e32 v18, s22, v18
	v_bfe_u32 v21, v18, 16, 1
	v_add3_u32 v21, v18, v21, s28
	v_lshrrev_b32_e32 v21, 16, v21
	v_cmp_o_f32_e32 vcc, v18, v18
	v_cndmask_b32_e32 v18, v16, v21, vcc
	global_store_short v[4:5], v18, off
	s_or_b64 exec, exec, s[8:9]
	s_and_saveexec_b64 s[8:9], s[0:1]
	s_cbranch_execz .LBB11_13
.LBB11_17:                              ;   in Loop: Header=BB11_4 Depth=1
	s_waitcnt vmcnt(0)
	v_lshlrev_b32_e32 v18, 16, v19
	v_add_f32_e32 v18, s22, v18
	v_bfe_u32 v19, v18, 16, 1
	v_add3_u32 v19, v18, v19, s28
	v_lshrrev_b32_e32 v19, 16, v19
	v_cmp_o_f32_e32 vcc, v18, v18
	v_cndmask_b32_e32 v18, v16, v19, vcc
	global_store_short v[6:7], v18, off
	s_or_b64 exec, exec, s[8:9]
	s_and_saveexec_b64 s[0:1], s[2:3]
	s_cbranch_execz .LBB11_14
.LBB11_18:                              ;   in Loop: Header=BB11_4 Depth=1
	s_waitcnt vmcnt(0)
	v_lshlrev_b32_e32 v18, 16, v20
	v_add_f32_e32 v18, s22, v18
	v_bfe_u32 v19, v18, 16, 1
	v_add3_u32 v19, v18, v19, s28
	v_lshrrev_b32_e32 v19, 16, v19
	v_cmp_o_f32_e32 vcc, v18, v18
	v_cndmask_b32_e32 v20, v16, v19, vcc
	v_mov_b32_e32 v19, s23
	v_add_co_u32_e32 v18, vcc, s24, v4
	v_addc_co_u32_e32 v19, vcc, v5, v19, vcc
	global_store_short v[18:19], v20, off
	s_or_b64 exec, exec, s[0:1]
	s_and_saveexec_b64 s[0:1], s[6:7]
	s_cbranch_execz .LBB11_3
.LBB11_19:                              ;   in Loop: Header=BB11_4 Depth=1
	s_waitcnt vmcnt(0)
	v_lshlrev_b32_e32 v17, 16, v17
	v_add_f32_e32 v17, s22, v17
	v_bfe_u32 v18, v17, 16, 1
	v_add3_u32 v18, v17, v18, s28
	v_lshrrev_b32_e32 v18, 16, v18
	v_cmp_o_f32_e32 vcc, v17, v17
	v_cndmask_b32_e32 v17, v16, v18, vcc
	v_mov_b32_e32 v19, s27
	v_add_co_u32_e32 v18, vcc, s26, v4
	v_addc_co_u32_e32 v19, vcc, v5, v19, vcc
	global_store_short v[18:19], v17, off
	s_branch .LBB11_3
.LBB11_20:
	s_cbranch_execz .LBB11_22
	s_branch .LBB11_25
.LBB11_21:
.LBB11_22:
	v_mov_b32_e32 v3, 0
	v_lshlrev_b32_e32 v2, 2, v0
	s_mov_b32 s0, 0
	v_cmp_gt_i64_e32 vcc, s[10:11], v[2:3]
	s_and_saveexec_b64 s[2:3], vcc
	s_cbranch_execz .LBB11_25
; %bb.23:
	s_load_dword s1, s[4:5], 0xd3c
	v_lshlrev_b32_e32 v1, 3, v0
	s_movk_i32 s8, 0x7fff
	s_mov_b64 s[4:5], 0xffff
	v_mov_b32_e32 v6, s0
	s_waitcnt lgkmcnt(0)
	s_and_b32 s1, s1, 0xffff
	s_add_u32 s2, s12, s14
	s_addc_u32 s3, s13, s15
	v_mov_b32_e32 v2, s3
	v_add_co_u32_e32 v4, vcc, s2, v1
	v_addc_co_u32_e32 v5, vcc, 0, v2, vcc
	s_lshl_b32 s6, s1, 3
	v_add_lshl_u32 v2, v0, s1, 2
	s_lshl_b32 s7, s1, 2
	s_mov_b64 s[2:3], 0
	v_mov_b32_e32 v0, 0x7fc00000
	v_mov_b32_e32 v1, 0x7fc0
	v_mov_b32_e32 v7, s0
.LBB11_24:                              ; =>This Inner Loop Header: Depth=1
	global_load_dwordx2 v[8:9], v[4:5], off
	v_cmp_le_i64_e32 vcc, s[10:11], v[2:3]
	v_cmp_lt_u64_e64 s[0:1], s[4:5], v[2:3]
	s_or_b64 s[0:1], vcc, s[0:1]
	s_and_b64 s[0:1], exec, s[0:1]
	s_or_b64 s[2:3], s[0:1], s[2:3]
	s_waitcnt vmcnt(0)
	v_lshlrev_b32_e32 v10, 16, v8
	v_and_b32_e32 v11, 0xffff0000, v8
	v_alignbit_b32 v8, v9, v8, 16
	v_and_b32_e32 v9, 0xffff0000, v9
	v_add_f32_e32 v9, s22, v9
	v_add_f32_e32 v11, s22, v11
	v_bfe_u32 v14, v9, 16, 1
	v_add_f32_e32 v10, s22, v10
	v_and_b32_e32 v8, 0xffff0000, v8
	v_bfe_u32 v13, v11, 16, 1
	v_add3_u32 v14, v9, v14, s8
	v_bfe_u32 v12, v10, 16, 1
	v_add_f32_e32 v8, s22, v8
	v_add3_u32 v13, v11, v13, s8
	v_and_b32_e32 v14, 0xffff0000, v14
	v_cmp_o_f32_e32 vcc, v9, v9
	v_add3_u32 v12, v10, v12, s8
	v_bfe_u32 v15, v8, 16, 1
	v_and_b32_e32 v13, 0xffff0000, v13
	v_cndmask_b32_e32 v9, v0, v14, vcc
	v_cmp_o_f32_e32 vcc, v11, v11
	v_lshrrev_b32_e32 v12, 16, v12
	v_add3_u32 v15, v8, v15, s8
	v_cndmask_b32_e32 v11, v0, v13, vcc
	v_cmp_o_f32_e32 vcc, v10, v10
	v_lshrrev_b32_e32 v15, 16, v15
	v_cndmask_b32_e32 v10, v1, v12, vcc
	v_cmp_o_f32_e32 vcc, v8, v8
	v_cndmask_b32_e32 v8, v1, v15, vcc
	v_or_b32_e32 v10, v10, v11
	v_or3_b32 v9, 0, v8, v9
	v_or3_b32 v8, v10, 0, 0
	global_store_dwordx2 v[4:5], v[8:9], off
	v_add_co_u32_e32 v4, vcc, s6, v4
	v_addc_co_u32_e32 v5, vcc, v5, v6, vcc
	v_add_co_u32_e32 v2, vcc, s7, v2
	v_addc_co_u32_e32 v3, vcc, v3, v7, vcc
	s_andn2_b64 exec, exec, s[2:3]
	s_cbranch_execnz .LBB11_24
.LBB11_25:
	s_endpgm
	.section	.rodata,"a",@progbits
	.p2align	6, 0x0
	.amdhsa_kernel _ZN2at6native12_GLOBAL__N_125multi_tensor_apply_kernelINS1_18TensorListMetadataILi1EEENS1_21BinaryOpScalarFunctorIN3c108BFloat16ELi1ELi1ELi0EEEJSt4plusIfEfEEEvT_T0_DpT1_
		.amdhsa_group_segment_fixed_size 0
		.amdhsa_private_segment_fixed_size 0
		.amdhsa_kernarg_size 3632
		.amdhsa_user_sgpr_count 6
		.amdhsa_user_sgpr_private_segment_buffer 1
		.amdhsa_user_sgpr_dispatch_ptr 0
		.amdhsa_user_sgpr_queue_ptr 0
		.amdhsa_user_sgpr_kernarg_segment_ptr 1
		.amdhsa_user_sgpr_dispatch_id 0
		.amdhsa_user_sgpr_flat_scratch_init 0
		.amdhsa_user_sgpr_kernarg_preload_length 0
		.amdhsa_user_sgpr_kernarg_preload_offset 0
		.amdhsa_user_sgpr_private_segment_size 0
		.amdhsa_uses_dynamic_stack 0
		.amdhsa_system_sgpr_private_segment_wavefront_offset 0
		.amdhsa_system_sgpr_workgroup_id_x 1
		.amdhsa_system_sgpr_workgroup_id_y 0
		.amdhsa_system_sgpr_workgroup_id_z 0
		.amdhsa_system_sgpr_workgroup_info 0
		.amdhsa_system_vgpr_workitem_id 0
		.amdhsa_next_free_vgpr 24
		.amdhsa_next_free_sgpr 29
		.amdhsa_accum_offset 24
		.amdhsa_reserve_vcc 1
		.amdhsa_reserve_flat_scratch 0
		.amdhsa_float_round_mode_32 0
		.amdhsa_float_round_mode_16_64 0
		.amdhsa_float_denorm_mode_32 3
		.amdhsa_float_denorm_mode_16_64 3
		.amdhsa_dx10_clamp 1
		.amdhsa_ieee_mode 1
		.amdhsa_fp16_overflow 0
		.amdhsa_tg_split 0
		.amdhsa_exception_fp_ieee_invalid_op 0
		.amdhsa_exception_fp_denorm_src 0
		.amdhsa_exception_fp_ieee_div_zero 0
		.amdhsa_exception_fp_ieee_overflow 0
		.amdhsa_exception_fp_ieee_underflow 0
		.amdhsa_exception_fp_ieee_inexact 0
		.amdhsa_exception_int_div_zero 0
	.end_amdhsa_kernel
	.section	.text._ZN2at6native12_GLOBAL__N_125multi_tensor_apply_kernelINS1_18TensorListMetadataILi1EEENS1_21BinaryOpScalarFunctorIN3c108BFloat16ELi1ELi1ELi0EEEJSt4plusIfEfEEEvT_T0_DpT1_,"axG",@progbits,_ZN2at6native12_GLOBAL__N_125multi_tensor_apply_kernelINS1_18TensorListMetadataILi1EEENS1_21BinaryOpScalarFunctorIN3c108BFloat16ELi1ELi1ELi0EEEJSt4plusIfEfEEEvT_T0_DpT1_,comdat
.Lfunc_end11:
	.size	_ZN2at6native12_GLOBAL__N_125multi_tensor_apply_kernelINS1_18TensorListMetadataILi1EEENS1_21BinaryOpScalarFunctorIN3c108BFloat16ELi1ELi1ELi0EEEJSt4plusIfEfEEEvT_T0_DpT1_, .Lfunc_end11-_ZN2at6native12_GLOBAL__N_125multi_tensor_apply_kernelINS1_18TensorListMetadataILi1EEENS1_21BinaryOpScalarFunctorIN3c108BFloat16ELi1ELi1ELi0EEEJSt4plusIfEfEEEvT_T0_DpT1_
                                        ; -- End function
	.section	.AMDGPU.csdata,"",@progbits
; Kernel info:
; codeLenInByte = 1340
; NumSgprs: 33
; NumVgprs: 24
; NumAgprs: 0
; TotalNumVgprs: 24
; ScratchSize: 0
; MemoryBound: 0
; FloatMode: 240
; IeeeMode: 1
; LDSByteSize: 0 bytes/workgroup (compile time only)
; SGPRBlocks: 4
; VGPRBlocks: 2
; NumSGPRsForWavesPerEU: 33
; NumVGPRsForWavesPerEU: 24
; AccumOffset: 24
; Occupancy: 8
; WaveLimiterHint : 0
; COMPUTE_PGM_RSRC2:SCRATCH_EN: 0
; COMPUTE_PGM_RSRC2:USER_SGPR: 6
; COMPUTE_PGM_RSRC2:TRAP_HANDLER: 0
; COMPUTE_PGM_RSRC2:TGID_X_EN: 1
; COMPUTE_PGM_RSRC2:TGID_Y_EN: 0
; COMPUTE_PGM_RSRC2:TGID_Z_EN: 0
; COMPUTE_PGM_RSRC2:TIDIG_COMP_CNT: 0
; COMPUTE_PGM_RSRC3_GFX90A:ACCUM_OFFSET: 5
; COMPUTE_PGM_RSRC3_GFX90A:TG_SPLIT: 0
	.section	.text._ZN2at6native12_GLOBAL__N_125multi_tensor_apply_kernelINS1_18TensorListMetadataILi2EEENS1_21BinaryOpScalarFunctorIhLi2ELi1ELi1EEEJSt4plusIhEhEEEvT_T0_DpT1_,"axG",@progbits,_ZN2at6native12_GLOBAL__N_125multi_tensor_apply_kernelINS1_18TensorListMetadataILi2EEENS1_21BinaryOpScalarFunctorIhLi2ELi1ELi1EEEJSt4plusIhEhEEEvT_T0_DpT1_,comdat
	.globl	_ZN2at6native12_GLOBAL__N_125multi_tensor_apply_kernelINS1_18TensorListMetadataILi2EEENS1_21BinaryOpScalarFunctorIhLi2ELi1ELi1EEEJSt4plusIhEhEEEvT_T0_DpT1_ ; -- Begin function _ZN2at6native12_GLOBAL__N_125multi_tensor_apply_kernelINS1_18TensorListMetadataILi2EEENS1_21BinaryOpScalarFunctorIhLi2ELi1ELi1EEEJSt4plusIhEhEEEvT_T0_DpT1_
	.p2align	8
	.type	_ZN2at6native12_GLOBAL__N_125multi_tensor_apply_kernelINS1_18TensorListMetadataILi2EEENS1_21BinaryOpScalarFunctorIhLi2ELi1ELi1EEEJSt4plusIhEhEEEvT_T0_DpT1_,@function
_ZN2at6native12_GLOBAL__N_125multi_tensor_apply_kernelINS1_18TensorListMetadataILi2EEENS1_21BinaryOpScalarFunctorIhLi2ELi1ELi1EEEJSt4plusIhEhEEEvT_T0_DpT1_: ; @_ZN2at6native12_GLOBAL__N_125multi_tensor_apply_kernelINS1_18TensorListMetadataILi2EEENS1_21BinaryOpScalarFunctorIhLi2ELi1ELi1EEEJSt4plusIhEhEEEvT_T0_DpT1_
; %bb.0:
	v_mov_b32_e32 v1, s6
	global_load_ubyte v1, v1, s[4:5] offset:1536
	s_add_u32 s0, s4, s6
	s_mul_hi_u32 s1, s6, 3
	s_mul_i32 s6, s6, 3
	s_addc_u32 s2, s5, 0
	s_add_u32 s0, s0, s6
	s_addc_u32 s1, s2, s1
	s_load_dword s6, s[0:1], 0x740
	s_waitcnt vmcnt(0)
	v_readfirstlane_b32 s0, v1
	s_lshl_b32 s7, s0, 3
	s_load_dwordx2 s[0:1], s[4:5], s7 offset:0x0
	s_load_dword s21, s[4:5], 0xc48
	s_load_dwordx2 s[8:9], s[4:5], s7 offset:0x400
	s_load_dwordx2 s[2:3], s[4:5], s7 offset:0x200
	s_waitcnt lgkmcnt(0)
	s_ashr_i32 s7, s6, 31
	s_lshl_b64 s[6:7], s[6:7], 16
	s_add_u32 s10, s0, s6
	s_addc_u32 s11, s1, s7
	s_add_u32 s20, s2, s6
	s_addc_u32 s22, s3, s7
	s_or_b64 s[12:13], s[8:9], s[10:11]
	s_or_b32 s12, s20, s12
	s_and_b32 s14, s12, 3
	s_sub_u32 s12, s8, s6
	s_subb_u32 s13, s9, s7
	s_cmp_eq_u32 s14, 0
	s_mov_b64 s[8:9], -1
	s_cbranch_scc1 .LBB12_21
; %bb.1:
	v_cmp_lt_i64_e64 s[8:9], s[12:13], 1
	s_and_b64 vcc, exec, s[8:9]
	s_cbranch_vccnz .LBB12_20
; %bb.2:
	s_load_dword s8, s[4:5], 0xc5c
	v_mov_b32_e32 v2, 0x10000
	v_mov_b32_e32 v3, 0
	v_cmp_lt_u64_e32 vcc, s[12:13], v[2:3]
	v_mov_b32_e32 v1, s7
	s_waitcnt lgkmcnt(0)
	s_and_b32 s16, s8, 0xffff
	s_and_b64 s[8:9], vcc, exec
	v_add_co_u32_e32 v2, vcc, s6, v0
	v_addc_co_u32_e32 v3, vcc, 0, v1, vcc
	v_mov_b32_e32 v20, s1
	v_add_co_u32_e32 v1, vcc, s0, v2
	s_cselect_b32 s15, s13, 0
	s_cselect_b32 s14, s12, 0x10000
	s_lshl_b32 s17, s16, 1
	s_mul_i32 s8, s16, 3
	s_lshl_b32 s23, s16, 2
	v_addc_co_u32_e32 v4, vcc, v20, v3, vcc
	v_mov_b32_e32 v22, s3
	v_add_co_u32_e32 v5, vcc, s2, v2
	s_add_u32 s1, s6, s8
	v_addc_co_u32_e32 v6, vcc, v22, v3, vcc
	s_addc_u32 s3, s7, 0
	v_mov_b32_e32 v7, s3
	v_add_co_u32_e32 v9, vcc, s1, v0
	v_addc_co_u32_e32 v10, vcc, 0, v7, vcc
	v_add_co_u32_e32 v7, vcc, s0, v9
	v_addc_co_u32_e32 v8, vcc, v20, v10, vcc
	;; [unrolled: 2-line block ×3, first 2 shown]
	s_add_u32 s1, s6, s17
	v_add_co_u32_e32 v11, vcc, s8, v0
	s_addc_u32 s3, s7, 0
	v_addc_co_u32_e64 v12, s[8:9], 0, 0, vcc
	v_mov_b32_e32 v13, s3
	v_add_co_u32_e32 v15, vcc, s1, v0
	v_addc_co_u32_e32 v16, vcc, 0, v13, vcc
	v_add_co_u32_e32 v13, vcc, s0, v15
	v_addc_co_u32_e32 v14, vcc, v20, v16, vcc
	;; [unrolled: 2-line block ×3, first 2 shown]
	v_add_co_u32_e32 v17, vcc, s17, v0
	v_addc_co_u32_e64 v18, s[6:7], 0, 0, vcc
	v_add_co_u32_e32 v2, vcc, s16, v2
	v_addc_co_u32_e32 v3, vcc, 0, v3, vcc
	v_add_co_u32_e32 v19, vcc, s0, v2
	v_addc_co_u32_e32 v20, vcc, v20, v3, vcc
	v_add_co_u32_e32 v21, vcc, s2, v2
	v_addc_co_u32_e32 v22, vcc, v22, v3, vcc
	v_add_co_u32_e32 v23, vcc, s16, v0
	v_addc_co_u32_e64 v24, s[0:1], 0, 0, vcc
	s_mov_b64 s[16:17], 0
	s_lshr_b32 s24, s21, 16
	v_pk_mov_b32 v[2:3], s[12:13], s[12:13] op_sel:[0,1]
	s_branch .LBB12_4
.LBB12_3:                               ;   in Loop: Header=BB12_4 Depth=1
	s_or_b64 exec, exec, s[0:1]
	s_add_u32 s16, s16, s23
	s_waitcnt vmcnt(0)
	v_mov_b32_e32 v26, 0x10000
	s_addc_u32 s17, s17, 0
	v_mov_b32_e32 v27, 0
	v_cmp_lt_i64_e32 vcc, s[16:17], v[2:3]
	v_cmp_lt_u64_e64 s[0:1], s[16:17], v[26:27]
	s_and_b64 s[0:1], vcc, s[0:1]
	s_and_b64 vcc, exec, s[0:1]
	s_cbranch_vccz .LBB12_20
.LBB12_4:                               ; =>This Inner Loop Header: Depth=1
	v_mov_b32_e32 v25, s17
	v_add_co_u32_e32 v26, vcc, s16, v0
	v_addc_co_u32_e32 v27, vcc, 0, v25, vcc
	v_cmp_gt_u64_e32 vcc, s[14:15], v[26:27]
	v_mov_b32_e32 v25, 0
	s_and_saveexec_b64 s[2:3], vcc
	s_cbranch_execz .LBB12_6
; %bb.5:                                ;   in Loop: Header=BB12_4 Depth=1
	v_mov_b32_e32 v25, s17
	v_add_co_u32_e64 v26, s[0:1], s16, v1
	v_addc_co_u32_e64 v27, s[0:1], v4, v25, s[0:1]
	global_load_ubyte v25, v[26:27], off
.LBB12_6:                               ;   in Loop: Header=BB12_4 Depth=1
	s_or_b64 exec, exec, s[2:3]
	v_mov_b32_e32 v27, s17
	v_add_co_u32_e64 v26, s[0:1], s16, v23
	v_addc_co_u32_e64 v27, s[0:1], v24, v27, s[0:1]
	v_cmp_gt_u64_e64 s[0:1], s[14:15], v[26:27]
	v_mov_b32_e32 v27, 0
	s_and_saveexec_b64 s[6:7], s[0:1]
	s_cbranch_execz .LBB12_8
; %bb.7:                                ;   in Loop: Header=BB12_4 Depth=1
	v_mov_b32_e32 v27, s17
	v_add_co_u32_e64 v26, s[2:3], s16, v19
	v_addc_co_u32_e64 v27, s[2:3], v20, v27, s[2:3]
	global_load_ubyte v27, v[26:27], off
.LBB12_8:                               ;   in Loop: Header=BB12_4 Depth=1
	s_or_b64 exec, exec, s[6:7]
	v_mov_b32_e32 v26, s17
	v_add_co_u32_e64 v28, s[2:3], s16, v17
	v_addc_co_u32_e64 v29, s[2:3], v18, v26, s[2:3]
	v_cmp_gt_u64_e64 s[2:3], s[14:15], v[28:29]
	v_mov_b32_e32 v26, 0
	v_mov_b32_e32 v28, 0
	s_and_saveexec_b64 s[8:9], s[2:3]
	s_cbranch_execz .LBB12_10
; %bb.9:                                ;   in Loop: Header=BB12_4 Depth=1
	v_mov_b32_e32 v29, s17
	v_add_co_u32_e64 v28, s[6:7], s16, v13
	v_addc_co_u32_e64 v29, s[6:7], v14, v29, s[6:7]
	global_load_ubyte v28, v[28:29], off
.LBB12_10:                              ;   in Loop: Header=BB12_4 Depth=1
	s_or_b64 exec, exec, s[8:9]
	v_mov_b32_e32 v29, s17
	v_add_co_u32_e64 v30, s[6:7], s16, v11
	v_addc_co_u32_e64 v31, s[6:7], v12, v29, s[6:7]
	v_cmp_gt_u64_e64 s[6:7], s[14:15], v[30:31]
	s_and_saveexec_b64 s[18:19], s[6:7]
	s_cbranch_execnz .LBB12_15
; %bb.11:                               ;   in Loop: Header=BB12_4 Depth=1
	s_or_b64 exec, exec, s[18:19]
	s_and_saveexec_b64 s[8:9], vcc
	s_cbranch_execnz .LBB12_16
.LBB12_12:                              ;   in Loop: Header=BB12_4 Depth=1
	s_or_b64 exec, exec, s[8:9]
	s_and_saveexec_b64 s[8:9], s[0:1]
	s_cbranch_execnz .LBB12_17
.LBB12_13:                              ;   in Loop: Header=BB12_4 Depth=1
	s_or_b64 exec, exec, s[8:9]
	s_and_saveexec_b64 s[0:1], s[2:3]
	s_cbranch_execnz .LBB12_18
.LBB12_14:                              ;   in Loop: Header=BB12_4 Depth=1
	s_or_b64 exec, exec, s[0:1]
	s_and_saveexec_b64 s[0:1], s[6:7]
	s_cbranch_execz .LBB12_3
	s_branch .LBB12_19
.LBB12_15:                              ;   in Loop: Header=BB12_4 Depth=1
	v_mov_b32_e32 v26, s17
	v_add_co_u32_e64 v30, s[8:9], s16, v7
	v_addc_co_u32_e64 v31, s[8:9], v8, v26, s[8:9]
	global_load_ubyte v26, v[30:31], off
	s_or_b64 exec, exec, s[18:19]
	s_and_saveexec_b64 s[8:9], vcc
	s_cbranch_execz .LBB12_12
.LBB12_16:                              ;   in Loop: Header=BB12_4 Depth=1
	v_mov_b32_e32 v29, s17
	v_add_co_u32_e32 v30, vcc, s16, v5
	s_waitcnt vmcnt(0)
	v_add_u16_e32 v25, s24, v25
	v_addc_co_u32_e32 v31, vcc, v6, v29, vcc
	global_store_byte v[30:31], v25, off
	s_or_b64 exec, exec, s[8:9]
	s_and_saveexec_b64 s[8:9], s[0:1]
	s_cbranch_execz .LBB12_13
.LBB12_17:                              ;   in Loop: Header=BB12_4 Depth=1
	s_waitcnt vmcnt(0)
	v_add_u16_e32 v25, s24, v27
	v_mov_b32_e32 v27, s17
	v_add_co_u32_e32 v30, vcc, s16, v21
	v_addc_co_u32_e32 v31, vcc, v22, v27, vcc
	global_store_byte v[30:31], v25, off
	s_or_b64 exec, exec, s[8:9]
	s_and_saveexec_b64 s[0:1], s[2:3]
	s_cbranch_execz .LBB12_14
.LBB12_18:                              ;   in Loop: Header=BB12_4 Depth=1
	s_waitcnt vmcnt(0)
	v_add_u16_e32 v25, s24, v28
	v_mov_b32_e32 v27, s17
	v_add_co_u32_e32 v28, vcc, s16, v15
	v_addc_co_u32_e32 v29, vcc, v16, v27, vcc
	global_store_byte v[28:29], v25, off
	s_or_b64 exec, exec, s[0:1]
	s_and_saveexec_b64 s[0:1], s[6:7]
	s_cbranch_execz .LBB12_3
.LBB12_19:                              ;   in Loop: Header=BB12_4 Depth=1
	s_waitcnt vmcnt(0)
	v_add_u16_e32 v25, s24, v26
	v_mov_b32_e32 v27, s17
	v_add_co_u32_e32 v26, vcc, s16, v9
	v_addc_co_u32_e32 v27, vcc, v10, v27, vcc
	global_store_byte v[26:27], v25, off
	s_branch .LBB12_3
.LBB12_20:
	s_mov_b64 s[8:9], 0
.LBB12_21:
	s_andn2_b64 vcc, exec, s[8:9]
	s_cbranch_vccnz .LBB12_25
; %bb.22:
	v_lshlrev_b32_e32 v0, 2, v0
	v_mov_b32_e32 v1, 0
	v_cmp_gt_i64_e32 vcc, s[12:13], v[0:1]
	s_and_saveexec_b64 s[0:1], vcc
	s_cbranch_execz .LBB12_25
; %bb.23:
	s_load_dword s0, s[4:5], 0xc5c
	s_mov_b32 s1, 0
	s_mov_b64 s[2:3], 0
	s_lshr_b32 s6, s21, 16
	v_mov_b32_e32 v2, s11
	s_waitcnt lgkmcnt(0)
	s_and_b32 s0, s0, 0xffff
	s_lshl_b32 s7, s0, 2
	v_mov_b32_e32 v3, s22
	v_mov_b32_e32 v4, s1
	s_mov_b64 s[4:5], 0xffff
	v_mov_b32_e32 v5, 8
.LBB12_24:                              ; =>This Inner Loop Header: Depth=1
	v_add_co_u32_e32 v6, vcc, s10, v0
	v_addc_co_u32_e32 v7, vcc, v2, v1, vcc
	global_load_dword v8, v[6:7], off
	v_add_co_u32_e32 v6, vcc, s20, v0
	v_addc_co_u32_e32 v7, vcc, v3, v1, vcc
	v_add_co_u32_e32 v0, vcc, s7, v0
	v_addc_co_u32_e32 v1, vcc, v4, v1, vcc
	v_cmp_le_i64_e32 vcc, s[12:13], v[0:1]
	v_cmp_lt_u64_e64 s[0:1], s[4:5], v[0:1]
	s_or_b64 s[0:1], vcc, s[0:1]
	s_and_b64 s[0:1], exec, s[0:1]
	s_or_b64 s[2:3], s[0:1], s[2:3]
	s_waitcnt vmcnt(0)
	v_add_u16_sdwa v11, v8, s6 dst_sel:DWORD dst_unused:UNUSED_PAD src0_sel:WORD_1 src1_sel:DWORD
	v_lshrrev_b32_e32 v10, 8, v8
	v_and_b32_e32 v11, 0xff, v11
	v_add_u16_e32 v9, s6, v8
	v_add_u16_sdwa v8, v8, s6 dst_sel:DWORD dst_unused:UNUSED_PAD src0_sel:BYTE_3 src1_sel:DWORD
	v_add_u16_e32 v10, s6, v10
	v_lshlrev_b32_e32 v11, 16, v11
	v_and_b32_e32 v9, 0xff, v9
	v_lshlrev_b32_sdwa v10, v5, v10 dst_sel:DWORD dst_unused:UNUSED_PAD src0_sel:DWORD src1_sel:BYTE_0
	v_lshl_or_b32 v8, v8, 24, v11
	v_or3_b32 v8, v8, v10, v9
	global_store_dword v[6:7], v8, off
	s_andn2_b64 exec, exec, s[2:3]
	s_cbranch_execnz .LBB12_24
.LBB12_25:
	s_endpgm
	.section	.rodata,"a",@progbits
	.p2align	6, 0x0
	.amdhsa_kernel _ZN2at6native12_GLOBAL__N_125multi_tensor_apply_kernelINS1_18TensorListMetadataILi2EEENS1_21BinaryOpScalarFunctorIhLi2ELi1ELi1EEEJSt4plusIhEhEEEvT_T0_DpT1_
		.amdhsa_group_segment_fixed_size 0
		.amdhsa_private_segment_fixed_size 0
		.amdhsa_kernarg_size 3408
		.amdhsa_user_sgpr_count 6
		.amdhsa_user_sgpr_private_segment_buffer 1
		.amdhsa_user_sgpr_dispatch_ptr 0
		.amdhsa_user_sgpr_queue_ptr 0
		.amdhsa_user_sgpr_kernarg_segment_ptr 1
		.amdhsa_user_sgpr_dispatch_id 0
		.amdhsa_user_sgpr_flat_scratch_init 0
		.amdhsa_user_sgpr_kernarg_preload_length 0
		.amdhsa_user_sgpr_kernarg_preload_offset 0
		.amdhsa_user_sgpr_private_segment_size 0
		.amdhsa_uses_dynamic_stack 0
		.amdhsa_system_sgpr_private_segment_wavefront_offset 0
		.amdhsa_system_sgpr_workgroup_id_x 1
		.amdhsa_system_sgpr_workgroup_id_y 0
		.amdhsa_system_sgpr_workgroup_id_z 0
		.amdhsa_system_sgpr_workgroup_info 0
		.amdhsa_system_vgpr_workitem_id 0
		.amdhsa_next_free_vgpr 32
		.amdhsa_next_free_sgpr 25
		.amdhsa_accum_offset 32
		.amdhsa_reserve_vcc 1
		.amdhsa_reserve_flat_scratch 0
		.amdhsa_float_round_mode_32 0
		.amdhsa_float_round_mode_16_64 0
		.amdhsa_float_denorm_mode_32 3
		.amdhsa_float_denorm_mode_16_64 3
		.amdhsa_dx10_clamp 1
		.amdhsa_ieee_mode 1
		.amdhsa_fp16_overflow 0
		.amdhsa_tg_split 0
		.amdhsa_exception_fp_ieee_invalid_op 0
		.amdhsa_exception_fp_denorm_src 0
		.amdhsa_exception_fp_ieee_div_zero 0
		.amdhsa_exception_fp_ieee_overflow 0
		.amdhsa_exception_fp_ieee_underflow 0
		.amdhsa_exception_fp_ieee_inexact 0
		.amdhsa_exception_int_div_zero 0
	.end_amdhsa_kernel
	.section	.text._ZN2at6native12_GLOBAL__N_125multi_tensor_apply_kernelINS1_18TensorListMetadataILi2EEENS1_21BinaryOpScalarFunctorIhLi2ELi1ELi1EEEJSt4plusIhEhEEEvT_T0_DpT1_,"axG",@progbits,_ZN2at6native12_GLOBAL__N_125multi_tensor_apply_kernelINS1_18TensorListMetadataILi2EEENS1_21BinaryOpScalarFunctorIhLi2ELi1ELi1EEEJSt4plusIhEhEEEvT_T0_DpT1_,comdat
.Lfunc_end12:
	.size	_ZN2at6native12_GLOBAL__N_125multi_tensor_apply_kernelINS1_18TensorListMetadataILi2EEENS1_21BinaryOpScalarFunctorIhLi2ELi1ELi1EEEJSt4plusIhEhEEEvT_T0_DpT1_, .Lfunc_end12-_ZN2at6native12_GLOBAL__N_125multi_tensor_apply_kernelINS1_18TensorListMetadataILi2EEENS1_21BinaryOpScalarFunctorIhLi2ELi1ELi1EEEJSt4plusIhEhEEEvT_T0_DpT1_
                                        ; -- End function
	.section	.AMDGPU.csdata,"",@progbits
; Kernel info:
; codeLenInByte = 1200
; NumSgprs: 29
; NumVgprs: 32
; NumAgprs: 0
; TotalNumVgprs: 32
; ScratchSize: 0
; MemoryBound: 0
; FloatMode: 240
; IeeeMode: 1
; LDSByteSize: 0 bytes/workgroup (compile time only)
; SGPRBlocks: 3
; VGPRBlocks: 3
; NumSGPRsForWavesPerEU: 29
; NumVGPRsForWavesPerEU: 32
; AccumOffset: 32
; Occupancy: 8
; WaveLimiterHint : 0
; COMPUTE_PGM_RSRC2:SCRATCH_EN: 0
; COMPUTE_PGM_RSRC2:USER_SGPR: 6
; COMPUTE_PGM_RSRC2:TRAP_HANDLER: 0
; COMPUTE_PGM_RSRC2:TGID_X_EN: 1
; COMPUTE_PGM_RSRC2:TGID_Y_EN: 0
; COMPUTE_PGM_RSRC2:TGID_Z_EN: 0
; COMPUTE_PGM_RSRC2:TIDIG_COMP_CNT: 0
; COMPUTE_PGM_RSRC3_GFX90A:ACCUM_OFFSET: 7
; COMPUTE_PGM_RSRC3_GFX90A:TG_SPLIT: 0
	.section	.text._ZN2at6native12_GLOBAL__N_125multi_tensor_apply_kernelINS1_18TensorListMetadataILi2EEENS1_21BinaryOpScalarFunctorIaLi2ELi1ELi1EEEJSt4plusIaEaEEEvT_T0_DpT1_,"axG",@progbits,_ZN2at6native12_GLOBAL__N_125multi_tensor_apply_kernelINS1_18TensorListMetadataILi2EEENS1_21BinaryOpScalarFunctorIaLi2ELi1ELi1EEEJSt4plusIaEaEEEvT_T0_DpT1_,comdat
	.globl	_ZN2at6native12_GLOBAL__N_125multi_tensor_apply_kernelINS1_18TensorListMetadataILi2EEENS1_21BinaryOpScalarFunctorIaLi2ELi1ELi1EEEJSt4plusIaEaEEEvT_T0_DpT1_ ; -- Begin function _ZN2at6native12_GLOBAL__N_125multi_tensor_apply_kernelINS1_18TensorListMetadataILi2EEENS1_21BinaryOpScalarFunctorIaLi2ELi1ELi1EEEJSt4plusIaEaEEEvT_T0_DpT1_
	.p2align	8
	.type	_ZN2at6native12_GLOBAL__N_125multi_tensor_apply_kernelINS1_18TensorListMetadataILi2EEENS1_21BinaryOpScalarFunctorIaLi2ELi1ELi1EEEJSt4plusIaEaEEEvT_T0_DpT1_,@function
_ZN2at6native12_GLOBAL__N_125multi_tensor_apply_kernelINS1_18TensorListMetadataILi2EEENS1_21BinaryOpScalarFunctorIaLi2ELi1ELi1EEEJSt4plusIaEaEEEvT_T0_DpT1_: ; @_ZN2at6native12_GLOBAL__N_125multi_tensor_apply_kernelINS1_18TensorListMetadataILi2EEENS1_21BinaryOpScalarFunctorIaLi2ELi1ELi1EEEJSt4plusIaEaEEEvT_T0_DpT1_
; %bb.0:
	v_mov_b32_e32 v1, s6
	global_load_ubyte v1, v1, s[4:5] offset:1536
	s_add_u32 s0, s4, s6
	s_mul_hi_u32 s1, s6, 3
	s_mul_i32 s6, s6, 3
	s_addc_u32 s2, s5, 0
	s_add_u32 s0, s0, s6
	s_addc_u32 s1, s2, s1
	s_load_dword s6, s[0:1], 0x740
	s_waitcnt vmcnt(0)
	v_readfirstlane_b32 s0, v1
	s_lshl_b32 s7, s0, 3
	s_load_dwordx2 s[0:1], s[4:5], s7 offset:0x0
	s_load_dword s21, s[4:5], 0xc48
	s_load_dwordx2 s[8:9], s[4:5], s7 offset:0x400
	s_load_dwordx2 s[2:3], s[4:5], s7 offset:0x200
	s_waitcnt lgkmcnt(0)
	s_ashr_i32 s7, s6, 31
	s_lshl_b64 s[6:7], s[6:7], 16
	s_add_u32 s10, s0, s6
	s_addc_u32 s11, s1, s7
	s_add_u32 s20, s2, s6
	s_addc_u32 s22, s3, s7
	s_or_b64 s[12:13], s[8:9], s[10:11]
	s_or_b32 s12, s20, s12
	s_and_b32 s14, s12, 3
	s_sub_u32 s12, s8, s6
	s_subb_u32 s13, s9, s7
	s_cmp_eq_u32 s14, 0
	s_mov_b64 s[8:9], -1
	s_cbranch_scc1 .LBB13_21
; %bb.1:
	v_cmp_lt_i64_e64 s[8:9], s[12:13], 1
	s_and_b64 vcc, exec, s[8:9]
	s_cbranch_vccnz .LBB13_20
; %bb.2:
	s_load_dword s8, s[4:5], 0xc5c
	v_mov_b32_e32 v2, 0x10000
	v_mov_b32_e32 v3, 0
	v_cmp_lt_u64_e32 vcc, s[12:13], v[2:3]
	v_mov_b32_e32 v1, s7
	s_waitcnt lgkmcnt(0)
	s_and_b32 s16, s8, 0xffff
	s_and_b64 s[8:9], vcc, exec
	v_add_co_u32_e32 v2, vcc, s6, v0
	v_addc_co_u32_e32 v3, vcc, 0, v1, vcc
	v_mov_b32_e32 v20, s1
	v_add_co_u32_e32 v1, vcc, s0, v2
	s_cselect_b32 s15, s13, 0
	s_cselect_b32 s14, s12, 0x10000
	s_lshl_b32 s17, s16, 1
	s_mul_i32 s8, s16, 3
	s_lshl_b32 s23, s16, 2
	v_addc_co_u32_e32 v4, vcc, v20, v3, vcc
	v_mov_b32_e32 v22, s3
	v_add_co_u32_e32 v5, vcc, s2, v2
	s_add_u32 s1, s6, s8
	v_addc_co_u32_e32 v6, vcc, v22, v3, vcc
	s_addc_u32 s3, s7, 0
	v_mov_b32_e32 v7, s3
	v_add_co_u32_e32 v9, vcc, s1, v0
	v_addc_co_u32_e32 v10, vcc, 0, v7, vcc
	v_add_co_u32_e32 v7, vcc, s0, v9
	v_addc_co_u32_e32 v8, vcc, v20, v10, vcc
	;; [unrolled: 2-line block ×3, first 2 shown]
	s_add_u32 s1, s6, s17
	v_add_co_u32_e32 v11, vcc, s8, v0
	s_addc_u32 s3, s7, 0
	v_addc_co_u32_e64 v12, s[8:9], 0, 0, vcc
	v_mov_b32_e32 v13, s3
	v_add_co_u32_e32 v15, vcc, s1, v0
	v_addc_co_u32_e32 v16, vcc, 0, v13, vcc
	v_add_co_u32_e32 v13, vcc, s0, v15
	v_addc_co_u32_e32 v14, vcc, v20, v16, vcc
	;; [unrolled: 2-line block ×3, first 2 shown]
	v_add_co_u32_e32 v17, vcc, s17, v0
	v_addc_co_u32_e64 v18, s[6:7], 0, 0, vcc
	v_add_co_u32_e32 v2, vcc, s16, v2
	v_addc_co_u32_e32 v3, vcc, 0, v3, vcc
	v_add_co_u32_e32 v19, vcc, s0, v2
	v_addc_co_u32_e32 v20, vcc, v20, v3, vcc
	;; [unrolled: 2-line block ×3, first 2 shown]
	v_add_co_u32_e32 v23, vcc, s16, v0
	v_addc_co_u32_e64 v24, s[0:1], 0, 0, vcc
	s_mov_b64 s[16:17], 0
	s_lshr_b32 s24, s21, 16
	v_pk_mov_b32 v[2:3], s[12:13], s[12:13] op_sel:[0,1]
	s_branch .LBB13_4
.LBB13_3:                               ;   in Loop: Header=BB13_4 Depth=1
	s_or_b64 exec, exec, s[0:1]
	s_add_u32 s16, s16, s23
	s_waitcnt vmcnt(0)
	v_mov_b32_e32 v26, 0x10000
	s_addc_u32 s17, s17, 0
	v_mov_b32_e32 v27, 0
	v_cmp_lt_i64_e32 vcc, s[16:17], v[2:3]
	v_cmp_lt_u64_e64 s[0:1], s[16:17], v[26:27]
	s_and_b64 s[0:1], vcc, s[0:1]
	s_and_b64 vcc, exec, s[0:1]
	s_cbranch_vccz .LBB13_20
.LBB13_4:                               ; =>This Inner Loop Header: Depth=1
	v_mov_b32_e32 v25, s17
	v_add_co_u32_e32 v26, vcc, s16, v0
	v_addc_co_u32_e32 v27, vcc, 0, v25, vcc
	v_cmp_gt_u64_e32 vcc, s[14:15], v[26:27]
	v_mov_b32_e32 v25, 0
	s_and_saveexec_b64 s[2:3], vcc
	s_cbranch_execz .LBB13_6
; %bb.5:                                ;   in Loop: Header=BB13_4 Depth=1
	v_mov_b32_e32 v25, s17
	v_add_co_u32_e64 v26, s[0:1], s16, v1
	v_addc_co_u32_e64 v27, s[0:1], v4, v25, s[0:1]
	global_load_ubyte v25, v[26:27], off
.LBB13_6:                               ;   in Loop: Header=BB13_4 Depth=1
	s_or_b64 exec, exec, s[2:3]
	v_mov_b32_e32 v27, s17
	v_add_co_u32_e64 v26, s[0:1], s16, v23
	v_addc_co_u32_e64 v27, s[0:1], v24, v27, s[0:1]
	v_cmp_gt_u64_e64 s[0:1], s[14:15], v[26:27]
	v_mov_b32_e32 v27, 0
	s_and_saveexec_b64 s[6:7], s[0:1]
	s_cbranch_execz .LBB13_8
; %bb.7:                                ;   in Loop: Header=BB13_4 Depth=1
	v_mov_b32_e32 v27, s17
	v_add_co_u32_e64 v26, s[2:3], s16, v19
	v_addc_co_u32_e64 v27, s[2:3], v20, v27, s[2:3]
	global_load_ubyte v27, v[26:27], off
.LBB13_8:                               ;   in Loop: Header=BB13_4 Depth=1
	s_or_b64 exec, exec, s[6:7]
	v_mov_b32_e32 v26, s17
	v_add_co_u32_e64 v28, s[2:3], s16, v17
	v_addc_co_u32_e64 v29, s[2:3], v18, v26, s[2:3]
	v_cmp_gt_u64_e64 s[2:3], s[14:15], v[28:29]
	v_mov_b32_e32 v26, 0
	v_mov_b32_e32 v28, 0
	s_and_saveexec_b64 s[8:9], s[2:3]
	s_cbranch_execz .LBB13_10
; %bb.9:                                ;   in Loop: Header=BB13_4 Depth=1
	v_mov_b32_e32 v29, s17
	v_add_co_u32_e64 v28, s[6:7], s16, v13
	v_addc_co_u32_e64 v29, s[6:7], v14, v29, s[6:7]
	global_load_ubyte v28, v[28:29], off
.LBB13_10:                              ;   in Loop: Header=BB13_4 Depth=1
	s_or_b64 exec, exec, s[8:9]
	v_mov_b32_e32 v29, s17
	v_add_co_u32_e64 v30, s[6:7], s16, v11
	v_addc_co_u32_e64 v31, s[6:7], v12, v29, s[6:7]
	v_cmp_gt_u64_e64 s[6:7], s[14:15], v[30:31]
	s_and_saveexec_b64 s[18:19], s[6:7]
	s_cbranch_execnz .LBB13_15
; %bb.11:                               ;   in Loop: Header=BB13_4 Depth=1
	s_or_b64 exec, exec, s[18:19]
	s_and_saveexec_b64 s[8:9], vcc
	s_cbranch_execnz .LBB13_16
.LBB13_12:                              ;   in Loop: Header=BB13_4 Depth=1
	s_or_b64 exec, exec, s[8:9]
	s_and_saveexec_b64 s[8:9], s[0:1]
	s_cbranch_execnz .LBB13_17
.LBB13_13:                              ;   in Loop: Header=BB13_4 Depth=1
	s_or_b64 exec, exec, s[8:9]
	s_and_saveexec_b64 s[0:1], s[2:3]
	s_cbranch_execnz .LBB13_18
.LBB13_14:                              ;   in Loop: Header=BB13_4 Depth=1
	s_or_b64 exec, exec, s[0:1]
	s_and_saveexec_b64 s[0:1], s[6:7]
	s_cbranch_execz .LBB13_3
	s_branch .LBB13_19
.LBB13_15:                              ;   in Loop: Header=BB13_4 Depth=1
	v_mov_b32_e32 v26, s17
	v_add_co_u32_e64 v30, s[8:9], s16, v7
	v_addc_co_u32_e64 v31, s[8:9], v8, v26, s[8:9]
	global_load_ubyte v26, v[30:31], off
	s_or_b64 exec, exec, s[18:19]
	s_and_saveexec_b64 s[8:9], vcc
	s_cbranch_execz .LBB13_12
.LBB13_16:                              ;   in Loop: Header=BB13_4 Depth=1
	v_mov_b32_e32 v29, s17
	v_add_co_u32_e32 v30, vcc, s16, v5
	s_waitcnt vmcnt(0)
	v_add_u16_e32 v25, s24, v25
	v_addc_co_u32_e32 v31, vcc, v6, v29, vcc
	global_store_byte v[30:31], v25, off
	s_or_b64 exec, exec, s[8:9]
	s_and_saveexec_b64 s[8:9], s[0:1]
	s_cbranch_execz .LBB13_13
.LBB13_17:                              ;   in Loop: Header=BB13_4 Depth=1
	s_waitcnt vmcnt(0)
	v_add_u16_e32 v25, s24, v27
	v_mov_b32_e32 v27, s17
	v_add_co_u32_e32 v30, vcc, s16, v21
	v_addc_co_u32_e32 v31, vcc, v22, v27, vcc
	global_store_byte v[30:31], v25, off
	s_or_b64 exec, exec, s[8:9]
	s_and_saveexec_b64 s[0:1], s[2:3]
	s_cbranch_execz .LBB13_14
.LBB13_18:                              ;   in Loop: Header=BB13_4 Depth=1
	s_waitcnt vmcnt(0)
	v_add_u16_e32 v25, s24, v28
	v_mov_b32_e32 v27, s17
	v_add_co_u32_e32 v28, vcc, s16, v15
	v_addc_co_u32_e32 v29, vcc, v16, v27, vcc
	global_store_byte v[28:29], v25, off
	s_or_b64 exec, exec, s[0:1]
	s_and_saveexec_b64 s[0:1], s[6:7]
	s_cbranch_execz .LBB13_3
.LBB13_19:                              ;   in Loop: Header=BB13_4 Depth=1
	s_waitcnt vmcnt(0)
	v_add_u16_e32 v25, s24, v26
	v_mov_b32_e32 v27, s17
	v_add_co_u32_e32 v26, vcc, s16, v9
	v_addc_co_u32_e32 v27, vcc, v10, v27, vcc
	global_store_byte v[26:27], v25, off
	s_branch .LBB13_3
.LBB13_20:
	s_mov_b64 s[8:9], 0
.LBB13_21:
	s_andn2_b64 vcc, exec, s[8:9]
	s_cbranch_vccnz .LBB13_25
; %bb.22:
	v_lshlrev_b32_e32 v0, 2, v0
	v_mov_b32_e32 v1, 0
	v_cmp_gt_i64_e32 vcc, s[12:13], v[0:1]
	s_and_saveexec_b64 s[0:1], vcc
	s_cbranch_execz .LBB13_25
; %bb.23:
	s_load_dword s0, s[4:5], 0xc5c
	s_mov_b32 s1, 0
	s_mov_b64 s[2:3], 0
	s_lshr_b32 s6, s21, 16
	v_mov_b32_e32 v2, s11
	s_waitcnt lgkmcnt(0)
	s_and_b32 s0, s0, 0xffff
	s_lshl_b32 s7, s0, 2
	v_mov_b32_e32 v3, s22
	v_mov_b32_e32 v4, s1
	s_mov_b64 s[4:5], 0xffff
	v_mov_b32_e32 v5, 8
.LBB13_24:                              ; =>This Inner Loop Header: Depth=1
	v_add_co_u32_e32 v6, vcc, s10, v0
	v_addc_co_u32_e32 v7, vcc, v2, v1, vcc
	global_load_dword v8, v[6:7], off
	v_add_co_u32_e32 v6, vcc, s20, v0
	v_addc_co_u32_e32 v7, vcc, v3, v1, vcc
	v_add_co_u32_e32 v0, vcc, s7, v0
	v_addc_co_u32_e32 v1, vcc, v4, v1, vcc
	v_cmp_le_i64_e32 vcc, s[12:13], v[0:1]
	v_cmp_lt_u64_e64 s[0:1], s[4:5], v[0:1]
	s_or_b64 s[0:1], vcc, s[0:1]
	s_and_b64 s[0:1], exec, s[0:1]
	s_or_b64 s[2:3], s[0:1], s[2:3]
	s_waitcnt vmcnt(0)
	v_add_u16_sdwa v11, v8, s6 dst_sel:DWORD dst_unused:UNUSED_PAD src0_sel:WORD_1 src1_sel:DWORD
	v_lshrrev_b32_e32 v10, 8, v8
	v_and_b32_e32 v11, 0xff, v11
	v_add_u16_e32 v9, s6, v8
	v_add_u16_sdwa v8, v8, s6 dst_sel:DWORD dst_unused:UNUSED_PAD src0_sel:BYTE_3 src1_sel:DWORD
	v_add_u16_e32 v10, s6, v10
	v_lshlrev_b32_e32 v11, 16, v11
	v_and_b32_e32 v9, 0xff, v9
	v_lshlrev_b32_sdwa v10, v5, v10 dst_sel:DWORD dst_unused:UNUSED_PAD src0_sel:DWORD src1_sel:BYTE_0
	v_lshl_or_b32 v8, v8, 24, v11
	v_or3_b32 v8, v8, v10, v9
	global_store_dword v[6:7], v8, off
	s_andn2_b64 exec, exec, s[2:3]
	s_cbranch_execnz .LBB13_24
.LBB13_25:
	s_endpgm
	.section	.rodata,"a",@progbits
	.p2align	6, 0x0
	.amdhsa_kernel _ZN2at6native12_GLOBAL__N_125multi_tensor_apply_kernelINS1_18TensorListMetadataILi2EEENS1_21BinaryOpScalarFunctorIaLi2ELi1ELi1EEEJSt4plusIaEaEEEvT_T0_DpT1_
		.amdhsa_group_segment_fixed_size 0
		.amdhsa_private_segment_fixed_size 0
		.amdhsa_kernarg_size 3408
		.amdhsa_user_sgpr_count 6
		.amdhsa_user_sgpr_private_segment_buffer 1
		.amdhsa_user_sgpr_dispatch_ptr 0
		.amdhsa_user_sgpr_queue_ptr 0
		.amdhsa_user_sgpr_kernarg_segment_ptr 1
		.amdhsa_user_sgpr_dispatch_id 0
		.amdhsa_user_sgpr_flat_scratch_init 0
		.amdhsa_user_sgpr_kernarg_preload_length 0
		.amdhsa_user_sgpr_kernarg_preload_offset 0
		.amdhsa_user_sgpr_private_segment_size 0
		.amdhsa_uses_dynamic_stack 0
		.amdhsa_system_sgpr_private_segment_wavefront_offset 0
		.amdhsa_system_sgpr_workgroup_id_x 1
		.amdhsa_system_sgpr_workgroup_id_y 0
		.amdhsa_system_sgpr_workgroup_id_z 0
		.amdhsa_system_sgpr_workgroup_info 0
		.amdhsa_system_vgpr_workitem_id 0
		.amdhsa_next_free_vgpr 32
		.amdhsa_next_free_sgpr 25
		.amdhsa_accum_offset 32
		.amdhsa_reserve_vcc 1
		.amdhsa_reserve_flat_scratch 0
		.amdhsa_float_round_mode_32 0
		.amdhsa_float_round_mode_16_64 0
		.amdhsa_float_denorm_mode_32 3
		.amdhsa_float_denorm_mode_16_64 3
		.amdhsa_dx10_clamp 1
		.amdhsa_ieee_mode 1
		.amdhsa_fp16_overflow 0
		.amdhsa_tg_split 0
		.amdhsa_exception_fp_ieee_invalid_op 0
		.amdhsa_exception_fp_denorm_src 0
		.amdhsa_exception_fp_ieee_div_zero 0
		.amdhsa_exception_fp_ieee_overflow 0
		.amdhsa_exception_fp_ieee_underflow 0
		.amdhsa_exception_fp_ieee_inexact 0
		.amdhsa_exception_int_div_zero 0
	.end_amdhsa_kernel
	.section	.text._ZN2at6native12_GLOBAL__N_125multi_tensor_apply_kernelINS1_18TensorListMetadataILi2EEENS1_21BinaryOpScalarFunctorIaLi2ELi1ELi1EEEJSt4plusIaEaEEEvT_T0_DpT1_,"axG",@progbits,_ZN2at6native12_GLOBAL__N_125multi_tensor_apply_kernelINS1_18TensorListMetadataILi2EEENS1_21BinaryOpScalarFunctorIaLi2ELi1ELi1EEEJSt4plusIaEaEEEvT_T0_DpT1_,comdat
.Lfunc_end13:
	.size	_ZN2at6native12_GLOBAL__N_125multi_tensor_apply_kernelINS1_18TensorListMetadataILi2EEENS1_21BinaryOpScalarFunctorIaLi2ELi1ELi1EEEJSt4plusIaEaEEEvT_T0_DpT1_, .Lfunc_end13-_ZN2at6native12_GLOBAL__N_125multi_tensor_apply_kernelINS1_18TensorListMetadataILi2EEENS1_21BinaryOpScalarFunctorIaLi2ELi1ELi1EEEJSt4plusIaEaEEEvT_T0_DpT1_
                                        ; -- End function
	.section	.AMDGPU.csdata,"",@progbits
; Kernel info:
; codeLenInByte = 1200
; NumSgprs: 29
; NumVgprs: 32
; NumAgprs: 0
; TotalNumVgprs: 32
; ScratchSize: 0
; MemoryBound: 0
; FloatMode: 240
; IeeeMode: 1
; LDSByteSize: 0 bytes/workgroup (compile time only)
; SGPRBlocks: 3
; VGPRBlocks: 3
; NumSGPRsForWavesPerEU: 29
; NumVGPRsForWavesPerEU: 32
; AccumOffset: 32
; Occupancy: 8
; WaveLimiterHint : 0
; COMPUTE_PGM_RSRC2:SCRATCH_EN: 0
; COMPUTE_PGM_RSRC2:USER_SGPR: 6
; COMPUTE_PGM_RSRC2:TRAP_HANDLER: 0
; COMPUTE_PGM_RSRC2:TGID_X_EN: 1
; COMPUTE_PGM_RSRC2:TGID_Y_EN: 0
; COMPUTE_PGM_RSRC2:TGID_Z_EN: 0
; COMPUTE_PGM_RSRC2:TIDIG_COMP_CNT: 0
; COMPUTE_PGM_RSRC3_GFX90A:ACCUM_OFFSET: 7
; COMPUTE_PGM_RSRC3_GFX90A:TG_SPLIT: 0
	.section	.text._ZN2at6native12_GLOBAL__N_125multi_tensor_apply_kernelINS1_18TensorListMetadataILi2EEENS1_21BinaryOpScalarFunctorIiLi2ELi1ELi1EEEJSt4plusIiEiEEEvT_T0_DpT1_,"axG",@progbits,_ZN2at6native12_GLOBAL__N_125multi_tensor_apply_kernelINS1_18TensorListMetadataILi2EEENS1_21BinaryOpScalarFunctorIiLi2ELi1ELi1EEEJSt4plusIiEiEEEvT_T0_DpT1_,comdat
	.globl	_ZN2at6native12_GLOBAL__N_125multi_tensor_apply_kernelINS1_18TensorListMetadataILi2EEENS1_21BinaryOpScalarFunctorIiLi2ELi1ELi1EEEJSt4plusIiEiEEEvT_T0_DpT1_ ; -- Begin function _ZN2at6native12_GLOBAL__N_125multi_tensor_apply_kernelINS1_18TensorListMetadataILi2EEENS1_21BinaryOpScalarFunctorIiLi2ELi1ELi1EEEJSt4plusIiEiEEEvT_T0_DpT1_
	.p2align	8
	.type	_ZN2at6native12_GLOBAL__N_125multi_tensor_apply_kernelINS1_18TensorListMetadataILi2EEENS1_21BinaryOpScalarFunctorIiLi2ELi1ELi1EEEJSt4plusIiEiEEEvT_T0_DpT1_,@function
_ZN2at6native12_GLOBAL__N_125multi_tensor_apply_kernelINS1_18TensorListMetadataILi2EEENS1_21BinaryOpScalarFunctorIiLi2ELi1ELi1EEEJSt4plusIiEiEEEvT_T0_DpT1_: ; @_ZN2at6native12_GLOBAL__N_125multi_tensor_apply_kernelINS1_18TensorListMetadataILi2EEENS1_21BinaryOpScalarFunctorIiLi2ELi1ELi1EEEJSt4plusIiEiEEEvT_T0_DpT1_
; %bb.0:
	v_mov_b32_e32 v1, s6
	global_load_ubyte v1, v1, s[4:5] offset:1536
	s_add_u32 s0, s4, s6
	s_mul_hi_u32 s2, s6, 3
	s_mul_i32 s6, s6, 3
	s_addc_u32 s7, s5, 0
	s_add_u32 s6, s0, s6
	s_addc_u32 s7, s7, s2
	s_load_dword s6, s[6:7], 0x740
	s_mov_b32 s1, 0
	s_mov_b32 s15, s1
	;; [unrolled: 1-line block ×3, first 2 shown]
	s_waitcnt lgkmcnt(0)
	s_ashr_i32 s7, s6, 31
	s_lshl_b64 s[16:17], s[6:7], 18
	s_waitcnt vmcnt(0)
	v_readfirstlane_b32 s0, v1
	s_lshl_b32 s0, s0, 3
	s_load_dwordx2 s[10:11], s[4:5], s0 offset:0x0
	s_load_dword s24, s[4:5], 0xc4c
	s_load_dwordx2 s[8:9], s[4:5], s0 offset:0x400
	s_load_dwordx2 s[12:13], s[4:5], s0 offset:0x200
	s_waitcnt lgkmcnt(0)
	s_and_b32 s0, s10, 15
	s_and_b32 s14, s8, 3
	;; [unrolled: 1-line block ×3, first 2 shown]
	s_or_b64 s[0:1], s[0:1], s[14:15]
	s_or_b64 s[0:1], s[2:3], s[0:1]
	s_lshl_b64 s[2:3], s[6:7], 16
	s_sub_u32 s14, s8, s2
	s_subb_u32 s15, s9, s3
	s_cmp_eq_u64 s[0:1], 0
	s_mov_b64 s[0:1], -1
	s_cbranch_scc1 .LBB14_21
; %bb.1:
	v_cmp_lt_i64_e64 s[0:1], s[14:15], 1
	s_and_b64 vcc, exec, s[0:1]
	s_cbranch_vccnz .LBB14_20
; %bb.2:
	s_load_dword s0, s[4:5], 0xc5c
	v_mov_b32_e32 v2, 0x10000
	v_mov_b32_e32 v3, 0
	v_cmp_lt_u64_e32 vcc, s[14:15], v[2:3]
	v_lshlrev_b32_e32 v10, 2, v0
	s_waitcnt lgkmcnt(0)
	s_and_b32 s2, s0, 0xffff
	s_and_b64 s[0:1], vcc, exec
	v_mov_b32_e32 v13, s11
	v_add_co_u32_e32 v2, vcc, s10, v10
	v_addc_co_u32_e32 v1, vcc, 0, v13, vcc
	v_mov_b32_e32 v11, 0
	v_mov_b32_e32 v15, s13
	v_add_co_u32_e32 v4, vcc, s12, v10
	v_addc_co_u32_e32 v3, vcc, 0, v15, vcc
	v_mad_u64_u32 v[8:9], s[0:1], s2, 12, v[10:11]
	v_add_co_u32_e32 v6, vcc, s10, v8
	v_addc_co_u32_e32 v5, vcc, v13, v9, vcc
	v_add_co_u32_e32 v8, vcc, s12, v8
	s_mul_i32 s6, s2, 3
	v_addc_co_u32_e32 v7, vcc, v15, v9, vcc
	v_add_co_u32_e32 v17, vcc, s6, v0
	v_addc_co_u32_e64 v18, s[0:1], 0, 0, vcc
	s_cselect_b32 s19, s15, 0
	s_cselect_b32 s18, s14, 0x10000
	s_lshl_b32 s0, s2, 3
	v_add_co_u32_e32 v11, vcc, s0, v10
	v_addc_co_u32_e64 v14, s[0:1], 0, 0, vcc
	v_add_co_u32_e32 v10, vcc, s10, v11
	v_addc_co_u32_e32 v9, vcc, v13, v14, vcc
	v_add_co_u32_e32 v12, vcc, s12, v11
	s_lshl_b32 s3, s2, 1
	v_addc_co_u32_e32 v11, vcc, v15, v14, vcc
	v_add_co_u32_e32 v19, vcc, s3, v0
	v_addc_co_u32_e64 v20, s[0:1], 0, 0, vcc
	v_add_co_u32_e32 v21, vcc, s2, v0
	v_lshlrev_b32_e32 v16, 2, v21
	v_addc_co_u32_e64 v22, s[0:1], 0, 0, vcc
	v_add_co_u32_e32 v14, vcc, s10, v16
	v_addc_co_u32_e32 v13, vcc, 0, v13, vcc
	v_add_co_u32_e32 v16, vcc, s12, v16
	s_mov_b32 s25, 0
	s_lshl_b32 s26, s2, 2
	s_lshl_b32 s27, s2, 4
	v_addc_co_u32_e32 v15, vcc, 0, v15, vcc
	s_mov_b64 s[20:21], 0
	s_branch .LBB14_4
.LBB14_3:                               ;   in Loop: Header=BB14_4 Depth=1
	s_or_b64 exec, exec, s[0:1]
	s_add_u32 s20, s20, s26
	s_addc_u32 s21, s21, 0
	s_waitcnt vmcnt(0)
	v_pk_mov_b32 v[24:25], s[14:15], s[14:15] op_sel:[0,1]
	v_cmp_lt_i64_e32 vcc, s[20:21], v[24:25]
	v_mov_b32_e32 v24, 0x10000
	v_mov_b32_e32 v25, 0
	v_cmp_lt_u64_e64 s[0:1], s[20:21], v[24:25]
	s_and_b64 s[0:1], vcc, s[0:1]
	v_mov_b32_e32 v23, s25
	v_add_co_u32_e32 v2, vcc, s27, v2
	v_addc_co_u32_e32 v1, vcc, v1, v23, vcc
	v_add_co_u32_e32 v4, vcc, s27, v4
	v_addc_co_u32_e32 v3, vcc, v3, v23, vcc
	v_add_co_u32_e32 v6, vcc, s27, v6
	v_addc_co_u32_e32 v5, vcc, v5, v23, vcc
	v_add_co_u32_e32 v8, vcc, s27, v8
	v_addc_co_u32_e32 v7, vcc, v7, v23, vcc
	v_add_co_u32_e32 v10, vcc, s27, v10
	v_addc_co_u32_e32 v9, vcc, v9, v23, vcc
	v_add_co_u32_e32 v12, vcc, s27, v12
	v_addc_co_u32_e32 v11, vcc, v11, v23, vcc
	v_add_co_u32_e32 v14, vcc, s27, v14
	v_addc_co_u32_e32 v13, vcc, v13, v23, vcc
	v_add_co_u32_e32 v16, vcc, s27, v16
	v_addc_co_u32_e32 v15, vcc, v15, v23, vcc
	s_and_b64 vcc, exec, s[0:1]
	s_cbranch_vccz .LBB14_20
.LBB14_4:                               ; =>This Inner Loop Header: Depth=1
	v_mov_b32_e32 v23, s21
	v_add_co_u32_e32 v24, vcc, s20, v0
	v_addc_co_u32_e32 v25, vcc, 0, v23, vcc
	v_cmp_gt_u64_e32 vcc, s[18:19], v[24:25]
	v_mov_b32_e32 v23, 0
	s_and_saveexec_b64 s[2:3], vcc
	s_cbranch_execz .LBB14_6
; %bb.5:                                ;   in Loop: Header=BB14_4 Depth=1
	v_mov_b32_e32 v23, s17
	v_add_co_u32_e64 v24, s[0:1], s16, v2
	v_addc_co_u32_e64 v25, s[0:1], v1, v23, s[0:1]
	global_load_dword v23, v[24:25], off
.LBB14_6:                               ;   in Loop: Header=BB14_4 Depth=1
	s_or_b64 exec, exec, s[2:3]
	v_mov_b32_e32 v25, s21
	v_add_co_u32_e64 v24, s[0:1], s20, v21
	v_addc_co_u32_e64 v25, s[0:1], v22, v25, s[0:1]
	v_cmp_gt_u64_e64 s[0:1], s[18:19], v[24:25]
	v_mov_b32_e32 v25, 0
	s_and_saveexec_b64 s[6:7], s[0:1]
	s_cbranch_execz .LBB14_8
; %bb.7:                                ;   in Loop: Header=BB14_4 Depth=1
	v_mov_b32_e32 v25, s17
	v_add_co_u32_e64 v24, s[2:3], s16, v14
	v_addc_co_u32_e64 v25, s[2:3], v13, v25, s[2:3]
	global_load_dword v25, v[24:25], off
.LBB14_8:                               ;   in Loop: Header=BB14_4 Depth=1
	s_or_b64 exec, exec, s[6:7]
	v_mov_b32_e32 v24, s21
	v_add_co_u32_e64 v26, s[2:3], s20, v19
	v_addc_co_u32_e64 v27, s[2:3], v20, v24, s[2:3]
	v_cmp_gt_u64_e64 s[2:3], s[18:19], v[26:27]
	v_mov_b32_e32 v24, 0
	v_mov_b32_e32 v26, 0
	s_and_saveexec_b64 s[8:9], s[2:3]
	s_cbranch_execz .LBB14_10
; %bb.9:                                ;   in Loop: Header=BB14_4 Depth=1
	v_mov_b32_e32 v27, s17
	v_add_co_u32_e64 v26, s[6:7], s16, v10
	v_addc_co_u32_e64 v27, s[6:7], v9, v27, s[6:7]
	global_load_dword v26, v[26:27], off
.LBB14_10:                              ;   in Loop: Header=BB14_4 Depth=1
	s_or_b64 exec, exec, s[8:9]
	v_mov_b32_e32 v27, s21
	v_add_co_u32_e64 v28, s[6:7], s20, v17
	v_addc_co_u32_e64 v29, s[6:7], v18, v27, s[6:7]
	v_cmp_gt_u64_e64 s[6:7], s[18:19], v[28:29]
	s_and_saveexec_b64 s[22:23], s[6:7]
	s_cbranch_execnz .LBB14_15
; %bb.11:                               ;   in Loop: Header=BB14_4 Depth=1
	s_or_b64 exec, exec, s[22:23]
	s_and_saveexec_b64 s[8:9], vcc
	s_cbranch_execnz .LBB14_16
.LBB14_12:                              ;   in Loop: Header=BB14_4 Depth=1
	s_or_b64 exec, exec, s[8:9]
	s_and_saveexec_b64 s[8:9], s[0:1]
	s_cbranch_execnz .LBB14_17
.LBB14_13:                              ;   in Loop: Header=BB14_4 Depth=1
	s_or_b64 exec, exec, s[8:9]
	s_and_saveexec_b64 s[0:1], s[2:3]
	s_cbranch_execnz .LBB14_18
.LBB14_14:                              ;   in Loop: Header=BB14_4 Depth=1
	s_or_b64 exec, exec, s[0:1]
	s_and_saveexec_b64 s[0:1], s[6:7]
	s_cbranch_execz .LBB14_3
	s_branch .LBB14_19
.LBB14_15:                              ;   in Loop: Header=BB14_4 Depth=1
	v_mov_b32_e32 v24, s17
	v_add_co_u32_e64 v28, s[8:9], s16, v6
	v_addc_co_u32_e64 v29, s[8:9], v5, v24, s[8:9]
	global_load_dword v24, v[28:29], off
	s_or_b64 exec, exec, s[22:23]
	s_and_saveexec_b64 s[8:9], vcc
	s_cbranch_execz .LBB14_12
.LBB14_16:                              ;   in Loop: Header=BB14_4 Depth=1
	v_mov_b32_e32 v27, s17
	v_add_co_u32_e32 v28, vcc, s16, v4
	s_waitcnt vmcnt(0)
	v_add_u32_e32 v23, s24, v23
	v_addc_co_u32_e32 v29, vcc, v3, v27, vcc
	global_store_dword v[28:29], v23, off
	s_or_b64 exec, exec, s[8:9]
	s_and_saveexec_b64 s[8:9], s[0:1]
	s_cbranch_execz .LBB14_13
.LBB14_17:                              ;   in Loop: Header=BB14_4 Depth=1
	s_waitcnt vmcnt(0)
	v_add_u32_e32 v23, s24, v25
	v_mov_b32_e32 v25, s17
	v_add_co_u32_e32 v28, vcc, s16, v16
	v_addc_co_u32_e32 v29, vcc, v15, v25, vcc
	global_store_dword v[28:29], v23, off
	s_or_b64 exec, exec, s[8:9]
	s_and_saveexec_b64 s[0:1], s[2:3]
	s_cbranch_execz .LBB14_14
.LBB14_18:                              ;   in Loop: Header=BB14_4 Depth=1
	s_waitcnt vmcnt(0)
	v_add_u32_e32 v23, s24, v26
	v_mov_b32_e32 v25, s17
	v_add_co_u32_e32 v26, vcc, s16, v12
	v_addc_co_u32_e32 v27, vcc, v11, v25, vcc
	global_store_dword v[26:27], v23, off
	s_or_b64 exec, exec, s[0:1]
	s_and_saveexec_b64 s[0:1], s[6:7]
	s_cbranch_execz .LBB14_3
.LBB14_19:                              ;   in Loop: Header=BB14_4 Depth=1
	s_waitcnt vmcnt(0)
	v_add_u32_e32 v23, s24, v24
	v_mov_b32_e32 v25, s17
	v_add_co_u32_e32 v24, vcc, s16, v8
	v_addc_co_u32_e32 v25, vcc, v7, v25, vcc
	global_store_dword v[24:25], v23, off
	s_branch .LBB14_3
.LBB14_20:
	s_mov_b64 s[0:1], 0
.LBB14_21:
	s_andn2_b64 vcc, exec, s[0:1]
	s_cbranch_vccnz .LBB14_25
; %bb.22:
	v_mov_b32_e32 v3, 0
	v_lshlrev_b32_e32 v2, 2, v0
	s_mov_b32 s0, 0
	v_cmp_gt_i64_e32 vcc, s[14:15], v[2:3]
	s_and_saveexec_b64 s[2:3], vcc
	s_cbranch_execz .LBB14_25
; %bb.23:
	s_load_dword s1, s[4:5], 0xc5c
	v_lshlrev_b32_e32 v1, 4, v0
	v_mov_b32_e32 v4, s17
	s_mov_b32 s8, s24
	s_mov_b64 s[4:5], 0
	s_waitcnt lgkmcnt(0)
	s_and_b32 s1, s1, 0xffff
	v_add_lshl_u32 v2, v0, s1, 2
	v_add_co_u32_e32 v0, vcc, s16, v1
	v_addc_co_u32_e32 v1, vcc, 0, v4, vcc
	v_add_co_u32_e32 v0, vcc, 8, v0
	s_lshl_b32 s9, s1, 2
	v_addc_co_u32_e32 v1, vcc, 0, v1, vcc
	s_lshl_b32 s16, s1, 4
	v_mov_b32_e32 v4, s11
	v_mov_b32_e32 v5, s13
	s_mov_b64 s[6:7], 0xffff
	v_mov_b32_e32 v6, s0
	v_mov_b32_e32 v7, s0
.LBB14_24:                              ; =>This Inner Loop Header: Depth=1
	v_add_co_u32_e32 v8, vcc, s10, v0
	v_addc_co_u32_e32 v9, vcc, v4, v1, vcc
	global_load_dwordx4 v[8:11], v[8:9], off offset:-8
	v_add_co_u32_e32 v12, vcc, s12, v0
	v_addc_co_u32_e32 v13, vcc, v5, v1, vcc
	v_cmp_le_i64_e32 vcc, s[14:15], v[2:3]
	v_cmp_lt_u64_e64 s[0:1], s[6:7], v[2:3]
	v_add_co_u32_e64 v2, s[2:3], s9, v2
	v_addc_co_u32_e64 v3, s[2:3], v3, v6, s[2:3]
	s_or_b64 s[0:1], vcc, s[0:1]
	v_add_co_u32_e64 v0, s[2:3], s16, v0
	s_and_b64 s[0:1], exec, s[0:1]
	v_addc_co_u32_e64 v1, s[2:3], v1, v7, s[2:3]
	s_or_b64 s[4:5], s[0:1], s[4:5]
	s_waitcnt vmcnt(0)
	v_add_u32_e32 v9, s8, v9
	v_add_u32_e32 v8, s24, v8
	;; [unrolled: 1-line block ×4, first 2 shown]
	global_store_dwordx4 v[12:13], v[8:11], off offset:-8
	s_andn2_b64 exec, exec, s[4:5]
	s_cbranch_execnz .LBB14_24
.LBB14_25:
	s_endpgm
	.section	.rodata,"a",@progbits
	.p2align	6, 0x0
	.amdhsa_kernel _ZN2at6native12_GLOBAL__N_125multi_tensor_apply_kernelINS1_18TensorListMetadataILi2EEENS1_21BinaryOpScalarFunctorIiLi2ELi1ELi1EEEJSt4plusIiEiEEEvT_T0_DpT1_
		.amdhsa_group_segment_fixed_size 0
		.amdhsa_private_segment_fixed_size 0
		.amdhsa_kernarg_size 3408
		.amdhsa_user_sgpr_count 6
		.amdhsa_user_sgpr_private_segment_buffer 1
		.amdhsa_user_sgpr_dispatch_ptr 0
		.amdhsa_user_sgpr_queue_ptr 0
		.amdhsa_user_sgpr_kernarg_segment_ptr 1
		.amdhsa_user_sgpr_dispatch_id 0
		.amdhsa_user_sgpr_flat_scratch_init 0
		.amdhsa_user_sgpr_kernarg_preload_length 0
		.amdhsa_user_sgpr_kernarg_preload_offset 0
		.amdhsa_user_sgpr_private_segment_size 0
		.amdhsa_uses_dynamic_stack 0
		.amdhsa_system_sgpr_private_segment_wavefront_offset 0
		.amdhsa_system_sgpr_workgroup_id_x 1
		.amdhsa_system_sgpr_workgroup_id_y 0
		.amdhsa_system_sgpr_workgroup_id_z 0
		.amdhsa_system_sgpr_workgroup_info 0
		.amdhsa_system_vgpr_workitem_id 0
		.amdhsa_next_free_vgpr 30
		.amdhsa_next_free_sgpr 28
		.amdhsa_accum_offset 32
		.amdhsa_reserve_vcc 1
		.amdhsa_reserve_flat_scratch 0
		.amdhsa_float_round_mode_32 0
		.amdhsa_float_round_mode_16_64 0
		.amdhsa_float_denorm_mode_32 3
		.amdhsa_float_denorm_mode_16_64 3
		.amdhsa_dx10_clamp 1
		.amdhsa_ieee_mode 1
		.amdhsa_fp16_overflow 0
		.amdhsa_tg_split 0
		.amdhsa_exception_fp_ieee_invalid_op 0
		.amdhsa_exception_fp_denorm_src 0
		.amdhsa_exception_fp_ieee_div_zero 0
		.amdhsa_exception_fp_ieee_overflow 0
		.amdhsa_exception_fp_ieee_underflow 0
		.amdhsa_exception_fp_ieee_inexact 0
		.amdhsa_exception_int_div_zero 0
	.end_amdhsa_kernel
	.section	.text._ZN2at6native12_GLOBAL__N_125multi_tensor_apply_kernelINS1_18TensorListMetadataILi2EEENS1_21BinaryOpScalarFunctorIiLi2ELi1ELi1EEEJSt4plusIiEiEEEvT_T0_DpT1_,"axG",@progbits,_ZN2at6native12_GLOBAL__N_125multi_tensor_apply_kernelINS1_18TensorListMetadataILi2EEENS1_21BinaryOpScalarFunctorIiLi2ELi1ELi1EEEJSt4plusIiEiEEEvT_T0_DpT1_,comdat
.Lfunc_end14:
	.size	_ZN2at6native12_GLOBAL__N_125multi_tensor_apply_kernelINS1_18TensorListMetadataILi2EEENS1_21BinaryOpScalarFunctorIiLi2ELi1ELi1EEEJSt4plusIiEiEEEvT_T0_DpT1_, .Lfunc_end14-_ZN2at6native12_GLOBAL__N_125multi_tensor_apply_kernelINS1_18TensorListMetadataILi2EEENS1_21BinaryOpScalarFunctorIiLi2ELi1ELi1EEEJSt4plusIiEiEEEvT_T0_DpT1_
                                        ; -- End function
	.section	.AMDGPU.csdata,"",@progbits
; Kernel info:
; codeLenInByte = 1264
; NumSgprs: 32
; NumVgprs: 30
; NumAgprs: 0
; TotalNumVgprs: 30
; ScratchSize: 0
; MemoryBound: 0
; FloatMode: 240
; IeeeMode: 1
; LDSByteSize: 0 bytes/workgroup (compile time only)
; SGPRBlocks: 3
; VGPRBlocks: 3
; NumSGPRsForWavesPerEU: 32
; NumVGPRsForWavesPerEU: 30
; AccumOffset: 32
; Occupancy: 8
; WaveLimiterHint : 0
; COMPUTE_PGM_RSRC2:SCRATCH_EN: 0
; COMPUTE_PGM_RSRC2:USER_SGPR: 6
; COMPUTE_PGM_RSRC2:TRAP_HANDLER: 0
; COMPUTE_PGM_RSRC2:TGID_X_EN: 1
; COMPUTE_PGM_RSRC2:TGID_Y_EN: 0
; COMPUTE_PGM_RSRC2:TGID_Z_EN: 0
; COMPUTE_PGM_RSRC2:TIDIG_COMP_CNT: 0
; COMPUTE_PGM_RSRC3_GFX90A:ACCUM_OFFSET: 7
; COMPUTE_PGM_RSRC3_GFX90A:TG_SPLIT: 0
	.section	.text._ZN2at6native12_GLOBAL__N_125multi_tensor_apply_kernelINS1_18TensorListMetadataILi2EEENS1_21BinaryOpScalarFunctorIlLi2ELi1ELi1EEEJSt4plusIlElEEEvT_T0_DpT1_,"axG",@progbits,_ZN2at6native12_GLOBAL__N_125multi_tensor_apply_kernelINS1_18TensorListMetadataILi2EEENS1_21BinaryOpScalarFunctorIlLi2ELi1ELi1EEEJSt4plusIlElEEEvT_T0_DpT1_,comdat
	.globl	_ZN2at6native12_GLOBAL__N_125multi_tensor_apply_kernelINS1_18TensorListMetadataILi2EEENS1_21BinaryOpScalarFunctorIlLi2ELi1ELi1EEEJSt4plusIlElEEEvT_T0_DpT1_ ; -- Begin function _ZN2at6native12_GLOBAL__N_125multi_tensor_apply_kernelINS1_18TensorListMetadataILi2EEENS1_21BinaryOpScalarFunctorIlLi2ELi1ELi1EEEJSt4plusIlElEEEvT_T0_DpT1_
	.p2align	8
	.type	_ZN2at6native12_GLOBAL__N_125multi_tensor_apply_kernelINS1_18TensorListMetadataILi2EEENS1_21BinaryOpScalarFunctorIlLi2ELi1ELi1EEEJSt4plusIlElEEEvT_T0_DpT1_,@function
_ZN2at6native12_GLOBAL__N_125multi_tensor_apply_kernelINS1_18TensorListMetadataILi2EEENS1_21BinaryOpScalarFunctorIlLi2ELi1ELi1EEEJSt4plusIlElEEEvT_T0_DpT1_: ; @_ZN2at6native12_GLOBAL__N_125multi_tensor_apply_kernelINS1_18TensorListMetadataILi2EEENS1_21BinaryOpScalarFunctorIlLi2ELi1ELi1EEEJSt4plusIlElEEEvT_T0_DpT1_
; %bb.0:
	v_mov_b32_e32 v1, s6
	global_load_ubyte v1, v1, s[4:5] offset:1536
	s_add_u32 s0, s4, s6
	s_mul_hi_u32 s1, s6, 3
	s_mul_i32 s6, s6, 3
	s_addc_u32 s2, s5, 0
	s_add_u32 s0, s0, s6
	s_addc_u32 s1, s2, s1
	s_load_dword s6, s[0:1], 0x740
	s_mov_b32 s9, 0
	s_mov_b32 s17, s9
	;; [unrolled: 1-line block ×3, first 2 shown]
	s_waitcnt lgkmcnt(0)
	s_ashr_i32 s7, s6, 31
	s_lshl_b64 s[14:15], s[6:7], 19
	s_waitcnt vmcnt(0)
	v_readfirstlane_b32 s0, v1
	s_lshl_b32 s8, s0, 3
	s_load_dwordx2 s[2:3], s[4:5], s8 offset:0x0
	s_load_dwordx2 s[10:11], s[4:5], 0xc50
	s_load_dwordx2 s[18:19], s[4:5], s8 offset:0x400
	s_load_dwordx2 s[0:1], s[4:5], s8 offset:0x200
	s_waitcnt lgkmcnt(0)
	s_add_u32 s22, s2, s14
	s_addc_u32 s23, s3, s15
	s_and_b32 s8, s22, 31
	s_add_u32 s24, s0, s14
	s_addc_u32 s25, s1, s15
	s_and_b32 s16, s18, 3
	s_and_b32 s12, s24, 31
	s_or_b64 s[8:9], s[8:9], s[16:17]
	s_or_b64 s[8:9], s[12:13], s[8:9]
	s_lshl_b64 s[6:7], s[6:7], 16
	s_sub_u32 s12, s18, s6
	s_subb_u32 s13, s19, s7
	s_cmp_eq_u64 s[8:9], 0
	s_mov_b64 s[6:7], -1
	s_cbranch_scc1 .LBB15_21
; %bb.1:
	v_cmp_lt_i64_e64 s[6:7], s[12:13], 1
	s_and_b64 vcc, exec, s[6:7]
	s_cbranch_vccnz .LBB15_20
; %bb.2:
	s_load_dword s6, s[4:5], 0xc64
	v_mov_b32_e32 v2, 0x10000
	v_mov_b32_e32 v3, 0
	v_cmp_lt_u64_e32 vcc, s[12:13], v[2:3]
	v_lshlrev_b32_e32 v10, 3, v0
	s_waitcnt lgkmcnt(0)
	s_and_b32 s8, s6, 0xffff
	s_and_b64 s[6:7], vcc, exec
	v_mov_b32_e32 v13, s3
	v_add_co_u32_e32 v2, vcc, s2, v10
	v_addc_co_u32_e32 v1, vcc, 0, v13, vcc
	v_mov_b32_e32 v11, 0
	v_mov_b32_e32 v15, s1
	v_add_co_u32_e32 v4, vcc, s0, v10
	v_addc_co_u32_e32 v3, vcc, 0, v15, vcc
	v_mad_u64_u32 v[8:9], s[6:7], s8, 24, v[10:11]
	v_add_co_u32_e32 v6, vcc, s2, v8
	v_addc_co_u32_e32 v5, vcc, v13, v9, vcc
	v_add_co_u32_e32 v8, vcc, s0, v8
	s_mul_i32 s18, s8, 3
	v_addc_co_u32_e32 v7, vcc, v15, v9, vcc
	s_cselect_b32 s17, s13, 0
	s_cselect_b32 s16, s12, 0x10000
	v_add_co_u32_e32 v17, vcc, s18, v0
	s_lshl_b32 s1, s8, 4
	v_addc_co_u32_e64 v26, s[6:7], 0, 0, vcc
	v_add_co_u32_e32 v11, vcc, s1, v10
	v_addc_co_u32_e64 v14, s[6:7], 0, 0, vcc
	v_add_co_u32_e32 v10, vcc, s2, v11
	v_addc_co_u32_e32 v9, vcc, v13, v14, vcc
	v_add_co_u32_e32 v12, vcc, s0, v11
	s_lshl_b32 s9, s8, 1
	v_addc_co_u32_e32 v11, vcc, v15, v14, vcc
	v_add_co_u32_e32 v27, vcc, s9, v0
	v_addc_co_u32_e64 v28, s[6:7], 0, 0, vcc
	v_add_co_u32_e32 v29, vcc, s8, v0
	v_lshlrev_b32_e32 v16, 3, v29
	v_addc_co_u32_e64 v30, s[6:7], 0, 0, vcc
	v_add_co_u32_e32 v14, vcc, s2, v16
	v_addc_co_u32_e32 v13, vcc, 0, v13, vcc
	v_add_co_u32_e32 v16, vcc, s0, v16
	s_mov_b32 s26, 0
	s_lshl_b32 s27, s8, 2
	s_lshl_b32 s28, s8, 5
	v_addc_co_u32_e32 v15, vcc, 0, v15, vcc
	s_mov_b64 s[18:19], 0
	s_branch .LBB15_4
.LBB15_3:                               ;   in Loop: Header=BB15_4 Depth=1
	s_or_b64 exec, exec, s[0:1]
	s_add_u32 s18, s18, s27
	s_addc_u32 s19, s19, 0
	s_waitcnt vmcnt(0)
	v_pk_mov_b32 v[18:19], s[12:13], s[12:13] op_sel:[0,1]
	v_cmp_lt_i64_e32 vcc, s[18:19], v[18:19]
	v_mov_b32_e32 v18, 0x10000
	v_mov_b32_e32 v19, 0
	v_cmp_lt_u64_e64 s[0:1], s[18:19], v[18:19]
	s_and_b64 s[0:1], vcc, s[0:1]
	v_mov_b32_e32 v18, s26
	v_add_co_u32_e32 v2, vcc, s28, v2
	v_addc_co_u32_e32 v1, vcc, v1, v18, vcc
	v_add_co_u32_e32 v4, vcc, s28, v4
	v_addc_co_u32_e32 v3, vcc, v3, v18, vcc
	;; [unrolled: 2-line block ×8, first 2 shown]
	s_and_b64 vcc, exec, s[0:1]
	s_cbranch_vccz .LBB15_20
.LBB15_4:                               ; =>This Inner Loop Header: Depth=1
	v_mov_b32_e32 v19, s19
	v_add_co_u32_e32 v18, vcc, s18, v0
	v_addc_co_u32_e32 v19, vcc, 0, v19, vcc
	v_cmp_gt_u64_e32 vcc, s[16:17], v[18:19]
	v_pk_mov_b32 v[18:19], 0, 0
	v_pk_mov_b32 v[22:23], v[18:19], v[18:19] op_sel:[0,1]
	s_and_saveexec_b64 s[2:3], vcc
	s_cbranch_execz .LBB15_6
; %bb.5:                                ;   in Loop: Header=BB15_4 Depth=1
	v_mov_b32_e32 v21, s15
	v_add_co_u32_e64 v20, s[0:1], s14, v2
	v_addc_co_u32_e64 v21, s[0:1], v1, v21, s[0:1]
	global_load_dwordx2 v[22:23], v[20:21], off
.LBB15_6:                               ;   in Loop: Header=BB15_4 Depth=1
	s_or_b64 exec, exec, s[2:3]
	v_mov_b32_e32 v21, s19
	v_add_co_u32_e64 v20, s[0:1], s18, v29
	v_addc_co_u32_e64 v21, s[0:1], v30, v21, s[0:1]
	v_cmp_gt_u64_e64 s[0:1], s[16:17], v[20:21]
	s_and_saveexec_b64 s[6:7], s[0:1]
	s_cbranch_execz .LBB15_8
; %bb.7:                                ;   in Loop: Header=BB15_4 Depth=1
	v_mov_b32_e32 v19, s15
	v_add_co_u32_e64 v18, s[2:3], s14, v14
	v_addc_co_u32_e64 v19, s[2:3], v13, v19, s[2:3]
	global_load_dwordx2 v[18:19], v[18:19], off
.LBB15_8:                               ;   in Loop: Header=BB15_4 Depth=1
	s_or_b64 exec, exec, s[6:7]
	v_mov_b32_e32 v21, s19
	v_add_co_u32_e64 v20, s[2:3], s18, v27
	v_addc_co_u32_e64 v21, s[2:3], v28, v21, s[2:3]
	v_cmp_gt_u64_e64 s[2:3], s[16:17], v[20:21]
	v_pk_mov_b32 v[20:21], 0, 0
	v_pk_mov_b32 v[24:25], v[20:21], v[20:21] op_sel:[0,1]
	s_and_saveexec_b64 s[8:9], s[2:3]
	s_cbranch_execz .LBB15_10
; %bb.9:                                ;   in Loop: Header=BB15_4 Depth=1
	v_mov_b32_e32 v25, s15
	v_add_co_u32_e64 v24, s[6:7], s14, v10
	v_addc_co_u32_e64 v25, s[6:7], v9, v25, s[6:7]
	global_load_dwordx2 v[24:25], v[24:25], off
.LBB15_10:                              ;   in Loop: Header=BB15_4 Depth=1
	s_or_b64 exec, exec, s[8:9]
	v_mov_b32_e32 v31, s19
	v_add_co_u32_e64 v32, s[6:7], s18, v17
	v_addc_co_u32_e64 v33, s[6:7], v26, v31, s[6:7]
	v_cmp_gt_u64_e64 s[6:7], s[16:17], v[32:33]
	s_and_saveexec_b64 s[20:21], s[6:7]
	s_cbranch_execnz .LBB15_15
; %bb.11:                               ;   in Loop: Header=BB15_4 Depth=1
	s_or_b64 exec, exec, s[20:21]
	s_and_saveexec_b64 s[8:9], vcc
	s_cbranch_execnz .LBB15_16
.LBB15_12:                              ;   in Loop: Header=BB15_4 Depth=1
	s_or_b64 exec, exec, s[8:9]
	s_and_saveexec_b64 s[8:9], s[0:1]
	s_cbranch_execnz .LBB15_17
.LBB15_13:                              ;   in Loop: Header=BB15_4 Depth=1
	s_or_b64 exec, exec, s[8:9]
	s_and_saveexec_b64 s[0:1], s[2:3]
	s_cbranch_execnz .LBB15_18
.LBB15_14:                              ;   in Loop: Header=BB15_4 Depth=1
	s_or_b64 exec, exec, s[0:1]
	s_and_saveexec_b64 s[0:1], s[6:7]
	s_cbranch_execz .LBB15_3
	s_branch .LBB15_19
.LBB15_15:                              ;   in Loop: Header=BB15_4 Depth=1
	v_mov_b32_e32 v21, s15
	v_add_co_u32_e64 v20, s[8:9], s14, v6
	v_addc_co_u32_e64 v21, s[8:9], v5, v21, s[8:9]
	global_load_dwordx2 v[20:21], v[20:21], off
	s_or_b64 exec, exec, s[20:21]
	s_and_saveexec_b64 s[8:9], vcc
	s_cbranch_execz .LBB15_12
.LBB15_16:                              ;   in Loop: Header=BB15_4 Depth=1
	v_mov_b32_e32 v31, s11
	s_waitcnt vmcnt(0)
	v_add_co_u32_e32 v22, vcc, s10, v22
	v_addc_co_u32_e32 v23, vcc, v23, v31, vcc
	v_mov_b32_e32 v31, s15
	v_add_co_u32_e32 v32, vcc, s14, v4
	v_addc_co_u32_e32 v33, vcc, v3, v31, vcc
	global_store_dwordx2 v[32:33], v[22:23], off
	s_or_b64 exec, exec, s[8:9]
	s_and_saveexec_b64 s[8:9], s[0:1]
	s_cbranch_execz .LBB15_13
.LBB15_17:                              ;   in Loop: Header=BB15_4 Depth=1
	s_waitcnt vmcnt(0)
	v_mov_b32_e32 v22, s11
	v_add_co_u32_e32 v18, vcc, s10, v18
	v_addc_co_u32_e32 v19, vcc, v19, v22, vcc
	v_mov_b32_e32 v23, s15
	v_add_co_u32_e32 v22, vcc, s14, v16
	v_addc_co_u32_e32 v23, vcc, v15, v23, vcc
	global_store_dwordx2 v[22:23], v[18:19], off
	s_or_b64 exec, exec, s[8:9]
	s_and_saveexec_b64 s[0:1], s[2:3]
	s_cbranch_execz .LBB15_14
.LBB15_18:                              ;   in Loop: Header=BB15_4 Depth=1
	s_waitcnt vmcnt(0)
	v_mov_b32_e32 v19, s11
	v_add_co_u32_e32 v18, vcc, s10, v24
	v_addc_co_u32_e32 v19, vcc, v25, v19, vcc
	v_mov_b32_e32 v23, s15
	v_add_co_u32_e32 v22, vcc, s14, v12
	v_addc_co_u32_e32 v23, vcc, v11, v23, vcc
	global_store_dwordx2 v[22:23], v[18:19], off
	s_or_b64 exec, exec, s[0:1]
	s_and_saveexec_b64 s[0:1], s[6:7]
	s_cbranch_execz .LBB15_3
.LBB15_19:                              ;   in Loop: Header=BB15_4 Depth=1
	s_waitcnt vmcnt(0)
	v_mov_b32_e32 v19, s11
	v_add_co_u32_e32 v18, vcc, s10, v20
	v_addc_co_u32_e32 v19, vcc, v21, v19, vcc
	v_mov_b32_e32 v21, s15
	v_add_co_u32_e32 v20, vcc, s14, v8
	v_addc_co_u32_e32 v21, vcc, v7, v21, vcc
	global_store_dwordx2 v[20:21], v[18:19], off
	s_branch .LBB15_3
.LBB15_20:
	s_mov_b64 s[6:7], 0
.LBB15_21:
	s_andn2_b64 vcc, exec, s[6:7]
	s_cbranch_vccnz .LBB15_25
; %bb.22:
	v_mov_b32_e32 v3, 0
	v_lshlrev_b32_e32 v2, 2, v0
	s_mov_b32 s0, 0
	v_cmp_gt_i64_e32 vcc, s[12:13], v[2:3]
	s_and_saveexec_b64 s[2:3], vcc
	s_cbranch_execz .LBB15_25
; %bb.23:
	s_load_dword s1, s[4:5], 0xc64
	v_lshlrev_b32_e32 v4, 5, v0
	s_mov_b64 s[4:5], 0
	s_mov_b64 s[6:7], 0xffff
	v_mov_b32_e32 v1, s0
	s_waitcnt lgkmcnt(0)
	s_and_b32 s1, s1, 0xffff
	v_add_lshl_u32 v2, v0, s1, 2
	s_lshl_b32 s8, s1, 2
	s_lshl_b32 s9, s1, 5
	v_mov_b32_e32 v0, s11
.LBB15_24:                              ; =>This Inner Loop Header: Depth=1
	v_mov_b32_e32 v5, s23
	v_add_co_u32_e32 v14, vcc, s22, v4
	v_addc_co_u32_e32 v15, vcc, 0, v5, vcc
	global_load_dwordx4 v[6:9], v[14:15], off
	global_load_dwordx4 v[10:13], v[14:15], off offset:16
	v_cmp_le_i64_e32 vcc, s[12:13], v[2:3]
	v_cmp_lt_u64_e64 s[0:1], s[6:7], v[2:3]
	s_or_b64 s[0:1], vcc, s[0:1]
	v_add_co_u32_e64 v2, s[2:3], s8, v2
	s_add_u32 s22, s22, s9
	v_addc_co_u32_e64 v3, s[2:3], v3, v1, s[2:3]
	s_addc_u32 s23, s23, 0
	v_add_co_u32_e64 v14, s[2:3], s24, v4
	s_add_u32 s24, s24, s9
	v_mov_b32_e32 v5, s25
	s_addc_u32 s25, s25, 0
	s_and_b64 s[0:1], exec, s[0:1]
	v_addc_co_u32_e64 v15, s[2:3], 0, v5, s[2:3]
	s_or_b64 s[4:5], s[0:1], s[4:5]
	s_waitcnt vmcnt(1)
	v_add_co_u32_e32 v6, vcc, s10, v6
	v_addc_co_u32_e32 v7, vcc, v7, v0, vcc
	v_add_co_u32_e32 v8, vcc, s10, v8
	v_addc_co_u32_e32 v9, vcc, v9, v0, vcc
	s_waitcnt vmcnt(0)
	v_add_co_u32_e32 v10, vcc, s10, v10
	v_addc_co_u32_e32 v11, vcc, v11, v0, vcc
	v_add_co_u32_e32 v12, vcc, s10, v12
	v_addc_co_u32_e32 v13, vcc, v13, v0, vcc
	global_store_dwordx4 v[14:15], v[6:9], off
	global_store_dwordx4 v[14:15], v[10:13], off offset:16
	s_andn2_b64 exec, exec, s[4:5]
	s_cbranch_execnz .LBB15_24
.LBB15_25:
	s_endpgm
	.section	.rodata,"a",@progbits
	.p2align	6, 0x0
	.amdhsa_kernel _ZN2at6native12_GLOBAL__N_125multi_tensor_apply_kernelINS1_18TensorListMetadataILi2EEENS1_21BinaryOpScalarFunctorIlLi2ELi1ELi1EEEJSt4plusIlElEEEvT_T0_DpT1_
		.amdhsa_group_segment_fixed_size 0
		.amdhsa_private_segment_fixed_size 0
		.amdhsa_kernarg_size 3416
		.amdhsa_user_sgpr_count 6
		.amdhsa_user_sgpr_private_segment_buffer 1
		.amdhsa_user_sgpr_dispatch_ptr 0
		.amdhsa_user_sgpr_queue_ptr 0
		.amdhsa_user_sgpr_kernarg_segment_ptr 1
		.amdhsa_user_sgpr_dispatch_id 0
		.amdhsa_user_sgpr_flat_scratch_init 0
		.amdhsa_user_sgpr_kernarg_preload_length 0
		.amdhsa_user_sgpr_kernarg_preload_offset 0
		.amdhsa_user_sgpr_private_segment_size 0
		.amdhsa_uses_dynamic_stack 0
		.amdhsa_system_sgpr_private_segment_wavefront_offset 0
		.amdhsa_system_sgpr_workgroup_id_x 1
		.amdhsa_system_sgpr_workgroup_id_y 0
		.amdhsa_system_sgpr_workgroup_id_z 0
		.amdhsa_system_sgpr_workgroup_info 0
		.amdhsa_system_vgpr_workitem_id 0
		.amdhsa_next_free_vgpr 34
		.amdhsa_next_free_sgpr 29
		.amdhsa_accum_offset 36
		.amdhsa_reserve_vcc 1
		.amdhsa_reserve_flat_scratch 0
		.amdhsa_float_round_mode_32 0
		.amdhsa_float_round_mode_16_64 0
		.amdhsa_float_denorm_mode_32 3
		.amdhsa_float_denorm_mode_16_64 3
		.amdhsa_dx10_clamp 1
		.amdhsa_ieee_mode 1
		.amdhsa_fp16_overflow 0
		.amdhsa_tg_split 0
		.amdhsa_exception_fp_ieee_invalid_op 0
		.amdhsa_exception_fp_denorm_src 0
		.amdhsa_exception_fp_ieee_div_zero 0
		.amdhsa_exception_fp_ieee_overflow 0
		.amdhsa_exception_fp_ieee_underflow 0
		.amdhsa_exception_fp_ieee_inexact 0
		.amdhsa_exception_int_div_zero 0
	.end_amdhsa_kernel
	.section	.text._ZN2at6native12_GLOBAL__N_125multi_tensor_apply_kernelINS1_18TensorListMetadataILi2EEENS1_21BinaryOpScalarFunctorIlLi2ELi1ELi1EEEJSt4plusIlElEEEvT_T0_DpT1_,"axG",@progbits,_ZN2at6native12_GLOBAL__N_125multi_tensor_apply_kernelINS1_18TensorListMetadataILi2EEENS1_21BinaryOpScalarFunctorIlLi2ELi1ELi1EEEJSt4plusIlElEEEvT_T0_DpT1_,comdat
.Lfunc_end15:
	.size	_ZN2at6native12_GLOBAL__N_125multi_tensor_apply_kernelINS1_18TensorListMetadataILi2EEENS1_21BinaryOpScalarFunctorIlLi2ELi1ELi1EEEJSt4plusIlElEEEvT_T0_DpT1_, .Lfunc_end15-_ZN2at6native12_GLOBAL__N_125multi_tensor_apply_kernelINS1_18TensorListMetadataILi2EEENS1_21BinaryOpScalarFunctorIlLi2ELi1ELi1EEEJSt4plusIlElEEEvT_T0_DpT1_
                                        ; -- End function
	.section	.AMDGPU.csdata,"",@progbits
; Kernel info:
; codeLenInByte = 1348
; NumSgprs: 33
; NumVgprs: 34
; NumAgprs: 0
; TotalNumVgprs: 34
; ScratchSize: 0
; MemoryBound: 0
; FloatMode: 240
; IeeeMode: 1
; LDSByteSize: 0 bytes/workgroup (compile time only)
; SGPRBlocks: 4
; VGPRBlocks: 4
; NumSGPRsForWavesPerEU: 33
; NumVGPRsForWavesPerEU: 34
; AccumOffset: 36
; Occupancy: 8
; WaveLimiterHint : 0
; COMPUTE_PGM_RSRC2:SCRATCH_EN: 0
; COMPUTE_PGM_RSRC2:USER_SGPR: 6
; COMPUTE_PGM_RSRC2:TRAP_HANDLER: 0
; COMPUTE_PGM_RSRC2:TGID_X_EN: 1
; COMPUTE_PGM_RSRC2:TGID_Y_EN: 0
; COMPUTE_PGM_RSRC2:TGID_Z_EN: 0
; COMPUTE_PGM_RSRC2:TIDIG_COMP_CNT: 0
; COMPUTE_PGM_RSRC3_GFX90A:ACCUM_OFFSET: 8
; COMPUTE_PGM_RSRC3_GFX90A:TG_SPLIT: 0
	.section	.text._ZN2at6native12_GLOBAL__N_125multi_tensor_apply_kernelINS1_18TensorListMetadataILi2EEENS1_21BinaryOpScalarFunctorIsLi2ELi1ELi1EEEJSt4plusIsEsEEEvT_T0_DpT1_,"axG",@progbits,_ZN2at6native12_GLOBAL__N_125multi_tensor_apply_kernelINS1_18TensorListMetadataILi2EEENS1_21BinaryOpScalarFunctorIsLi2ELi1ELi1EEEJSt4plusIsEsEEEvT_T0_DpT1_,comdat
	.globl	_ZN2at6native12_GLOBAL__N_125multi_tensor_apply_kernelINS1_18TensorListMetadataILi2EEENS1_21BinaryOpScalarFunctorIsLi2ELi1ELi1EEEJSt4plusIsEsEEEvT_T0_DpT1_ ; -- Begin function _ZN2at6native12_GLOBAL__N_125multi_tensor_apply_kernelINS1_18TensorListMetadataILi2EEENS1_21BinaryOpScalarFunctorIsLi2ELi1ELi1EEEJSt4plusIsEsEEEvT_T0_DpT1_
	.p2align	8
	.type	_ZN2at6native12_GLOBAL__N_125multi_tensor_apply_kernelINS1_18TensorListMetadataILi2EEENS1_21BinaryOpScalarFunctorIsLi2ELi1ELi1EEEJSt4plusIsEsEEEvT_T0_DpT1_,@function
_ZN2at6native12_GLOBAL__N_125multi_tensor_apply_kernelINS1_18TensorListMetadataILi2EEENS1_21BinaryOpScalarFunctorIsLi2ELi1ELi1EEEJSt4plusIsEsEEEvT_T0_DpT1_: ; @_ZN2at6native12_GLOBAL__N_125multi_tensor_apply_kernelINS1_18TensorListMetadataILi2EEENS1_21BinaryOpScalarFunctorIsLi2ELi1ELi1EEEJSt4plusIsEsEEEvT_T0_DpT1_
; %bb.0:
	v_mov_b32_e32 v1, s6
	global_load_ubyte v1, v1, s[4:5] offset:1536
	s_load_dword s0, s[4:5], 0xc48
	s_mul_i32 s7, s6, 3
	s_mul_hi_u32 s2, s6, 3
	s_mov_b32 s1, 0
	s_mov_b32 s3, s1
	s_waitcnt lgkmcnt(0)
	s_lshr_b32 s24, s0, 16
	s_add_u32 s0, s4, s6
	s_addc_u32 s8, s5, 0
	s_add_u32 s6, s0, s7
	s_addc_u32 s7, s8, s2
	s_waitcnt vmcnt(0)
	v_readfirstlane_b32 s0, v1
	s_lshl_b32 s0, s0, 3
	s_load_dword s8, s[6:7], 0x740
	s_load_dwordx2 s[10:11], s[4:5], s0 offset:0x0
	s_load_dwordx2 s[14:15], s[4:5], s0 offset:0x400
	s_load_dwordx2 s[12:13], s[4:5], s0 offset:0x200
	s_mov_b32 s7, s1
	s_waitcnt lgkmcnt(0)
	s_ashr_i32 s9, s8, 31
	s_and_b32 s0, s10, 7
	s_and_b32 s6, s14, 3
	;; [unrolled: 1-line block ×3, first 2 shown]
	s_or_b64 s[0:1], s[0:1], s[6:7]
	s_lshl_b64 s[16:17], s[8:9], 17
	s_or_b64 s[0:1], s[2:3], s[0:1]
	s_lshl_b64 s[2:3], s[8:9], 16
	s_sub_u32 s14, s14, s2
	s_subb_u32 s15, s15, s3
	s_cmp_eq_u64 s[0:1], 0
	s_mov_b64 s[0:1], -1
	s_cbranch_scc1 .LBB16_21
; %bb.1:
	v_cmp_lt_i64_e64 s[0:1], s[14:15], 1
	s_and_b64 vcc, exec, s[0:1]
	s_cbranch_vccnz .LBB16_20
; %bb.2:
	s_load_dword s0, s[4:5], 0xc5c
	v_mov_b32_e32 v2, 0x10000
	v_mov_b32_e32 v3, 0
	v_cmp_lt_u64_e32 vcc, s[14:15], v[2:3]
	v_lshlrev_b32_e32 v10, 1, v0
	s_waitcnt lgkmcnt(0)
	s_and_b32 s2, s0, 0xffff
	s_and_b64 s[0:1], vcc, exec
	v_mov_b32_e32 v13, s11
	v_add_co_u32_e32 v2, vcc, s10, v10
	v_addc_co_u32_e32 v1, vcc, 0, v13, vcc
	v_mov_b32_e32 v11, 0
	v_mov_b32_e32 v15, s13
	v_add_co_u32_e32 v4, vcc, s12, v10
	v_addc_co_u32_e32 v3, vcc, 0, v15, vcc
	v_mad_u64_u32 v[8:9], s[0:1], s2, 6, v[10:11]
	v_add_co_u32_e32 v6, vcc, s10, v8
	v_addc_co_u32_e32 v5, vcc, v13, v9, vcc
	v_add_co_u32_e32 v8, vcc, s12, v8
	s_mul_i32 s6, s2, 3
	v_addc_co_u32_e32 v7, vcc, v15, v9, vcc
	s_cselect_b32 s19, s15, 0
	s_cselect_b32 s18, s14, 0x10000
	s_lshl_b32 s26, s2, 2
	v_add_co_u32_e32 v17, vcc, s6, v0
	v_addc_co_u32_e64 v18, s[0:1], 0, 0, vcc
	v_add_co_u32_e32 v11, vcc, s26, v10
	v_addc_co_u32_e64 v14, s[0:1], 0, 0, vcc
	v_add_co_u32_e32 v10, vcc, s10, v11
	v_addc_co_u32_e32 v9, vcc, v13, v14, vcc
	v_add_co_u32_e32 v12, vcc, s12, v11
	s_lshl_b32 s3, s2, 1
	v_addc_co_u32_e32 v11, vcc, v15, v14, vcc
	v_add_co_u32_e32 v19, vcc, s3, v0
	v_addc_co_u32_e64 v20, s[0:1], 0, 0, vcc
	v_add_co_u32_e32 v21, vcc, s2, v0
	v_lshlrev_b32_e32 v16, 1, v21
	v_addc_co_u32_e64 v22, s[0:1], 0, 0, vcc
	v_add_co_u32_e32 v14, vcc, s10, v16
	v_addc_co_u32_e32 v13, vcc, 0, v13, vcc
	v_add_co_u32_e32 v16, vcc, s12, v16
	s_mov_b32 s25, 0
	s_lshl_b32 s27, s2, 3
	v_addc_co_u32_e32 v15, vcc, 0, v15, vcc
	s_mov_b64 s[20:21], 0
	s_branch .LBB16_4
.LBB16_3:                               ;   in Loop: Header=BB16_4 Depth=1
	s_or_b64 exec, exec, s[0:1]
	s_add_u32 s20, s20, s26
	s_addc_u32 s21, s21, 0
	s_waitcnt vmcnt(0)
	v_pk_mov_b32 v[24:25], s[14:15], s[14:15] op_sel:[0,1]
	v_cmp_lt_i64_e32 vcc, s[20:21], v[24:25]
	v_mov_b32_e32 v24, 0x10000
	v_mov_b32_e32 v25, 0
	v_cmp_lt_u64_e64 s[0:1], s[20:21], v[24:25]
	s_and_b64 s[0:1], vcc, s[0:1]
	v_mov_b32_e32 v23, s25
	v_add_co_u32_e32 v2, vcc, s27, v2
	v_addc_co_u32_e32 v1, vcc, v1, v23, vcc
	v_add_co_u32_e32 v4, vcc, s27, v4
	v_addc_co_u32_e32 v3, vcc, v3, v23, vcc
	;; [unrolled: 2-line block ×8, first 2 shown]
	s_and_b64 vcc, exec, s[0:1]
	s_cbranch_vccz .LBB16_20
.LBB16_4:                               ; =>This Inner Loop Header: Depth=1
	v_mov_b32_e32 v23, s21
	v_add_co_u32_e32 v24, vcc, s20, v0
	v_addc_co_u32_e32 v25, vcc, 0, v23, vcc
	v_cmp_gt_u64_e32 vcc, s[18:19], v[24:25]
	v_mov_b32_e32 v23, 0
	s_and_saveexec_b64 s[2:3], vcc
	s_cbranch_execz .LBB16_6
; %bb.5:                                ;   in Loop: Header=BB16_4 Depth=1
	v_mov_b32_e32 v23, s17
	v_add_co_u32_e64 v24, s[0:1], s16, v2
	v_addc_co_u32_e64 v25, s[0:1], v1, v23, s[0:1]
	global_load_ushort v23, v[24:25], off
.LBB16_6:                               ;   in Loop: Header=BB16_4 Depth=1
	s_or_b64 exec, exec, s[2:3]
	v_mov_b32_e32 v25, s21
	v_add_co_u32_e64 v24, s[0:1], s20, v21
	v_addc_co_u32_e64 v25, s[0:1], v22, v25, s[0:1]
	v_cmp_gt_u64_e64 s[0:1], s[18:19], v[24:25]
	v_mov_b32_e32 v25, 0
	s_and_saveexec_b64 s[6:7], s[0:1]
	s_cbranch_execz .LBB16_8
; %bb.7:                                ;   in Loop: Header=BB16_4 Depth=1
	v_mov_b32_e32 v25, s17
	v_add_co_u32_e64 v24, s[2:3], s16, v14
	v_addc_co_u32_e64 v25, s[2:3], v13, v25, s[2:3]
	global_load_ushort v25, v[24:25], off
.LBB16_8:                               ;   in Loop: Header=BB16_4 Depth=1
	s_or_b64 exec, exec, s[6:7]
	v_mov_b32_e32 v24, s21
	v_add_co_u32_e64 v26, s[2:3], s20, v19
	v_addc_co_u32_e64 v27, s[2:3], v20, v24, s[2:3]
	v_cmp_gt_u64_e64 s[2:3], s[18:19], v[26:27]
	v_mov_b32_e32 v24, 0
	v_mov_b32_e32 v26, 0
	s_and_saveexec_b64 s[8:9], s[2:3]
	s_cbranch_execz .LBB16_10
; %bb.9:                                ;   in Loop: Header=BB16_4 Depth=1
	v_mov_b32_e32 v27, s17
	v_add_co_u32_e64 v26, s[6:7], s16, v10
	v_addc_co_u32_e64 v27, s[6:7], v9, v27, s[6:7]
	global_load_ushort v26, v[26:27], off
.LBB16_10:                              ;   in Loop: Header=BB16_4 Depth=1
	s_or_b64 exec, exec, s[8:9]
	v_mov_b32_e32 v27, s21
	v_add_co_u32_e64 v28, s[6:7], s20, v17
	v_addc_co_u32_e64 v29, s[6:7], v18, v27, s[6:7]
	v_cmp_gt_u64_e64 s[6:7], s[18:19], v[28:29]
	s_and_saveexec_b64 s[22:23], s[6:7]
	s_cbranch_execnz .LBB16_15
; %bb.11:                               ;   in Loop: Header=BB16_4 Depth=1
	s_or_b64 exec, exec, s[22:23]
	s_and_saveexec_b64 s[8:9], vcc
	s_cbranch_execnz .LBB16_16
.LBB16_12:                              ;   in Loop: Header=BB16_4 Depth=1
	s_or_b64 exec, exec, s[8:9]
	s_and_saveexec_b64 s[8:9], s[0:1]
	s_cbranch_execnz .LBB16_17
.LBB16_13:                              ;   in Loop: Header=BB16_4 Depth=1
	s_or_b64 exec, exec, s[8:9]
	s_and_saveexec_b64 s[0:1], s[2:3]
	s_cbranch_execnz .LBB16_18
.LBB16_14:                              ;   in Loop: Header=BB16_4 Depth=1
	s_or_b64 exec, exec, s[0:1]
	s_and_saveexec_b64 s[0:1], s[6:7]
	s_cbranch_execz .LBB16_3
	s_branch .LBB16_19
.LBB16_15:                              ;   in Loop: Header=BB16_4 Depth=1
	v_mov_b32_e32 v24, s17
	v_add_co_u32_e64 v28, s[8:9], s16, v6
	v_addc_co_u32_e64 v29, s[8:9], v5, v24, s[8:9]
	global_load_ushort v24, v[28:29], off
	s_or_b64 exec, exec, s[22:23]
	s_and_saveexec_b64 s[8:9], vcc
	s_cbranch_execz .LBB16_12
.LBB16_16:                              ;   in Loop: Header=BB16_4 Depth=1
	v_mov_b32_e32 v27, s17
	v_add_co_u32_e32 v28, vcc, s16, v4
	s_waitcnt vmcnt(0)
	v_add_u16_e32 v23, s24, v23
	v_addc_co_u32_e32 v29, vcc, v3, v27, vcc
	global_store_short v[28:29], v23, off
	s_or_b64 exec, exec, s[8:9]
	s_and_saveexec_b64 s[8:9], s[0:1]
	s_cbranch_execz .LBB16_13
.LBB16_17:                              ;   in Loop: Header=BB16_4 Depth=1
	s_waitcnt vmcnt(0)
	v_add_u16_e32 v23, s24, v25
	v_mov_b32_e32 v25, s17
	v_add_co_u32_e32 v28, vcc, s16, v16
	v_addc_co_u32_e32 v29, vcc, v15, v25, vcc
	global_store_short v[28:29], v23, off
	s_or_b64 exec, exec, s[8:9]
	s_and_saveexec_b64 s[0:1], s[2:3]
	s_cbranch_execz .LBB16_14
.LBB16_18:                              ;   in Loop: Header=BB16_4 Depth=1
	s_waitcnt vmcnt(0)
	v_add_u16_e32 v23, s24, v26
	v_mov_b32_e32 v25, s17
	v_add_co_u32_e32 v26, vcc, s16, v12
	v_addc_co_u32_e32 v27, vcc, v11, v25, vcc
	global_store_short v[26:27], v23, off
	s_or_b64 exec, exec, s[0:1]
	s_and_saveexec_b64 s[0:1], s[6:7]
	s_cbranch_execz .LBB16_3
.LBB16_19:                              ;   in Loop: Header=BB16_4 Depth=1
	s_waitcnt vmcnt(0)
	v_add_u16_e32 v23, s24, v24
	v_mov_b32_e32 v25, s17
	v_add_co_u32_e32 v24, vcc, s16, v8
	v_addc_co_u32_e32 v25, vcc, v7, v25, vcc
	global_store_short v[24:25], v23, off
	s_branch .LBB16_3
.LBB16_20:
	s_mov_b64 s[0:1], 0
.LBB16_21:
	s_andn2_b64 vcc, exec, s[0:1]
	s_cbranch_vccnz .LBB16_25
; %bb.22:
	v_mov_b32_e32 v3, 0
	v_lshlrev_b32_e32 v2, 2, v0
	s_mov_b32 s0, 0
	v_cmp_gt_i64_e32 vcc, s[14:15], v[2:3]
	s_and_saveexec_b64 s[2:3], vcc
	s_cbranch_execz .LBB16_25
; %bb.23:
	s_load_dword s1, s[4:5], 0xc5c
	v_lshlrev_b32_e32 v1, 3, v0
	v_mov_b32_e32 v2, s17
	v_add_co_u32_e32 v4, vcc, s16, v1
	s_waitcnt lgkmcnt(0)
	s_and_b32 s1, s1, 0xffff
	v_addc_co_u32_e32 v1, vcc, 0, v2, vcc
	s_lshl_b32 s8, s1, 3
	v_add_lshl_u32 v2, v0, s1, 2
	s_lshl_b32 s9, s1, 2
	s_mov_b64 s[4:5], 0
	v_mov_b32_e32 v0, s11
	v_mov_b32_e32 v5, s13
	s_mov_b64 s[6:7], 0xffff
	v_mov_b32_e32 v6, s0
	v_mov_b32_e32 v7, s0
.LBB16_24:                              ; =>This Inner Loop Header: Depth=1
	v_add_co_u32_e32 v8, vcc, s10, v4
	v_addc_co_u32_e32 v9, vcc, v0, v1, vcc
	global_load_dwordx2 v[8:9], v[8:9], off
	v_add_co_u32_e32 v10, vcc, s12, v4
	v_addc_co_u32_e32 v11, vcc, v5, v1, vcc
	v_cmp_le_i64_e32 vcc, s[14:15], v[2:3]
	v_cmp_lt_u64_e64 s[0:1], s[6:7], v[2:3]
	v_add_co_u32_e64 v4, s[2:3], s8, v4
	v_addc_co_u32_e64 v1, s[2:3], v1, v6, s[2:3]
	s_or_b64 s[0:1], vcc, s[0:1]
	v_add_co_u32_e64 v2, s[2:3], s9, v2
	s_and_b64 s[0:1], exec, s[0:1]
	v_addc_co_u32_e64 v3, s[2:3], v3, v7, s[2:3]
	s_or_b64 s[4:5], s[0:1], s[4:5]
	s_waitcnt vmcnt(0)
	v_add_u16_sdwa v12, v8, s24 dst_sel:WORD_1 dst_unused:UNUSED_PAD src0_sel:WORD_1 src1_sel:DWORD
	v_add_u16_sdwa v13, v9, s24 dst_sel:WORD_1 dst_unused:UNUSED_PAD src0_sel:WORD_1 src1_sel:DWORD
	v_add_u16_e32 v9, s24, v9
	v_add_u16_e32 v8, s24, v8
	v_or_b32_e32 v9, v13, v9
	v_or_b32_e32 v8, v12, v8
	global_store_dwordx2 v[10:11], v[8:9], off
	s_andn2_b64 exec, exec, s[4:5]
	s_cbranch_execnz .LBB16_24
.LBB16_25:
	s_endpgm
	.section	.rodata,"a",@progbits
	.p2align	6, 0x0
	.amdhsa_kernel _ZN2at6native12_GLOBAL__N_125multi_tensor_apply_kernelINS1_18TensorListMetadataILi2EEENS1_21BinaryOpScalarFunctorIsLi2ELi1ELi1EEEJSt4plusIsEsEEEvT_T0_DpT1_
		.amdhsa_group_segment_fixed_size 0
		.amdhsa_private_segment_fixed_size 0
		.amdhsa_kernarg_size 3408
		.amdhsa_user_sgpr_count 6
		.amdhsa_user_sgpr_private_segment_buffer 1
		.amdhsa_user_sgpr_dispatch_ptr 0
		.amdhsa_user_sgpr_queue_ptr 0
		.amdhsa_user_sgpr_kernarg_segment_ptr 1
		.amdhsa_user_sgpr_dispatch_id 0
		.amdhsa_user_sgpr_flat_scratch_init 0
		.amdhsa_user_sgpr_kernarg_preload_length 0
		.amdhsa_user_sgpr_kernarg_preload_offset 0
		.amdhsa_user_sgpr_private_segment_size 0
		.amdhsa_uses_dynamic_stack 0
		.amdhsa_system_sgpr_private_segment_wavefront_offset 0
		.amdhsa_system_sgpr_workgroup_id_x 1
		.amdhsa_system_sgpr_workgroup_id_y 0
		.amdhsa_system_sgpr_workgroup_id_z 0
		.amdhsa_system_sgpr_workgroup_info 0
		.amdhsa_system_vgpr_workitem_id 0
		.amdhsa_next_free_vgpr 30
		.amdhsa_next_free_sgpr 28
		.amdhsa_accum_offset 32
		.amdhsa_reserve_vcc 1
		.amdhsa_reserve_flat_scratch 0
		.amdhsa_float_round_mode_32 0
		.amdhsa_float_round_mode_16_64 0
		.amdhsa_float_denorm_mode_32 3
		.amdhsa_float_denorm_mode_16_64 3
		.amdhsa_dx10_clamp 1
		.amdhsa_ieee_mode 1
		.amdhsa_fp16_overflow 0
		.amdhsa_tg_split 0
		.amdhsa_exception_fp_ieee_invalid_op 0
		.amdhsa_exception_fp_denorm_src 0
		.amdhsa_exception_fp_ieee_div_zero 0
		.amdhsa_exception_fp_ieee_overflow 0
		.amdhsa_exception_fp_ieee_underflow 0
		.amdhsa_exception_fp_ieee_inexact 0
		.amdhsa_exception_int_div_zero 0
	.end_amdhsa_kernel
	.section	.text._ZN2at6native12_GLOBAL__N_125multi_tensor_apply_kernelINS1_18TensorListMetadataILi2EEENS1_21BinaryOpScalarFunctorIsLi2ELi1ELi1EEEJSt4plusIsEsEEEvT_T0_DpT1_,"axG",@progbits,_ZN2at6native12_GLOBAL__N_125multi_tensor_apply_kernelINS1_18TensorListMetadataILi2EEENS1_21BinaryOpScalarFunctorIsLi2ELi1ELi1EEEJSt4plusIsEsEEEvT_T0_DpT1_,comdat
.Lfunc_end16:
	.size	_ZN2at6native12_GLOBAL__N_125multi_tensor_apply_kernelINS1_18TensorListMetadataILi2EEENS1_21BinaryOpScalarFunctorIsLi2ELi1ELi1EEEJSt4plusIsEsEEEvT_T0_DpT1_, .Lfunc_end16-_ZN2at6native12_GLOBAL__N_125multi_tensor_apply_kernelINS1_18TensorListMetadataILi2EEENS1_21BinaryOpScalarFunctorIsLi2ELi1ELi1EEEJSt4plusIsEsEEEvT_T0_DpT1_
                                        ; -- End function
	.section	.AMDGPU.csdata,"",@progbits
; Kernel info:
; codeLenInByte = 1268
; NumSgprs: 32
; NumVgprs: 30
; NumAgprs: 0
; TotalNumVgprs: 30
; ScratchSize: 0
; MemoryBound: 0
; FloatMode: 240
; IeeeMode: 1
; LDSByteSize: 0 bytes/workgroup (compile time only)
; SGPRBlocks: 3
; VGPRBlocks: 3
; NumSGPRsForWavesPerEU: 32
; NumVGPRsForWavesPerEU: 30
; AccumOffset: 32
; Occupancy: 8
; WaveLimiterHint : 0
; COMPUTE_PGM_RSRC2:SCRATCH_EN: 0
; COMPUTE_PGM_RSRC2:USER_SGPR: 6
; COMPUTE_PGM_RSRC2:TRAP_HANDLER: 0
; COMPUTE_PGM_RSRC2:TGID_X_EN: 1
; COMPUTE_PGM_RSRC2:TGID_Y_EN: 0
; COMPUTE_PGM_RSRC2:TGID_Z_EN: 0
; COMPUTE_PGM_RSRC2:TIDIG_COMP_CNT: 0
; COMPUTE_PGM_RSRC3_GFX90A:ACCUM_OFFSET: 7
; COMPUTE_PGM_RSRC3_GFX90A:TG_SPLIT: 0
	.section	.text._ZN2at6native12_GLOBAL__N_125multi_tensor_apply_kernelINS1_18TensorListMetadataILi2EEENS1_21BinaryOpScalarFunctorIdLi2ELi1ELi1EEEJSt4plusIdEdEEEvT_T0_DpT1_,"axG",@progbits,_ZN2at6native12_GLOBAL__N_125multi_tensor_apply_kernelINS1_18TensorListMetadataILi2EEENS1_21BinaryOpScalarFunctorIdLi2ELi1ELi1EEEJSt4plusIdEdEEEvT_T0_DpT1_,comdat
	.globl	_ZN2at6native12_GLOBAL__N_125multi_tensor_apply_kernelINS1_18TensorListMetadataILi2EEENS1_21BinaryOpScalarFunctorIdLi2ELi1ELi1EEEJSt4plusIdEdEEEvT_T0_DpT1_ ; -- Begin function _ZN2at6native12_GLOBAL__N_125multi_tensor_apply_kernelINS1_18TensorListMetadataILi2EEENS1_21BinaryOpScalarFunctorIdLi2ELi1ELi1EEEJSt4plusIdEdEEEvT_T0_DpT1_
	.p2align	8
	.type	_ZN2at6native12_GLOBAL__N_125multi_tensor_apply_kernelINS1_18TensorListMetadataILi2EEENS1_21BinaryOpScalarFunctorIdLi2ELi1ELi1EEEJSt4plusIdEdEEEvT_T0_DpT1_,@function
_ZN2at6native12_GLOBAL__N_125multi_tensor_apply_kernelINS1_18TensorListMetadataILi2EEENS1_21BinaryOpScalarFunctorIdLi2ELi1ELi1EEEJSt4plusIdEdEEEvT_T0_DpT1_: ; @_ZN2at6native12_GLOBAL__N_125multi_tensor_apply_kernelINS1_18TensorListMetadataILi2EEENS1_21BinaryOpScalarFunctorIdLi2ELi1ELi1EEEJSt4plusIdEdEEEvT_T0_DpT1_
; %bb.0:
	v_mov_b32_e32 v1, s6
	global_load_ubyte v1, v1, s[4:5] offset:1536
	s_add_u32 s0, s4, s6
	s_mul_hi_u32 s1, s6, 3
	s_mul_i32 s6, s6, 3
	s_addc_u32 s2, s5, 0
	s_add_u32 s0, s0, s6
	s_addc_u32 s1, s2, s1
	s_load_dword s6, s[0:1], 0x740
	s_mov_b32 s9, 0
	s_mov_b32 s17, s9
	;; [unrolled: 1-line block ×3, first 2 shown]
	s_waitcnt lgkmcnt(0)
	s_ashr_i32 s7, s6, 31
	s_lshl_b64 s[14:15], s[6:7], 19
	s_waitcnt vmcnt(0)
	v_readfirstlane_b32 s0, v1
	s_lshl_b32 s8, s0, 3
	s_load_dwordx2 s[2:3], s[4:5], s8 offset:0x0
	s_load_dwordx2 s[10:11], s[4:5], 0xc50
	s_load_dwordx2 s[18:19], s[4:5], s8 offset:0x400
	s_load_dwordx2 s[0:1], s[4:5], s8 offset:0x200
	s_waitcnt lgkmcnt(0)
	s_add_u32 s22, s2, s14
	s_addc_u32 s23, s3, s15
	s_and_b32 s8, s22, 31
	s_add_u32 s24, s0, s14
	s_addc_u32 s25, s1, s15
	s_and_b32 s16, s18, 3
	s_and_b32 s12, s24, 31
	s_or_b64 s[8:9], s[8:9], s[16:17]
	s_or_b64 s[8:9], s[12:13], s[8:9]
	s_lshl_b64 s[6:7], s[6:7], 16
	s_sub_u32 s12, s18, s6
	s_subb_u32 s13, s19, s7
	s_cmp_eq_u64 s[8:9], 0
	s_mov_b64 s[6:7], -1
	s_cbranch_scc1 .LBB17_21
; %bb.1:
	v_cmp_lt_i64_e64 s[6:7], s[12:13], 1
	s_and_b64 vcc, exec, s[6:7]
	s_cbranch_vccnz .LBB17_20
; %bb.2:
	s_load_dword s6, s[4:5], 0xc64
	v_mov_b32_e32 v2, 0x10000
	v_mov_b32_e32 v3, 0
	v_cmp_lt_u64_e32 vcc, s[12:13], v[2:3]
	v_lshlrev_b32_e32 v10, 3, v0
	s_waitcnt lgkmcnt(0)
	s_and_b32 s8, s6, 0xffff
	s_and_b64 s[6:7], vcc, exec
	v_mov_b32_e32 v13, s3
	v_add_co_u32_e32 v2, vcc, s2, v10
	v_addc_co_u32_e32 v1, vcc, 0, v13, vcc
	v_mov_b32_e32 v11, 0
	v_mov_b32_e32 v15, s1
	v_add_co_u32_e32 v4, vcc, s0, v10
	v_addc_co_u32_e32 v3, vcc, 0, v15, vcc
	v_mad_u64_u32 v[8:9], s[6:7], s8, 24, v[10:11]
	v_add_co_u32_e32 v6, vcc, s2, v8
	v_addc_co_u32_e32 v5, vcc, v13, v9, vcc
	v_add_co_u32_e32 v8, vcc, s0, v8
	s_mul_i32 s18, s8, 3
	v_addc_co_u32_e32 v7, vcc, v15, v9, vcc
	s_cselect_b32 s17, s13, 0
	s_cselect_b32 s16, s12, 0x10000
	v_add_co_u32_e32 v17, vcc, s18, v0
	s_lshl_b32 s1, s8, 4
	v_addc_co_u32_e64 v26, s[6:7], 0, 0, vcc
	v_add_co_u32_e32 v11, vcc, s1, v10
	v_addc_co_u32_e64 v14, s[6:7], 0, 0, vcc
	v_add_co_u32_e32 v10, vcc, s2, v11
	v_addc_co_u32_e32 v9, vcc, v13, v14, vcc
	v_add_co_u32_e32 v12, vcc, s0, v11
	s_lshl_b32 s9, s8, 1
	v_addc_co_u32_e32 v11, vcc, v15, v14, vcc
	v_add_co_u32_e32 v27, vcc, s9, v0
	v_addc_co_u32_e64 v28, s[6:7], 0, 0, vcc
	v_add_co_u32_e32 v29, vcc, s8, v0
	v_lshlrev_b32_e32 v16, 3, v29
	v_addc_co_u32_e64 v30, s[6:7], 0, 0, vcc
	v_add_co_u32_e32 v14, vcc, s2, v16
	v_addc_co_u32_e32 v13, vcc, 0, v13, vcc
	v_add_co_u32_e32 v16, vcc, s0, v16
	s_mov_b32 s26, 0
	s_lshl_b32 s27, s8, 2
	s_lshl_b32 s28, s8, 5
	v_addc_co_u32_e32 v15, vcc, 0, v15, vcc
	s_mov_b64 s[18:19], 0
	s_branch .LBB17_4
.LBB17_3:                               ;   in Loop: Header=BB17_4 Depth=1
	s_or_b64 exec, exec, s[0:1]
	s_add_u32 s18, s18, s27
	s_addc_u32 s19, s19, 0
	s_waitcnt vmcnt(0)
	v_pk_mov_b32 v[18:19], s[12:13], s[12:13] op_sel:[0,1]
	v_cmp_lt_i64_e32 vcc, s[18:19], v[18:19]
	v_mov_b32_e32 v18, 0x10000
	v_mov_b32_e32 v19, 0
	v_cmp_lt_u64_e64 s[0:1], s[18:19], v[18:19]
	s_and_b64 s[0:1], vcc, s[0:1]
	v_mov_b32_e32 v18, s26
	v_add_co_u32_e32 v2, vcc, s28, v2
	v_addc_co_u32_e32 v1, vcc, v1, v18, vcc
	v_add_co_u32_e32 v4, vcc, s28, v4
	v_addc_co_u32_e32 v3, vcc, v3, v18, vcc
	;; [unrolled: 2-line block ×8, first 2 shown]
	s_and_b64 vcc, exec, s[0:1]
	s_cbranch_vccz .LBB17_20
.LBB17_4:                               ; =>This Inner Loop Header: Depth=1
	v_mov_b32_e32 v19, s19
	v_add_co_u32_e32 v18, vcc, s18, v0
	v_addc_co_u32_e32 v19, vcc, 0, v19, vcc
	v_cmp_gt_u64_e32 vcc, s[16:17], v[18:19]
	v_pk_mov_b32 v[18:19], 0, 0
	v_pk_mov_b32 v[20:21], v[18:19], v[18:19] op_sel:[0,1]
	s_and_saveexec_b64 s[2:3], vcc
	s_cbranch_execz .LBB17_6
; %bb.5:                                ;   in Loop: Header=BB17_4 Depth=1
	v_mov_b32_e32 v21, s15
	v_add_co_u32_e64 v20, s[0:1], s14, v2
	v_addc_co_u32_e64 v21, s[0:1], v1, v21, s[0:1]
	global_load_dwordx2 v[20:21], v[20:21], off
.LBB17_6:                               ;   in Loop: Header=BB17_4 Depth=1
	s_or_b64 exec, exec, s[2:3]
	v_mov_b32_e32 v23, s19
	v_add_co_u32_e64 v22, s[0:1], s18, v29
	v_addc_co_u32_e64 v23, s[0:1], v30, v23, s[0:1]
	v_cmp_gt_u64_e64 s[0:1], s[16:17], v[22:23]
	s_and_saveexec_b64 s[6:7], s[0:1]
	s_cbranch_execz .LBB17_8
; %bb.7:                                ;   in Loop: Header=BB17_4 Depth=1
	v_mov_b32_e32 v19, s15
	v_add_co_u32_e64 v18, s[2:3], s14, v14
	v_addc_co_u32_e64 v19, s[2:3], v13, v19, s[2:3]
	global_load_dwordx2 v[18:19], v[18:19], off
.LBB17_8:                               ;   in Loop: Header=BB17_4 Depth=1
	s_or_b64 exec, exec, s[6:7]
	v_mov_b32_e32 v23, s19
	v_add_co_u32_e64 v22, s[2:3], s18, v27
	v_addc_co_u32_e64 v23, s[2:3], v28, v23, s[2:3]
	v_cmp_gt_u64_e64 s[2:3], s[16:17], v[22:23]
	v_pk_mov_b32 v[22:23], 0, 0
	v_pk_mov_b32 v[24:25], v[22:23], v[22:23] op_sel:[0,1]
	s_and_saveexec_b64 s[8:9], s[2:3]
	s_cbranch_execz .LBB17_10
; %bb.9:                                ;   in Loop: Header=BB17_4 Depth=1
	v_mov_b32_e32 v25, s15
	v_add_co_u32_e64 v24, s[6:7], s14, v10
	v_addc_co_u32_e64 v25, s[6:7], v9, v25, s[6:7]
	global_load_dwordx2 v[24:25], v[24:25], off
.LBB17_10:                              ;   in Loop: Header=BB17_4 Depth=1
	s_or_b64 exec, exec, s[8:9]
	v_mov_b32_e32 v31, s19
	v_add_co_u32_e64 v32, s[6:7], s18, v17
	v_addc_co_u32_e64 v33, s[6:7], v26, v31, s[6:7]
	v_cmp_gt_u64_e64 s[6:7], s[16:17], v[32:33]
	s_and_saveexec_b64 s[20:21], s[6:7]
	s_cbranch_execnz .LBB17_15
; %bb.11:                               ;   in Loop: Header=BB17_4 Depth=1
	s_or_b64 exec, exec, s[20:21]
	s_and_saveexec_b64 s[8:9], vcc
	s_cbranch_execnz .LBB17_16
.LBB17_12:                              ;   in Loop: Header=BB17_4 Depth=1
	s_or_b64 exec, exec, s[8:9]
	s_and_saveexec_b64 s[8:9], s[0:1]
	s_cbranch_execnz .LBB17_17
.LBB17_13:                              ;   in Loop: Header=BB17_4 Depth=1
	s_or_b64 exec, exec, s[8:9]
	s_and_saveexec_b64 s[0:1], s[2:3]
	s_cbranch_execnz .LBB17_18
.LBB17_14:                              ;   in Loop: Header=BB17_4 Depth=1
	s_or_b64 exec, exec, s[0:1]
	s_and_saveexec_b64 s[0:1], s[6:7]
	s_cbranch_execz .LBB17_3
	s_branch .LBB17_19
.LBB17_15:                              ;   in Loop: Header=BB17_4 Depth=1
	v_mov_b32_e32 v23, s15
	v_add_co_u32_e64 v22, s[8:9], s14, v6
	v_addc_co_u32_e64 v23, s[8:9], v5, v23, s[8:9]
	global_load_dwordx2 v[22:23], v[22:23], off
	s_or_b64 exec, exec, s[20:21]
	s_and_saveexec_b64 s[8:9], vcc
	s_cbranch_execz .LBB17_12
.LBB17_16:                              ;   in Loop: Header=BB17_4 Depth=1
	v_mov_b32_e32 v31, s15
	v_add_co_u32_e32 v32, vcc, s14, v4
	s_waitcnt vmcnt(0)
	v_add_f64 v[20:21], v[20:21], s[10:11]
	v_addc_co_u32_e32 v33, vcc, v3, v31, vcc
	global_store_dwordx2 v[32:33], v[20:21], off
	s_or_b64 exec, exec, s[8:9]
	s_and_saveexec_b64 s[8:9], s[0:1]
	s_cbranch_execz .LBB17_13
.LBB17_17:                              ;   in Loop: Header=BB17_4 Depth=1
	s_waitcnt vmcnt(0)
	v_mov_b32_e32 v21, s15
	v_add_co_u32_e32 v20, vcc, s14, v16
	v_add_f64 v[18:19], v[18:19], s[10:11]
	v_addc_co_u32_e32 v21, vcc, v15, v21, vcc
	global_store_dwordx2 v[20:21], v[18:19], off
	s_or_b64 exec, exec, s[8:9]
	s_and_saveexec_b64 s[0:1], s[2:3]
	s_cbranch_execz .LBB17_14
.LBB17_18:                              ;   in Loop: Header=BB17_4 Depth=1
	s_waitcnt vmcnt(0)
	v_mov_b32_e32 v21, s15
	v_add_co_u32_e32 v20, vcc, s14, v12
	v_add_f64 v[18:19], v[24:25], s[10:11]
	v_addc_co_u32_e32 v21, vcc, v11, v21, vcc
	global_store_dwordx2 v[20:21], v[18:19], off
	s_or_b64 exec, exec, s[0:1]
	s_and_saveexec_b64 s[0:1], s[6:7]
	s_cbranch_execz .LBB17_3
.LBB17_19:                              ;   in Loop: Header=BB17_4 Depth=1
	s_waitcnt vmcnt(0)
	v_mov_b32_e32 v21, s15
	v_add_co_u32_e32 v20, vcc, s14, v8
	v_add_f64 v[18:19], v[22:23], s[10:11]
	v_addc_co_u32_e32 v21, vcc, v7, v21, vcc
	global_store_dwordx2 v[20:21], v[18:19], off
	s_branch .LBB17_3
.LBB17_20:
	s_mov_b64 s[6:7], 0
.LBB17_21:
	s_andn2_b64 vcc, exec, s[6:7]
	s_cbranch_vccnz .LBB17_25
; %bb.22:
	v_mov_b32_e32 v3, 0
	v_lshlrev_b32_e32 v2, 2, v0
	s_mov_b32 s0, 0
	v_cmp_gt_i64_e32 vcc, s[12:13], v[2:3]
	s_and_saveexec_b64 s[2:3], vcc
	s_cbranch_execz .LBB17_25
; %bb.23:
	s_load_dword s1, s[4:5], 0xc64
	v_lshlrev_b32_e32 v4, 5, v0
	s_mov_b64 s[4:5], 0
	s_mov_b64 s[6:7], 0xffff
	s_waitcnt lgkmcnt(0)
	s_and_b32 s1, s1, 0xffff
	v_add_lshl_u32 v2, v0, s1, 2
	s_lshl_b32 s8, s1, 2
	s_lshl_b32 s9, s1, 5
	v_mov_b32_e32 v0, s0
.LBB17_24:                              ; =>This Inner Loop Header: Depth=1
	v_mov_b32_e32 v1, s23
	v_add_co_u32_e32 v14, vcc, s22, v4
	v_addc_co_u32_e32 v15, vcc, 0, v1, vcc
	global_load_dwordx4 v[6:9], v[14:15], off
	global_load_dwordx4 v[10:13], v[14:15], off offset:16
	v_cmp_le_i64_e32 vcc, s[12:13], v[2:3]
	v_cmp_lt_u64_e64 s[0:1], s[6:7], v[2:3]
	s_or_b64 s[0:1], vcc, s[0:1]
	v_add_co_u32_e64 v2, s[2:3], s8, v2
	s_add_u32 s22, s22, s9
	v_addc_co_u32_e64 v3, s[2:3], v3, v0, s[2:3]
	s_addc_u32 s23, s23, 0
	v_add_co_u32_e64 v14, s[2:3], s24, v4
	s_add_u32 s24, s24, s9
	v_mov_b32_e32 v1, s25
	s_addc_u32 s25, s25, 0
	s_and_b64 s[0:1], exec, s[0:1]
	v_addc_co_u32_e64 v15, s[2:3], 0, v1, s[2:3]
	s_or_b64 s[4:5], s[0:1], s[4:5]
	s_waitcnt vmcnt(1)
	v_add_f64 v[6:7], v[6:7], s[10:11]
	v_add_f64 v[8:9], v[8:9], s[10:11]
	s_waitcnt vmcnt(0)
	v_add_f64 v[10:11], v[10:11], s[10:11]
	v_add_f64 v[12:13], v[12:13], s[10:11]
	global_store_dwordx4 v[14:15], v[6:9], off
	global_store_dwordx4 v[14:15], v[10:13], off offset:16
	s_andn2_b64 exec, exec, s[4:5]
	s_cbranch_execnz .LBB17_24
.LBB17_25:
	s_endpgm
	.section	.rodata,"a",@progbits
	.p2align	6, 0x0
	.amdhsa_kernel _ZN2at6native12_GLOBAL__N_125multi_tensor_apply_kernelINS1_18TensorListMetadataILi2EEENS1_21BinaryOpScalarFunctorIdLi2ELi1ELi1EEEJSt4plusIdEdEEEvT_T0_DpT1_
		.amdhsa_group_segment_fixed_size 0
		.amdhsa_private_segment_fixed_size 0
		.amdhsa_kernarg_size 3416
		.amdhsa_user_sgpr_count 6
		.amdhsa_user_sgpr_private_segment_buffer 1
		.amdhsa_user_sgpr_dispatch_ptr 0
		.amdhsa_user_sgpr_queue_ptr 0
		.amdhsa_user_sgpr_kernarg_segment_ptr 1
		.amdhsa_user_sgpr_dispatch_id 0
		.amdhsa_user_sgpr_flat_scratch_init 0
		.amdhsa_user_sgpr_kernarg_preload_length 0
		.amdhsa_user_sgpr_kernarg_preload_offset 0
		.amdhsa_user_sgpr_private_segment_size 0
		.amdhsa_uses_dynamic_stack 0
		.amdhsa_system_sgpr_private_segment_wavefront_offset 0
		.amdhsa_system_sgpr_workgroup_id_x 1
		.amdhsa_system_sgpr_workgroup_id_y 0
		.amdhsa_system_sgpr_workgroup_id_z 0
		.amdhsa_system_sgpr_workgroup_info 0
		.amdhsa_system_vgpr_workitem_id 0
		.amdhsa_next_free_vgpr 34
		.amdhsa_next_free_sgpr 29
		.amdhsa_accum_offset 36
		.amdhsa_reserve_vcc 1
		.amdhsa_reserve_flat_scratch 0
		.amdhsa_float_round_mode_32 0
		.amdhsa_float_round_mode_16_64 0
		.amdhsa_float_denorm_mode_32 3
		.amdhsa_float_denorm_mode_16_64 3
		.amdhsa_dx10_clamp 1
		.amdhsa_ieee_mode 1
		.amdhsa_fp16_overflow 0
		.amdhsa_tg_split 0
		.amdhsa_exception_fp_ieee_invalid_op 0
		.amdhsa_exception_fp_denorm_src 0
		.amdhsa_exception_fp_ieee_div_zero 0
		.amdhsa_exception_fp_ieee_overflow 0
		.amdhsa_exception_fp_ieee_underflow 0
		.amdhsa_exception_fp_ieee_inexact 0
		.amdhsa_exception_int_div_zero 0
	.end_amdhsa_kernel
	.section	.text._ZN2at6native12_GLOBAL__N_125multi_tensor_apply_kernelINS1_18TensorListMetadataILi2EEENS1_21BinaryOpScalarFunctorIdLi2ELi1ELi1EEEJSt4plusIdEdEEEvT_T0_DpT1_,"axG",@progbits,_ZN2at6native12_GLOBAL__N_125multi_tensor_apply_kernelINS1_18TensorListMetadataILi2EEENS1_21BinaryOpScalarFunctorIdLi2ELi1ELi1EEEJSt4plusIdEdEEEvT_T0_DpT1_,comdat
.Lfunc_end17:
	.size	_ZN2at6native12_GLOBAL__N_125multi_tensor_apply_kernelINS1_18TensorListMetadataILi2EEENS1_21BinaryOpScalarFunctorIdLi2ELi1ELi1EEEJSt4plusIdEdEEEvT_T0_DpT1_, .Lfunc_end17-_ZN2at6native12_GLOBAL__N_125multi_tensor_apply_kernelINS1_18TensorListMetadataILi2EEENS1_21BinaryOpScalarFunctorIdLi2ELi1ELi1EEEJSt4plusIdEdEEEvT_T0_DpT1_
                                        ; -- End function
	.section	.AMDGPU.csdata,"",@progbits
; Kernel info:
; codeLenInByte = 1328
; NumSgprs: 33
; NumVgprs: 34
; NumAgprs: 0
; TotalNumVgprs: 34
; ScratchSize: 0
; MemoryBound: 0
; FloatMode: 240
; IeeeMode: 1
; LDSByteSize: 0 bytes/workgroup (compile time only)
; SGPRBlocks: 4
; VGPRBlocks: 4
; NumSGPRsForWavesPerEU: 33
; NumVGPRsForWavesPerEU: 34
; AccumOffset: 36
; Occupancy: 8
; WaveLimiterHint : 0
; COMPUTE_PGM_RSRC2:SCRATCH_EN: 0
; COMPUTE_PGM_RSRC2:USER_SGPR: 6
; COMPUTE_PGM_RSRC2:TRAP_HANDLER: 0
; COMPUTE_PGM_RSRC2:TGID_X_EN: 1
; COMPUTE_PGM_RSRC2:TGID_Y_EN: 0
; COMPUTE_PGM_RSRC2:TGID_Z_EN: 0
; COMPUTE_PGM_RSRC2:TIDIG_COMP_CNT: 0
; COMPUTE_PGM_RSRC3_GFX90A:ACCUM_OFFSET: 8
; COMPUTE_PGM_RSRC3_GFX90A:TG_SPLIT: 0
	.section	.text._ZN2at6native12_GLOBAL__N_125multi_tensor_apply_kernelINS1_18TensorListMetadataILi2EEENS1_21BinaryOpScalarFunctorIfLi2ELi1ELi1EEEJSt4plusIfEfEEEvT_T0_DpT1_,"axG",@progbits,_ZN2at6native12_GLOBAL__N_125multi_tensor_apply_kernelINS1_18TensorListMetadataILi2EEENS1_21BinaryOpScalarFunctorIfLi2ELi1ELi1EEEJSt4plusIfEfEEEvT_T0_DpT1_,comdat
	.globl	_ZN2at6native12_GLOBAL__N_125multi_tensor_apply_kernelINS1_18TensorListMetadataILi2EEENS1_21BinaryOpScalarFunctorIfLi2ELi1ELi1EEEJSt4plusIfEfEEEvT_T0_DpT1_ ; -- Begin function _ZN2at6native12_GLOBAL__N_125multi_tensor_apply_kernelINS1_18TensorListMetadataILi2EEENS1_21BinaryOpScalarFunctorIfLi2ELi1ELi1EEEJSt4plusIfEfEEEvT_T0_DpT1_
	.p2align	8
	.type	_ZN2at6native12_GLOBAL__N_125multi_tensor_apply_kernelINS1_18TensorListMetadataILi2EEENS1_21BinaryOpScalarFunctorIfLi2ELi1ELi1EEEJSt4plusIfEfEEEvT_T0_DpT1_,@function
_ZN2at6native12_GLOBAL__N_125multi_tensor_apply_kernelINS1_18TensorListMetadataILi2EEENS1_21BinaryOpScalarFunctorIfLi2ELi1ELi1EEEJSt4plusIfEfEEEvT_T0_DpT1_: ; @_ZN2at6native12_GLOBAL__N_125multi_tensor_apply_kernelINS1_18TensorListMetadataILi2EEENS1_21BinaryOpScalarFunctorIfLi2ELi1ELi1EEEJSt4plusIfEfEEEvT_T0_DpT1_
; %bb.0:
	v_mov_b32_e32 v1, s6
	global_load_ubyte v1, v1, s[4:5] offset:1536
	s_add_u32 s0, s4, s6
	s_mul_hi_u32 s2, s6, 3
	s_mul_i32 s6, s6, 3
	s_addc_u32 s7, s5, 0
	s_add_u32 s6, s0, s6
	s_addc_u32 s7, s7, s2
	s_load_dword s6, s[6:7], 0x740
	s_mov_b32 s1, 0
	s_mov_b32 s17, s1
	;; [unrolled: 1-line block ×3, first 2 shown]
	s_waitcnt lgkmcnt(0)
	s_ashr_i32 s7, s6, 31
	s_lshl_b64 s[18:19], s[6:7], 18
	s_waitcnt vmcnt(0)
	v_readfirstlane_b32 s0, v1
	s_lshl_b32 s0, s0, 3
	s_load_dwordx2 s[10:11], s[4:5], s0 offset:0x0
	s_load_dword s12, s[4:5], 0xc4c
	s_load_dwordx2 s[8:9], s[4:5], s0 offset:0x400
	s_load_dwordx2 s[14:15], s[4:5], s0 offset:0x200
	s_waitcnt lgkmcnt(0)
	s_and_b32 s0, s10, 15
	s_and_b32 s16, s8, 3
	s_and_b32 s2, s14, 15
	s_or_b64 s[0:1], s[0:1], s[16:17]
	s_or_b64 s[0:1], s[2:3], s[0:1]
	s_lshl_b64 s[2:3], s[6:7], 16
	s_sub_u32 s16, s8, s2
	s_subb_u32 s17, s9, s3
	s_cmp_eq_u64 s[0:1], 0
	s_mov_b64 s[0:1], -1
	s_cbranch_scc1 .LBB18_21
; %bb.1:
	v_cmp_lt_i64_e64 s[0:1], s[16:17], 1
	s_and_b64 vcc, exec, s[0:1]
	s_cbranch_vccnz .LBB18_20
; %bb.2:
	s_load_dword s0, s[4:5], 0xc5c
	v_mov_b32_e32 v2, 0x10000
	v_mov_b32_e32 v3, 0
	v_cmp_lt_u64_e32 vcc, s[16:17], v[2:3]
	v_lshlrev_b32_e32 v10, 2, v0
	s_waitcnt lgkmcnt(0)
	s_and_b32 s2, s0, 0xffff
	s_and_b64 s[0:1], vcc, exec
	v_mov_b32_e32 v13, s11
	v_add_co_u32_e32 v2, vcc, s10, v10
	v_addc_co_u32_e32 v1, vcc, 0, v13, vcc
	v_mov_b32_e32 v11, 0
	v_mov_b32_e32 v15, s15
	v_add_co_u32_e32 v4, vcc, s14, v10
	v_addc_co_u32_e32 v3, vcc, 0, v15, vcc
	v_mad_u64_u32 v[8:9], s[0:1], s2, 12, v[10:11]
	v_add_co_u32_e32 v6, vcc, s10, v8
	v_addc_co_u32_e32 v5, vcc, v13, v9, vcc
	v_add_co_u32_e32 v8, vcc, s14, v8
	s_mul_i32 s6, s2, 3
	v_addc_co_u32_e32 v7, vcc, v15, v9, vcc
	v_add_co_u32_e32 v17, vcc, s6, v0
	v_addc_co_u32_e64 v18, s[0:1], 0, 0, vcc
	s_cselect_b32 s21, s17, 0
	s_cselect_b32 s20, s16, 0x10000
	s_lshl_b32 s0, s2, 3
	v_add_co_u32_e32 v11, vcc, s0, v10
	v_addc_co_u32_e64 v14, s[0:1], 0, 0, vcc
	v_add_co_u32_e32 v10, vcc, s10, v11
	v_addc_co_u32_e32 v9, vcc, v13, v14, vcc
	v_add_co_u32_e32 v12, vcc, s14, v11
	s_lshl_b32 s3, s2, 1
	v_addc_co_u32_e32 v11, vcc, v15, v14, vcc
	v_add_co_u32_e32 v19, vcc, s3, v0
	v_addc_co_u32_e64 v20, s[0:1], 0, 0, vcc
	v_add_co_u32_e32 v21, vcc, s2, v0
	v_lshlrev_b32_e32 v16, 2, v21
	v_addc_co_u32_e64 v22, s[0:1], 0, 0, vcc
	v_add_co_u32_e32 v14, vcc, s10, v16
	v_addc_co_u32_e32 v13, vcc, 0, v13, vcc
	v_add_co_u32_e32 v16, vcc, s14, v16
	s_mov_b32 s13, 0
	s_lshl_b32 s26, s2, 2
	s_lshl_b32 s27, s2, 4
	v_addc_co_u32_e32 v15, vcc, 0, v15, vcc
	s_mov_b64 s[22:23], 0
	s_branch .LBB18_4
.LBB18_3:                               ;   in Loop: Header=BB18_4 Depth=1
	s_or_b64 exec, exec, s[0:1]
	s_add_u32 s22, s22, s26
	s_addc_u32 s23, s23, 0
	s_waitcnt vmcnt(0)
	v_pk_mov_b32 v[24:25], s[16:17], s[16:17] op_sel:[0,1]
	v_cmp_lt_i64_e32 vcc, s[22:23], v[24:25]
	v_mov_b32_e32 v24, 0x10000
	v_mov_b32_e32 v25, 0
	v_cmp_lt_u64_e64 s[0:1], s[22:23], v[24:25]
	s_and_b64 s[0:1], vcc, s[0:1]
	v_mov_b32_e32 v23, s13
	v_add_co_u32_e32 v2, vcc, s27, v2
	v_addc_co_u32_e32 v1, vcc, v1, v23, vcc
	v_add_co_u32_e32 v4, vcc, s27, v4
	v_addc_co_u32_e32 v3, vcc, v3, v23, vcc
	;; [unrolled: 2-line block ×8, first 2 shown]
	s_and_b64 vcc, exec, s[0:1]
	s_cbranch_vccz .LBB18_20
.LBB18_4:                               ; =>This Inner Loop Header: Depth=1
	v_mov_b32_e32 v23, s23
	v_add_co_u32_e32 v24, vcc, s22, v0
	v_addc_co_u32_e32 v25, vcc, 0, v23, vcc
	v_cmp_gt_u64_e32 vcc, s[20:21], v[24:25]
	v_mov_b32_e32 v23, 0
	s_and_saveexec_b64 s[2:3], vcc
	s_cbranch_execz .LBB18_6
; %bb.5:                                ;   in Loop: Header=BB18_4 Depth=1
	v_mov_b32_e32 v23, s19
	v_add_co_u32_e64 v24, s[0:1], s18, v2
	v_addc_co_u32_e64 v25, s[0:1], v1, v23, s[0:1]
	global_load_dword v23, v[24:25], off
.LBB18_6:                               ;   in Loop: Header=BB18_4 Depth=1
	s_or_b64 exec, exec, s[2:3]
	v_mov_b32_e32 v25, s23
	v_add_co_u32_e64 v24, s[0:1], s22, v21
	v_addc_co_u32_e64 v25, s[0:1], v22, v25, s[0:1]
	v_cmp_gt_u64_e64 s[0:1], s[20:21], v[24:25]
	v_mov_b32_e32 v25, 0
	s_and_saveexec_b64 s[6:7], s[0:1]
	s_cbranch_execz .LBB18_8
; %bb.7:                                ;   in Loop: Header=BB18_4 Depth=1
	v_mov_b32_e32 v25, s19
	v_add_co_u32_e64 v24, s[2:3], s18, v14
	v_addc_co_u32_e64 v25, s[2:3], v13, v25, s[2:3]
	global_load_dword v25, v[24:25], off
.LBB18_8:                               ;   in Loop: Header=BB18_4 Depth=1
	s_or_b64 exec, exec, s[6:7]
	v_mov_b32_e32 v24, s23
	v_add_co_u32_e64 v26, s[2:3], s22, v19
	v_addc_co_u32_e64 v27, s[2:3], v20, v24, s[2:3]
	v_cmp_gt_u64_e64 s[2:3], s[20:21], v[26:27]
	v_mov_b32_e32 v24, 0
	v_mov_b32_e32 v26, 0
	s_and_saveexec_b64 s[8:9], s[2:3]
	s_cbranch_execz .LBB18_10
; %bb.9:                                ;   in Loop: Header=BB18_4 Depth=1
	v_mov_b32_e32 v27, s19
	v_add_co_u32_e64 v26, s[6:7], s18, v10
	v_addc_co_u32_e64 v27, s[6:7], v9, v27, s[6:7]
	global_load_dword v26, v[26:27], off
.LBB18_10:                              ;   in Loop: Header=BB18_4 Depth=1
	s_or_b64 exec, exec, s[8:9]
	v_mov_b32_e32 v27, s23
	v_add_co_u32_e64 v28, s[6:7], s22, v17
	v_addc_co_u32_e64 v29, s[6:7], v18, v27, s[6:7]
	v_cmp_gt_u64_e64 s[6:7], s[20:21], v[28:29]
	s_and_saveexec_b64 s[24:25], s[6:7]
	s_cbranch_execnz .LBB18_15
; %bb.11:                               ;   in Loop: Header=BB18_4 Depth=1
	s_or_b64 exec, exec, s[24:25]
	s_and_saveexec_b64 s[8:9], vcc
	s_cbranch_execnz .LBB18_16
.LBB18_12:                              ;   in Loop: Header=BB18_4 Depth=1
	s_or_b64 exec, exec, s[8:9]
	s_and_saveexec_b64 s[8:9], s[0:1]
	s_cbranch_execnz .LBB18_17
.LBB18_13:                              ;   in Loop: Header=BB18_4 Depth=1
	s_or_b64 exec, exec, s[8:9]
	s_and_saveexec_b64 s[0:1], s[2:3]
	s_cbranch_execnz .LBB18_18
.LBB18_14:                              ;   in Loop: Header=BB18_4 Depth=1
	s_or_b64 exec, exec, s[0:1]
	s_and_saveexec_b64 s[0:1], s[6:7]
	s_cbranch_execz .LBB18_3
	s_branch .LBB18_19
.LBB18_15:                              ;   in Loop: Header=BB18_4 Depth=1
	v_mov_b32_e32 v24, s19
	v_add_co_u32_e64 v28, s[8:9], s18, v6
	v_addc_co_u32_e64 v29, s[8:9], v5, v24, s[8:9]
	global_load_dword v24, v[28:29], off
	s_or_b64 exec, exec, s[24:25]
	s_and_saveexec_b64 s[8:9], vcc
	s_cbranch_execz .LBB18_12
.LBB18_16:                              ;   in Loop: Header=BB18_4 Depth=1
	v_mov_b32_e32 v27, s19
	v_add_co_u32_e32 v28, vcc, s18, v4
	s_waitcnt vmcnt(0)
	v_add_f32_e32 v23, s12, v23
	v_addc_co_u32_e32 v29, vcc, v3, v27, vcc
	global_store_dword v[28:29], v23, off
	s_or_b64 exec, exec, s[8:9]
	s_and_saveexec_b64 s[8:9], s[0:1]
	s_cbranch_execz .LBB18_13
.LBB18_17:                              ;   in Loop: Header=BB18_4 Depth=1
	s_waitcnt vmcnt(0)
	v_add_f32_e32 v23, s12, v25
	v_mov_b32_e32 v25, s19
	v_add_co_u32_e32 v28, vcc, s18, v16
	v_addc_co_u32_e32 v29, vcc, v15, v25, vcc
	global_store_dword v[28:29], v23, off
	s_or_b64 exec, exec, s[8:9]
	s_and_saveexec_b64 s[0:1], s[2:3]
	s_cbranch_execz .LBB18_14
.LBB18_18:                              ;   in Loop: Header=BB18_4 Depth=1
	s_waitcnt vmcnt(0)
	v_add_f32_e32 v23, s12, v26
	v_mov_b32_e32 v25, s19
	v_add_co_u32_e32 v26, vcc, s18, v12
	v_addc_co_u32_e32 v27, vcc, v11, v25, vcc
	global_store_dword v[26:27], v23, off
	s_or_b64 exec, exec, s[0:1]
	s_and_saveexec_b64 s[0:1], s[6:7]
	s_cbranch_execz .LBB18_3
.LBB18_19:                              ;   in Loop: Header=BB18_4 Depth=1
	s_waitcnt vmcnt(0)
	v_add_f32_e32 v23, s12, v24
	v_mov_b32_e32 v25, s19
	v_add_co_u32_e32 v24, vcc, s18, v8
	v_addc_co_u32_e32 v25, vcc, v7, v25, vcc
	global_store_dword v[24:25], v23, off
	s_branch .LBB18_3
.LBB18_20:
	s_mov_b64 s[0:1], 0
.LBB18_21:
	s_andn2_b64 vcc, exec, s[0:1]
	s_cbranch_vccnz .LBB18_25
; %bb.22:
	v_mov_b32_e32 v3, 0
	v_lshlrev_b32_e32 v2, 2, v0
	s_mov_b32 s0, 0
	v_cmp_gt_i64_e32 vcc, s[16:17], v[2:3]
	s_and_saveexec_b64 s[2:3], vcc
	s_cbranch_execz .LBB18_25
; %bb.23:
	s_load_dword s1, s[4:5], 0xc5c
	v_lshlrev_b32_e32 v1, 4, v0
	v_mov_b32_e32 v4, s19
	s_mov_b32 s13, s12
	s_mov_b64 s[4:5], 0
	s_waitcnt lgkmcnt(0)
	s_and_b32 s1, s1, 0xffff
	v_add_lshl_u32 v2, v0, s1, 2
	v_add_co_u32_e32 v0, vcc, s18, v1
	v_addc_co_u32_e32 v1, vcc, 0, v4, vcc
	v_add_co_u32_e32 v0, vcc, 8, v0
	s_lshl_b32 s8, s1, 2
	v_addc_co_u32_e32 v1, vcc, 0, v1, vcc
	s_lshl_b32 s9, s1, 4
	v_mov_b32_e32 v4, s11
	v_mov_b32_e32 v5, s15
	s_mov_b64 s[6:7], 0xffff
	v_mov_b32_e32 v6, s0
	v_mov_b32_e32 v7, s0
.LBB18_24:                              ; =>This Inner Loop Header: Depth=1
	v_add_co_u32_e32 v8, vcc, s10, v0
	v_addc_co_u32_e32 v9, vcc, v4, v1, vcc
	global_load_dwordx4 v[8:11], v[8:9], off offset:-8
	v_add_co_u32_e32 v12, vcc, s14, v0
	v_addc_co_u32_e32 v13, vcc, v5, v1, vcc
	v_cmp_le_i64_e32 vcc, s[16:17], v[2:3]
	v_cmp_lt_u64_e64 s[0:1], s[6:7], v[2:3]
	v_add_co_u32_e64 v2, s[2:3], s8, v2
	v_addc_co_u32_e64 v3, s[2:3], v3, v6, s[2:3]
	s_or_b64 s[0:1], vcc, s[0:1]
	v_add_co_u32_e64 v0, s[2:3], s9, v0
	s_and_b64 s[0:1], exec, s[0:1]
	v_addc_co_u32_e64 v1, s[2:3], v1, v7, s[2:3]
	s_or_b64 s[4:5], s[0:1], s[4:5]
	s_waitcnt vmcnt(0)
	v_pk_add_f32 v[8:9], v[8:9], s[12:13]
	v_pk_add_f32 v[10:11], v[10:11], s[12:13]
	global_store_dwordx4 v[12:13], v[8:11], off offset:-8
	s_andn2_b64 exec, exec, s[4:5]
	s_cbranch_execnz .LBB18_24
.LBB18_25:
	s_endpgm
	.section	.rodata,"a",@progbits
	.p2align	6, 0x0
	.amdhsa_kernel _ZN2at6native12_GLOBAL__N_125multi_tensor_apply_kernelINS1_18TensorListMetadataILi2EEENS1_21BinaryOpScalarFunctorIfLi2ELi1ELi1EEEJSt4plusIfEfEEEvT_T0_DpT1_
		.amdhsa_group_segment_fixed_size 0
		.amdhsa_private_segment_fixed_size 0
		.amdhsa_kernarg_size 3408
		.amdhsa_user_sgpr_count 6
		.amdhsa_user_sgpr_private_segment_buffer 1
		.amdhsa_user_sgpr_dispatch_ptr 0
		.amdhsa_user_sgpr_queue_ptr 0
		.amdhsa_user_sgpr_kernarg_segment_ptr 1
		.amdhsa_user_sgpr_dispatch_id 0
		.amdhsa_user_sgpr_flat_scratch_init 0
		.amdhsa_user_sgpr_kernarg_preload_length 0
		.amdhsa_user_sgpr_kernarg_preload_offset 0
		.amdhsa_user_sgpr_private_segment_size 0
		.amdhsa_uses_dynamic_stack 0
		.amdhsa_system_sgpr_private_segment_wavefront_offset 0
		.amdhsa_system_sgpr_workgroup_id_x 1
		.amdhsa_system_sgpr_workgroup_id_y 0
		.amdhsa_system_sgpr_workgroup_id_z 0
		.amdhsa_system_sgpr_workgroup_info 0
		.amdhsa_system_vgpr_workitem_id 0
		.amdhsa_next_free_vgpr 30
		.amdhsa_next_free_sgpr 28
		.amdhsa_accum_offset 32
		.amdhsa_reserve_vcc 1
		.amdhsa_reserve_flat_scratch 0
		.amdhsa_float_round_mode_32 0
		.amdhsa_float_round_mode_16_64 0
		.amdhsa_float_denorm_mode_32 3
		.amdhsa_float_denorm_mode_16_64 3
		.amdhsa_dx10_clamp 1
		.amdhsa_ieee_mode 1
		.amdhsa_fp16_overflow 0
		.amdhsa_tg_split 0
		.amdhsa_exception_fp_ieee_invalid_op 0
		.amdhsa_exception_fp_denorm_src 0
		.amdhsa_exception_fp_ieee_div_zero 0
		.amdhsa_exception_fp_ieee_overflow 0
		.amdhsa_exception_fp_ieee_underflow 0
		.amdhsa_exception_fp_ieee_inexact 0
		.amdhsa_exception_int_div_zero 0
	.end_amdhsa_kernel
	.section	.text._ZN2at6native12_GLOBAL__N_125multi_tensor_apply_kernelINS1_18TensorListMetadataILi2EEENS1_21BinaryOpScalarFunctorIfLi2ELi1ELi1EEEJSt4plusIfEfEEEvT_T0_DpT1_,"axG",@progbits,_ZN2at6native12_GLOBAL__N_125multi_tensor_apply_kernelINS1_18TensorListMetadataILi2EEENS1_21BinaryOpScalarFunctorIfLi2ELi1ELi1EEEJSt4plusIfEfEEEvT_T0_DpT1_,comdat
.Lfunc_end18:
	.size	_ZN2at6native12_GLOBAL__N_125multi_tensor_apply_kernelINS1_18TensorListMetadataILi2EEENS1_21BinaryOpScalarFunctorIfLi2ELi1ELi1EEEJSt4plusIfEfEEEvT_T0_DpT1_, .Lfunc_end18-_ZN2at6native12_GLOBAL__N_125multi_tensor_apply_kernelINS1_18TensorListMetadataILi2EEENS1_21BinaryOpScalarFunctorIfLi2ELi1ELi1EEEJSt4plusIfEfEEEvT_T0_DpT1_
                                        ; -- End function
	.section	.AMDGPU.csdata,"",@progbits
; Kernel info:
; codeLenInByte = 1264
; NumSgprs: 32
; NumVgprs: 30
; NumAgprs: 0
; TotalNumVgprs: 30
; ScratchSize: 0
; MemoryBound: 0
; FloatMode: 240
; IeeeMode: 1
; LDSByteSize: 0 bytes/workgroup (compile time only)
; SGPRBlocks: 3
; VGPRBlocks: 3
; NumSGPRsForWavesPerEU: 32
; NumVGPRsForWavesPerEU: 30
; AccumOffset: 32
; Occupancy: 8
; WaveLimiterHint : 0
; COMPUTE_PGM_RSRC2:SCRATCH_EN: 0
; COMPUTE_PGM_RSRC2:USER_SGPR: 6
; COMPUTE_PGM_RSRC2:TRAP_HANDLER: 0
; COMPUTE_PGM_RSRC2:TGID_X_EN: 1
; COMPUTE_PGM_RSRC2:TGID_Y_EN: 0
; COMPUTE_PGM_RSRC2:TGID_Z_EN: 0
; COMPUTE_PGM_RSRC2:TIDIG_COMP_CNT: 0
; COMPUTE_PGM_RSRC3_GFX90A:ACCUM_OFFSET: 7
; COMPUTE_PGM_RSRC3_GFX90A:TG_SPLIT: 0
	.section	.text._ZN2at6native12_GLOBAL__N_125multi_tensor_apply_kernelINS1_18TensorListMetadataILi2EEENS1_21BinaryOpScalarFunctorIN3c107complexIdEELi2ELi1ELi1EEEJSt4plusIS8_ES8_EEEvT_T0_DpT1_,"axG",@progbits,_ZN2at6native12_GLOBAL__N_125multi_tensor_apply_kernelINS1_18TensorListMetadataILi2EEENS1_21BinaryOpScalarFunctorIN3c107complexIdEELi2ELi1ELi1EEEJSt4plusIS8_ES8_EEEvT_T0_DpT1_,comdat
	.globl	_ZN2at6native12_GLOBAL__N_125multi_tensor_apply_kernelINS1_18TensorListMetadataILi2EEENS1_21BinaryOpScalarFunctorIN3c107complexIdEELi2ELi1ELi1EEEJSt4plusIS8_ES8_EEEvT_T0_DpT1_ ; -- Begin function _ZN2at6native12_GLOBAL__N_125multi_tensor_apply_kernelINS1_18TensorListMetadataILi2EEENS1_21BinaryOpScalarFunctorIN3c107complexIdEELi2ELi1ELi1EEEJSt4plusIS8_ES8_EEEvT_T0_DpT1_
	.p2align	8
	.type	_ZN2at6native12_GLOBAL__N_125multi_tensor_apply_kernelINS1_18TensorListMetadataILi2EEENS1_21BinaryOpScalarFunctorIN3c107complexIdEELi2ELi1ELi1EEEJSt4plusIS8_ES8_EEEvT_T0_DpT1_,@function
_ZN2at6native12_GLOBAL__N_125multi_tensor_apply_kernelINS1_18TensorListMetadataILi2EEENS1_21BinaryOpScalarFunctorIN3c107complexIdEELi2ELi1ELi1EEEJSt4plusIS8_ES8_EEEvT_T0_DpT1_: ; @_ZN2at6native12_GLOBAL__N_125multi_tensor_apply_kernelINS1_18TensorListMetadataILi2EEENS1_21BinaryOpScalarFunctorIN3c107complexIdEELi2ELi1ELi1EEEJSt4plusIS8_ES8_EEEvT_T0_DpT1_
; %bb.0:
	v_mov_b32_e32 v1, s6
	global_load_ubyte v1, v1, s[4:5] offset:1536
	s_add_u32 s0, s4, s6
	s_mul_hi_u32 s1, s6, 3
	s_mul_i32 s6, s6, 3
	s_addc_u32 s2, s5, 0
	s_add_u32 s0, s0, s6
	s_addc_u32 s1, s2, s1
	s_load_dword s18, s[0:1], 0x740
	s_load_dwordx4 s[12:15], s[4:5], 0xc50
	s_mov_b32 s7, 0
	s_mov_b32 s9, s7
	;; [unrolled: 1-line block ×3, first 2 shown]
	s_waitcnt lgkmcnt(0)
	s_ashr_i32 s19, s18, 31
	s_lshl_b64 s[16:17], s[18:19], 20
	s_waitcnt vmcnt(0)
	v_readfirstlane_b32 s0, v1
	s_lshl_b32 s6, s0, 3
	s_load_dwordx2 s[2:3], s[4:5], s6 offset:0x0
	s_load_dwordx2 s[20:21], s[4:5], s6 offset:0x400
	;; [unrolled: 1-line block ×3, first 2 shown]
	s_waitcnt lgkmcnt(0)
	s_add_u32 s26, s2, s16
	s_addc_u32 s27, s3, s17
	s_add_u32 s28, s0, s16
	s_addc_u32 s29, s1, s17
	s_and_b32 s8, s26, 63
	s_and_b32 s10, s20, 3
	;; [unrolled: 1-line block ×3, first 2 shown]
	s_or_b64 s[8:9], s[8:9], s[10:11]
	s_or_b64 s[6:7], s[6:7], s[8:9]
	s_lshl_b64 s[8:9], s[18:19], 16
	s_sub_u32 s10, s20, s8
	s_subb_u32 s11, s21, s9
	s_cmp_eq_u64 s[6:7], 0
	s_mov_b64 s[6:7], -1
	s_cbranch_scc1 .LBB19_21
; %bb.1:
	v_cmp_lt_i64_e64 s[6:7], s[10:11], 1
	s_and_b64 vcc, exec, s[6:7]
	s_cbranch_vccnz .LBB19_20
; %bb.2:
	s_load_dword s6, s[4:5], 0xc6c
	v_mov_b32_e32 v2, 0x10000
	v_mov_b32_e32 v3, 0
	v_cmp_lt_u64_e32 vcc, s[10:11], v[2:3]
	v_lshl_or_b32 v2, v0, 4, 8
	s_waitcnt lgkmcnt(0)
	s_and_b32 s31, s6, 0xffff
	s_and_b64 s[6:7], vcc, exec
	v_mov_b32_e32 v6, s3
	v_add_co_u32_e32 v18, vcc, s2, v2
	v_addc_co_u32_e32 v19, vcc, 0, v6, vcc
	v_mov_b32_e32 v7, s1
	v_add_co_u32_e32 v20, vcc, s0, v2
	v_mov_b32_e32 v1, 0
	v_addc_co_u32_e32 v21, vcc, 0, v7, vcc
	v_add_lshl_u32 v8, v0, s31, 4
	v_mov_b32_e32 v3, v1
	v_add_co_u32_e32 v22, vcc, s0, v8
	v_addc_co_u32_e32 v23, vcc, 0, v7, vcc
	v_mad_u64_u32 v[4:5], s[6:7], s31, 48, v[2:3]
	v_add_co_u32_e32 v24, vcc, s2, v4
	v_addc_co_u32_e32 v25, vcc, v6, v5, vcc
	v_add_co_u32_e32 v26, vcc, s2, v8
	v_addc_co_u32_e32 v27, vcc, 0, v6, vcc
	v_add_co_u32_e32 v28, vcc, s0, v4
	s_cselect_b32 s19, s11, 0
	s_cselect_b32 s18, s10, 0x10000
	v_addc_co_u32_e32 v29, vcc, v7, v5, vcc
	s_lshl_b32 s1, s31, 5
	v_add_co_u32_e32 v2, vcc, s1, v2
	v_addc_co_u32_e64 v3, s[6:7], 0, 0, vcc
	v_add_co_u32_e32 v30, vcc, s2, v2
	s_mov_b32 s30, 0
	v_addc_co_u32_e32 v31, vcc, v6, v3, vcc
	s_lshl_b32 s20, s31, 2
	s_mov_b32 s21, s30
	v_add_co_u32_e32 v32, vcc, s0, v2
	s_lshl_b32 s33, s31, 1
	s_mov_b32 s34, s30
	s_mul_i32 s35, s31, 3
	s_mov_b32 s36, s30
	s_lshl_b32 s37, s31, 6
	s_mov_b32 s38, s30
	v_addc_co_u32_e32 v33, vcc, v7, v3, vcc
	v_pk_mov_b32 v[34:35], v[0:1], v[0:1] op_sel:[0,1]
	s_mov_b64 s[22:23], s[20:21]
	s_branch .LBB19_4
.LBB19_3:                               ;   in Loop: Header=BB19_4 Depth=1
	s_or_b64 exec, exec, s[0:1]
	s_waitcnt vmcnt(0)
	v_pk_mov_b32 v[2:3], s[10:11], s[10:11] op_sel:[0,1]
	v_cmp_lt_i64_e32 vcc, s[22:23], v[2:3]
	v_mov_b32_e32 v2, 0x10000
	v_mov_b32_e32 v3, 0
	v_cmp_lt_u64_e64 s[0:1], s[22:23], v[2:3]
	s_and_b64 s[0:1], vcc, s[0:1]
	v_mov_b32_e32 v1, s21
	v_add_co_u32_e32 v34, vcc, s20, v34
	v_addc_co_u32_e32 v35, vcc, v35, v1, vcc
	v_mov_b32_e32 v1, s38
	v_add_co_u32_e32 v18, vcc, s37, v18
	v_addc_co_u32_e32 v19, vcc, v19, v1, vcc
	v_add_co_u32_e32 v20, vcc, s37, v20
	v_addc_co_u32_e32 v21, vcc, v21, v1, vcc
	;; [unrolled: 2-line block ×7, first 2 shown]
	v_add_co_u32_e32 v32, vcc, s37, v32
	s_add_u32 s22, s22, s20
	v_addc_co_u32_e32 v33, vcc, v33, v1, vcc
	s_addc_u32 s23, s23, 0
	s_and_b64 vcc, exec, s[0:1]
	s_cbranch_vccz .LBB19_20
.LBB19_4:                               ; =>This Inner Loop Header: Depth=1
	v_pk_mov_b32 v[4:5], 0, 0
	v_cmp_gt_u64_e32 vcc, s[18:19], v[34:35]
	v_pk_mov_b32 v[8:9], v[4:5], v[4:5] op_sel:[0,1]
	v_pk_mov_b32 v[6:7], v[4:5], v[4:5] op_sel:[0,1]
	s_and_saveexec_b64 s[2:3], vcc
	s_cbranch_execz .LBB19_6
; %bb.5:                                ;   in Loop: Header=BB19_4 Depth=1
	v_mov_b32_e32 v1, s17
	v_add_co_u32_e64 v2, s[0:1], s16, v18
	v_addc_co_u32_e64 v3, s[0:1], v19, v1, s[0:1]
	global_load_dwordx4 v[6:9], v[2:3], off offset:-8
.LBB19_6:                               ;   in Loop: Header=BB19_4 Depth=1
	s_or_b64 exec, exec, s[2:3]
	v_mov_b32_e32 v1, s30
	v_add_co_u32_e64 v2, s[0:1], s31, v34
	v_addc_co_u32_e64 v3, s[0:1], v1, v35, s[0:1]
	v_cmp_gt_u64_e64 s[0:1], s[18:19], v[2:3]
	v_pk_mov_b32 v[2:3], v[4:5], v[4:5] op_sel:[0,1]
	s_and_saveexec_b64 s[6:7], s[0:1]
	s_cbranch_execz .LBB19_8
; %bb.7:                                ;   in Loop: Header=BB19_4 Depth=1
	v_mov_b32_e32 v1, s17
	v_add_co_u32_e64 v2, s[2:3], s16, v26
	v_addc_co_u32_e64 v3, s[2:3], v27, v1, s[2:3]
	global_load_dwordx4 v[2:5], v[2:3], off
.LBB19_8:                               ;   in Loop: Header=BB19_4 Depth=1
	s_or_b64 exec, exec, s[6:7]
	v_mov_b32_e32 v1, s34
	v_add_co_u32_e64 v10, s[2:3], s33, v34
	v_addc_co_u32_e64 v11, s[2:3], v1, v35, s[2:3]
	v_pk_mov_b32 v[12:13], 0, 0
	v_cmp_gt_u64_e64 s[2:3], s[18:19], v[10:11]
	v_pk_mov_b32 v[16:17], v[12:13], v[12:13] op_sel:[0,1]
	v_pk_mov_b32 v[14:15], v[12:13], v[12:13] op_sel:[0,1]
	s_and_saveexec_b64 s[8:9], s[2:3]
	s_cbranch_execz .LBB19_10
; %bb.9:                                ;   in Loop: Header=BB19_4 Depth=1
	v_mov_b32_e32 v1, s17
	v_add_co_u32_e64 v10, s[6:7], s16, v30
	v_addc_co_u32_e64 v11, s[6:7], v31, v1, s[6:7]
	global_load_dwordx4 v[14:17], v[10:11], off offset:-8
.LBB19_10:                              ;   in Loop: Header=BB19_4 Depth=1
	s_or_b64 exec, exec, s[8:9]
	v_mov_b32_e32 v1, s36
	v_add_co_u32_e64 v10, s[6:7], s35, v34
	v_addc_co_u32_e64 v11, s[6:7], v1, v35, s[6:7]
	v_cmp_gt_u64_e64 s[6:7], s[18:19], v[10:11]
	v_pk_mov_b32 v[10:11], v[12:13], v[12:13] op_sel:[0,1]
	s_and_saveexec_b64 s[24:25], s[6:7]
	s_cbranch_execnz .LBB19_15
; %bb.11:                               ;   in Loop: Header=BB19_4 Depth=1
	s_or_b64 exec, exec, s[24:25]
	s_and_saveexec_b64 s[8:9], vcc
	s_cbranch_execnz .LBB19_16
.LBB19_12:                              ;   in Loop: Header=BB19_4 Depth=1
	s_or_b64 exec, exec, s[8:9]
	s_and_saveexec_b64 s[8:9], s[0:1]
	s_cbranch_execnz .LBB19_17
.LBB19_13:                              ;   in Loop: Header=BB19_4 Depth=1
	s_or_b64 exec, exec, s[8:9]
	s_and_saveexec_b64 s[0:1], s[2:3]
	s_cbranch_execnz .LBB19_18
.LBB19_14:                              ;   in Loop: Header=BB19_4 Depth=1
	s_or_b64 exec, exec, s[0:1]
	s_and_saveexec_b64 s[0:1], s[6:7]
	s_cbranch_execz .LBB19_3
	s_branch .LBB19_19
.LBB19_15:                              ;   in Loop: Header=BB19_4 Depth=1
	v_mov_b32_e32 v1, s17
	v_add_co_u32_e64 v10, s[8:9], s16, v24
	v_addc_co_u32_e64 v11, s[8:9], v25, v1, s[8:9]
	global_load_dwordx4 v[10:13], v[10:11], off offset:-8
	s_or_b64 exec, exec, s[24:25]
	s_and_saveexec_b64 s[8:9], vcc
	s_cbranch_execz .LBB19_12
.LBB19_16:                              ;   in Loop: Header=BB19_4 Depth=1
	v_mov_b32_e32 v1, s17
	v_add_co_u32_e32 v36, vcc, s16, v20
	v_addc_co_u32_e32 v37, vcc, v21, v1, vcc
	s_waitcnt vmcnt(0)
	v_add_f64 v[6:7], s[12:13], v[6:7]
	v_add_f64 v[8:9], s[14:15], v[8:9]
	global_store_dwordx4 v[36:37], v[6:9], off offset:-8
	s_or_b64 exec, exec, s[8:9]
	s_and_saveexec_b64 s[8:9], s[0:1]
	s_cbranch_execz .LBB19_13
.LBB19_17:                              ;   in Loop: Header=BB19_4 Depth=1
	v_mov_b32_e32 v1, s17
	s_waitcnt vmcnt(0)
	v_add_co_u32_e32 v6, vcc, s16, v22
	v_add_f64 v[2:3], s[12:13], v[2:3]
	v_add_f64 v[4:5], s[14:15], v[4:5]
	v_addc_co_u32_e32 v7, vcc, v23, v1, vcc
	global_store_dwordx4 v[6:7], v[2:5], off
	s_or_b64 exec, exec, s[8:9]
	s_and_saveexec_b64 s[0:1], s[2:3]
	s_cbranch_execz .LBB19_14
.LBB19_18:                              ;   in Loop: Header=BB19_4 Depth=1
	v_mov_b32_e32 v1, s17
	s_waitcnt vmcnt(0)
	v_add_co_u32_e32 v6, vcc, s16, v32
	v_add_f64 v[2:3], s[12:13], v[14:15]
	v_add_f64 v[4:5], s[14:15], v[16:17]
	v_addc_co_u32_e32 v7, vcc, v33, v1, vcc
	global_store_dwordx4 v[6:7], v[2:5], off offset:-8
	s_or_b64 exec, exec, s[0:1]
	s_and_saveexec_b64 s[0:1], s[6:7]
	s_cbranch_execz .LBB19_3
.LBB19_19:                              ;   in Loop: Header=BB19_4 Depth=1
	v_mov_b32_e32 v1, s17
	s_waitcnt vmcnt(0)
	v_add_co_u32_e32 v6, vcc, s16, v28
	v_add_f64 v[2:3], s[12:13], v[10:11]
	v_add_f64 v[4:5], s[14:15], v[12:13]
	v_addc_co_u32_e32 v7, vcc, v29, v1, vcc
	global_store_dwordx4 v[6:7], v[2:5], off offset:-8
	s_branch .LBB19_3
.LBB19_20:
	s_mov_b64 s[6:7], 0
.LBB19_21:
	s_andn2_b64 vcc, exec, s[6:7]
	s_cbranch_vccnz .LBB19_25
; %bb.22:
	v_mov_b32_e32 v3, 0
	v_lshlrev_b32_e32 v2, 2, v0
	s_mov_b32 s0, 0
	v_cmp_gt_i64_e32 vcc, s[10:11], v[2:3]
	s_and_saveexec_b64 s[2:3], vcc
	s_cbranch_execz .LBB19_25
; %bb.23:
	s_load_dword s1, s[4:5], 0xc6c
	v_lshlrev_b32_e32 v4, 6, v0
	s_mov_b64 s[4:5], 0
	s_mov_b64 s[6:7], 0xffff
	s_waitcnt lgkmcnt(0)
	s_and_b32 s1, s1, 0xffff
	v_add_lshl_u32 v2, v0, s1, 2
	s_lshl_b32 s8, s1, 2
	s_lshl_b32 s9, s1, 6
	v_mov_b32_e32 v0, s0
.LBB19_24:                              ; =>This Inner Loop Header: Depth=1
	v_mov_b32_e32 v1, s27
	v_add_co_u32_e32 v22, vcc, s26, v4
	v_addc_co_u32_e32 v23, vcc, 0, v1, vcc
	global_load_dwordx4 v[6:9], v[22:23], off
	global_load_dwordx4 v[10:13], v[22:23], off offset:16
	global_load_dwordx4 v[14:17], v[22:23], off offset:32
	;; [unrolled: 1-line block ×3, first 2 shown]
	v_cmp_le_i64_e32 vcc, s[10:11], v[2:3]
	v_cmp_lt_u64_e64 s[0:1], s[6:7], v[2:3]
	s_or_b64 s[0:1], vcc, s[0:1]
	v_add_co_u32_e64 v2, s[2:3], s8, v2
	s_add_u32 s26, s26, s9
	v_addc_co_u32_e64 v3, s[2:3], v3, v0, s[2:3]
	s_addc_u32 s27, s27, 0
	v_add_co_u32_e64 v22, s[2:3], s28, v4
	s_add_u32 s28, s28, s9
	v_mov_b32_e32 v1, s29
	s_addc_u32 s29, s29, 0
	s_and_b64 s[0:1], exec, s[0:1]
	v_addc_co_u32_e64 v23, s[2:3], 0, v1, s[2:3]
	s_or_b64 s[4:5], s[0:1], s[4:5]
	s_waitcnt vmcnt(3)
	v_add_f64 v[6:7], s[12:13], v[6:7]
	v_add_f64 v[8:9], s[14:15], v[8:9]
	s_waitcnt vmcnt(2)
	v_add_f64 v[10:11], s[12:13], v[10:11]
	v_add_f64 v[12:13], s[14:15], v[12:13]
	;; [unrolled: 3-line block ×4, first 2 shown]
	global_store_dwordx4 v[22:23], v[6:9], off
	global_store_dwordx4 v[22:23], v[10:13], off offset:16
	global_store_dwordx4 v[22:23], v[14:17], off offset:32
	;; [unrolled: 1-line block ×3, first 2 shown]
	s_andn2_b64 exec, exec, s[4:5]
	s_cbranch_execnz .LBB19_24
.LBB19_25:
	s_endpgm
	.section	.rodata,"a",@progbits
	.p2align	6, 0x0
	.amdhsa_kernel _ZN2at6native12_GLOBAL__N_125multi_tensor_apply_kernelINS1_18TensorListMetadataILi2EEENS1_21BinaryOpScalarFunctorIN3c107complexIdEELi2ELi1ELi1EEEJSt4plusIS8_ES8_EEEvT_T0_DpT1_
		.amdhsa_group_segment_fixed_size 0
		.amdhsa_private_segment_fixed_size 0
		.amdhsa_kernarg_size 3424
		.amdhsa_user_sgpr_count 6
		.amdhsa_user_sgpr_private_segment_buffer 1
		.amdhsa_user_sgpr_dispatch_ptr 0
		.amdhsa_user_sgpr_queue_ptr 0
		.amdhsa_user_sgpr_kernarg_segment_ptr 1
		.amdhsa_user_sgpr_dispatch_id 0
		.amdhsa_user_sgpr_flat_scratch_init 0
		.amdhsa_user_sgpr_kernarg_preload_length 0
		.amdhsa_user_sgpr_kernarg_preload_offset 0
		.amdhsa_user_sgpr_private_segment_size 0
		.amdhsa_uses_dynamic_stack 0
		.amdhsa_system_sgpr_private_segment_wavefront_offset 0
		.amdhsa_system_sgpr_workgroup_id_x 1
		.amdhsa_system_sgpr_workgroup_id_y 0
		.amdhsa_system_sgpr_workgroup_id_z 0
		.amdhsa_system_sgpr_workgroup_info 0
		.amdhsa_system_vgpr_workitem_id 0
		.amdhsa_next_free_vgpr 38
		.amdhsa_next_free_sgpr 39
		.amdhsa_accum_offset 40
		.amdhsa_reserve_vcc 1
		.amdhsa_reserve_flat_scratch 0
		.amdhsa_float_round_mode_32 0
		.amdhsa_float_round_mode_16_64 0
		.amdhsa_float_denorm_mode_32 3
		.amdhsa_float_denorm_mode_16_64 3
		.amdhsa_dx10_clamp 1
		.amdhsa_ieee_mode 1
		.amdhsa_fp16_overflow 0
		.amdhsa_tg_split 0
		.amdhsa_exception_fp_ieee_invalid_op 0
		.amdhsa_exception_fp_denorm_src 0
		.amdhsa_exception_fp_ieee_div_zero 0
		.amdhsa_exception_fp_ieee_overflow 0
		.amdhsa_exception_fp_ieee_underflow 0
		.amdhsa_exception_fp_ieee_inexact 0
		.amdhsa_exception_int_div_zero 0
	.end_amdhsa_kernel
	.section	.text._ZN2at6native12_GLOBAL__N_125multi_tensor_apply_kernelINS1_18TensorListMetadataILi2EEENS1_21BinaryOpScalarFunctorIN3c107complexIdEELi2ELi1ELi1EEEJSt4plusIS8_ES8_EEEvT_T0_DpT1_,"axG",@progbits,_ZN2at6native12_GLOBAL__N_125multi_tensor_apply_kernelINS1_18TensorListMetadataILi2EEENS1_21BinaryOpScalarFunctorIN3c107complexIdEELi2ELi1ELi1EEEJSt4plusIS8_ES8_EEEvT_T0_DpT1_,comdat
.Lfunc_end19:
	.size	_ZN2at6native12_GLOBAL__N_125multi_tensor_apply_kernelINS1_18TensorListMetadataILi2EEENS1_21BinaryOpScalarFunctorIN3c107complexIdEELi2ELi1ELi1EEEJSt4plusIS8_ES8_EEEvT_T0_DpT1_, .Lfunc_end19-_ZN2at6native12_GLOBAL__N_125multi_tensor_apply_kernelINS1_18TensorListMetadataILi2EEENS1_21BinaryOpScalarFunctorIN3c107complexIdEELi2ELi1ELi1EEEJSt4plusIS8_ES8_EEEvT_T0_DpT1_
                                        ; -- End function
	.section	.AMDGPU.csdata,"",@progbits
; Kernel info:
; codeLenInByte = 1464
; NumSgprs: 43
; NumVgprs: 38
; NumAgprs: 0
; TotalNumVgprs: 38
; ScratchSize: 0
; MemoryBound: 1
; FloatMode: 240
; IeeeMode: 1
; LDSByteSize: 0 bytes/workgroup (compile time only)
; SGPRBlocks: 5
; VGPRBlocks: 4
; NumSGPRsForWavesPerEU: 43
; NumVGPRsForWavesPerEU: 38
; AccumOffset: 40
; Occupancy: 8
; WaveLimiterHint : 0
; COMPUTE_PGM_RSRC2:SCRATCH_EN: 0
; COMPUTE_PGM_RSRC2:USER_SGPR: 6
; COMPUTE_PGM_RSRC2:TRAP_HANDLER: 0
; COMPUTE_PGM_RSRC2:TGID_X_EN: 1
; COMPUTE_PGM_RSRC2:TGID_Y_EN: 0
; COMPUTE_PGM_RSRC2:TGID_Z_EN: 0
; COMPUTE_PGM_RSRC2:TIDIG_COMP_CNT: 0
; COMPUTE_PGM_RSRC3_GFX90A:ACCUM_OFFSET: 9
; COMPUTE_PGM_RSRC3_GFX90A:TG_SPLIT: 0
	.section	.text._ZN2at6native12_GLOBAL__N_125multi_tensor_apply_kernelINS1_18TensorListMetadataILi2EEENS1_21BinaryOpScalarFunctorIN3c107complexIfEELi2ELi1ELi1EEEJSt4plusIS8_ES8_EEEvT_T0_DpT1_,"axG",@progbits,_ZN2at6native12_GLOBAL__N_125multi_tensor_apply_kernelINS1_18TensorListMetadataILi2EEENS1_21BinaryOpScalarFunctorIN3c107complexIfEELi2ELi1ELi1EEEJSt4plusIS8_ES8_EEEvT_T0_DpT1_,comdat
	.globl	_ZN2at6native12_GLOBAL__N_125multi_tensor_apply_kernelINS1_18TensorListMetadataILi2EEENS1_21BinaryOpScalarFunctorIN3c107complexIfEELi2ELi1ELi1EEEJSt4plusIS8_ES8_EEEvT_T0_DpT1_ ; -- Begin function _ZN2at6native12_GLOBAL__N_125multi_tensor_apply_kernelINS1_18TensorListMetadataILi2EEENS1_21BinaryOpScalarFunctorIN3c107complexIfEELi2ELi1ELi1EEEJSt4plusIS8_ES8_EEEvT_T0_DpT1_
	.p2align	8
	.type	_ZN2at6native12_GLOBAL__N_125multi_tensor_apply_kernelINS1_18TensorListMetadataILi2EEENS1_21BinaryOpScalarFunctorIN3c107complexIfEELi2ELi1ELi1EEEJSt4plusIS8_ES8_EEEvT_T0_DpT1_,@function
_ZN2at6native12_GLOBAL__N_125multi_tensor_apply_kernelINS1_18TensorListMetadataILi2EEENS1_21BinaryOpScalarFunctorIN3c107complexIfEELi2ELi1ELi1EEEJSt4plusIS8_ES8_EEEvT_T0_DpT1_: ; @_ZN2at6native12_GLOBAL__N_125multi_tensor_apply_kernelINS1_18TensorListMetadataILi2EEENS1_21BinaryOpScalarFunctorIN3c107complexIfEELi2ELi1ELi1EEEJSt4plusIS8_ES8_EEEvT_T0_DpT1_
; %bb.0:
	v_mov_b32_e32 v1, s8
	global_load_ubyte v1, v1, s[6:7] offset:1536
	s_load_dwordx2 s[0:1], s[4:5], 0x4
	v_and_b32_e32 v2, 0x3ff, v0
	s_mul_hi_u32 s2, s8, 3
	s_mul_i32 s3, s8, 3
	v_bfe_u32 v3, v0, 10, 10
	s_waitcnt lgkmcnt(0)
	s_lshr_b32 s0, s0, 16
	s_add_u32 s4, s6, s8
	s_mul_i32 s0, s0, s1
	s_addc_u32 s8, s7, 0
	v_mul_lo_u32 v4, s0, v2
	s_add_u32 s0, s4, s3
	v_mad_u32_u24 v3, v3, s1, v4
	s_addc_u32 s1, s8, s2
	s_load_dword s16, s[0:1], 0x740
	s_mov_b32 s11, 0
	s_mov_b32 s5, s11
	;; [unrolled: 1-line block ×3, first 2 shown]
	v_bfe_u32 v0, v0, 20, 10
	s_waitcnt lgkmcnt(0)
	s_ashr_i32 s17, s16, 31
	s_lshl_b64 s[12:13], s[16:17], 19
	v_add_lshl_u32 v4, v3, v0, 3
	s_waitcnt vmcnt(0)
	v_readfirstlane_b32 s0, v1
	s_lshl_b32 s4, s0, 3
	s_load_dwordx2 s[2:3], s[6:7], s4 offset:0x0
	s_load_dwordx2 s[8:9], s[6:7], 0xc50
	s_load_dwordx2 s[18:19], s[6:7], s4 offset:0x400
	s_load_dwordx2 s[0:1], s[6:7], s4 offset:0x200
	s_waitcnt lgkmcnt(0)
	s_add_u32 s20, s2, s12
	s_addc_u32 s21, s3, s13
	s_add_u32 s22, s0, s12
	s_addc_u32 s23, s1, s13
	s_and_b32 s4, s20, 31
	s_and_b32 s14, s18, 3
	;; [unrolled: 1-line block ×3, first 2 shown]
	s_or_b64 s[4:5], s[4:5], s[14:15]
	s_or_b64 s[4:5], s[10:11], s[4:5]
	s_lshl_b64 s[10:11], s[16:17], 16
	s_sub_u32 s10, s18, s10
	s_subb_u32 s11, s19, s11
	s_cmp_eq_u64 s[4:5], 0
	s_mov_b64 s[4:5], -1
	s_cbranch_scc1 .LBB20_19
; %bb.1:
	v_cmp_lt_i64_e64 s[4:5], s[10:11], 1
	s_and_b64 vcc, exec, s[4:5]
	s_cbranch_vccnz .LBB20_18
; %bb.2:
	s_load_dword s4, s[6:7], 0xc64
	v_mov_b32_e32 v6, 0x10000
	v_mov_b32_e32 v7, 0
	v_cmp_lt_u64_e32 vcc, s[10:11], v[6:7]
	v_lshlrev_b32_e32 v14, 3, v2
	s_waitcnt lgkmcnt(0)
	s_and_b32 s16, s4, 0xffff
	s_and_b64 s[4:5], vcc, exec
	v_mov_b32_e32 v1, s3
	v_add_co_u32_e32 v6, vcc, s2, v14
	v_mov_b32_e32 v0, 0
	v_addc_co_u32_e32 v5, vcc, 0, v1, vcc
	s_mov_b64 s[4:5], src_shared_base
	v_mov_b32_e32 v15, v0
	v_mov_b32_e32 v19, s1
	v_add_co_u32_e32 v8, vcc, s0, v14
	v_mov_b32_e32 v3, s5
	v_addc_co_u32_e32 v7, vcc, 0, v19, vcc
	v_mad_u64_u32 v[12:13], s[4:5], s16, 24, v[14:15]
	v_add_co_u32_e32 v10, vcc, s2, v12
	v_addc_co_u32_e32 v9, vcc, v1, v13, vcc
	v_add_co_u32_e32 v12, vcc, s0, v12
	s_mul_i32 s18, s16, 3
	v_addc_co_u32_e32 v11, vcc, v19, v13, vcc
	s_cselect_b32 s15, s11, 0
	s_cselect_b32 s14, s10, 0x10000
	v_add_co_u32_e32 v21, vcc, s18, v2
	s_lshl_b32 s1, s16, 4
	v_addc_co_u32_e64 v30, s[4:5], 0, 0, vcc
	v_add_co_u32_e32 v15, vcc, s1, v14
	v_addc_co_u32_e64 v17, s[4:5], 0, 0, vcc
	v_add_co_u32_e32 v14, vcc, s2, v15
	v_addc_co_u32_e32 v13, vcc, v1, v17, vcc
	v_add_co_u32_e32 v16, vcc, s0, v15
	s_lshl_b32 s17, s16, 1
	v_addc_co_u32_e32 v15, vcc, v19, v17, vcc
	v_add_co_u32_e32 v31, vcc, s17, v2
	v_addc_co_u32_e64 v32, s[4:5], 0, 0, vcc
	v_add_co_u32_e32 v33, vcc, s16, v2
	v_lshlrev_b32_e32 v20, 3, v33
	v_addc_co_u32_e64 v34, s[4:5], 0, 0, vcc
	v_add_co_u32_e32 v18, vcc, s2, v20
	v_addc_co_u32_e32 v17, vcc, 0, v1, vcc
	v_add_co_u32_e32 v20, vcc, s0, v20
	s_mov_b32 s24, 0
	s_lshl_b32 s25, s16, 2
	s_lshl_b32 s26, s16, 5
	v_addc_co_u32_e32 v19, vcc, 0, v19, vcc
	s_mov_b64 s[16:17], 0
	s_branch .LBB20_4
.LBB20_3:                               ;   in Loop: Header=BB20_4 Depth=1
	s_or_b64 exec, exec, s[0:1]
	s_add_u32 s16, s16, s25
	s_addc_u32 s17, s17, 0
	v_pk_mov_b32 v[22:23], s[10:11], s[10:11] op_sel:[0,1]
	v_cmp_ge_i64_e32 vcc, s[16:17], v[22:23]
	v_mov_b32_e32 v22, 0xffff
	v_mov_b32_e32 v23, 0
	v_cmp_gt_u64_e64 s[0:1], s[16:17], v[22:23]
	s_or_b64 s[0:1], vcc, s[0:1]
	v_mov_b32_e32 v1, s24
	v_add_co_u32_e32 v6, vcc, s26, v6
	v_addc_co_u32_e32 v5, vcc, v5, v1, vcc
	v_add_co_u32_e32 v8, vcc, s26, v8
	v_addc_co_u32_e32 v7, vcc, v7, v1, vcc
	;; [unrolled: 2-line block ×8, first 2 shown]
	s_and_b64 vcc, exec, s[0:1]
	s_cbranch_vccnz .LBB20_18
.LBB20_4:                               ; =>This Inner Loop Header: Depth=1
	v_mov_b32_e32 v1, s17
	v_add_co_u32_e32 v22, vcc, s16, v2
	v_addc_co_u32_e32 v23, vcc, 0, v1, vcc
	v_cmp_gt_u64_e32 vcc, s[14:15], v[22:23]
	v_mov_b32_e32 v24, 0
	v_mov_b32_e32 v25, 0
	s_and_saveexec_b64 s[2:3], vcc
	s_cbranch_execz .LBB20_6
; %bb.5:                                ;   in Loop: Header=BB20_4 Depth=1
	v_mov_b32_e32 v1, s13
	v_add_co_u32_e64 v22, s[0:1], s12, v6
	v_addc_co_u32_e64 v23, s[0:1], v5, v1, s[0:1]
	global_load_dwordx2 v[24:25], v[22:23], off
.LBB20_6:                               ;   in Loop: Header=BB20_4 Depth=1
	s_or_b64 exec, exec, s[2:3]
	v_mov_b32_e32 v1, s17
	v_add_co_u32_e64 v22, s[0:1], s16, v33
	v_addc_co_u32_e64 v23, s[0:1], v34, v1, s[0:1]
	v_cmp_gt_u64_e64 s[0:1], s[14:15], v[22:23]
	v_mov_b32_e32 v22, 0
	v_mov_b32_e32 v26, 0
	;; [unrolled: 1-line block ×3, first 2 shown]
	s_and_saveexec_b64 s[4:5], s[0:1]
	s_cbranch_execz .LBB20_8
; %bb.7:                                ;   in Loop: Header=BB20_4 Depth=1
	v_mov_b32_e32 v1, s13
	v_add_co_u32_e64 v26, s[2:3], s12, v18
	v_addc_co_u32_e64 v27, s[2:3], v17, v1, s[2:3]
	global_load_dwordx2 v[26:27], v[26:27], off
.LBB20_8:                               ;   in Loop: Header=BB20_4 Depth=1
	s_or_b64 exec, exec, s[4:5]
	v_mov_b32_e32 v1, s17
	v_add_co_u32_e64 v28, s[2:3], s16, v31
	v_addc_co_u32_e64 v29, s[2:3], v32, v1, s[2:3]
	v_cmp_gt_u64_e64 s[2:3], s[14:15], v[28:29]
	v_mov_b32_e32 v23, 0
	s_and_saveexec_b64 s[18:19], s[2:3]
	s_cbranch_execz .LBB20_10
; %bb.9:                                ;   in Loop: Header=BB20_4 Depth=1
	v_mov_b32_e32 v1, s13
	v_add_co_u32_e64 v22, s[4:5], s12, v14
	v_addc_co_u32_e64 v23, s[4:5], v13, v1, s[4:5]
	global_load_dwordx2 v[22:23], v[22:23], off
.LBB20_10:                              ;   in Loop: Header=BB20_4 Depth=1
	s_or_b64 exec, exec, s[18:19]
	v_mov_b32_e32 v1, s17
	v_add_co_u32_e64 v28, s[4:5], s16, v21
	v_addc_co_u32_e64 v29, s[4:5], v30, v1, s[4:5]
	v_mov_b32_e32 v1, v0
	ds_write_b64 v4, v[0:1]
	v_mov_b32_e32 v1, s13
	v_add_co_u32_e64 v35, s[4:5], s12, v10
	v_addc_co_u32_e64 v1, s[4:5], v9, v1, s[4:5]
	v_cmp_gt_u64_e64 s[4:5], s[14:15], v[28:29]
	v_cndmask_b32_e64 v29, v3, v1, s[4:5]
	v_cndmask_b32_e64 v28, v4, v35, s[4:5]
	flat_load_dwordx2 v[28:29], v[28:29]
	s_waitcnt vmcnt(0) lgkmcnt(0)
	v_pk_add_f32 v[28:29], s[8:9], v[28:29]
	ds_write_b64 v4, v[28:29]
	s_and_saveexec_b64 s[18:19], vcc
	s_cbranch_execnz .LBB20_14
; %bb.11:                               ;   in Loop: Header=BB20_4 Depth=1
	s_or_b64 exec, exec, s[18:19]
	s_and_saveexec_b64 s[18:19], s[0:1]
	s_cbranch_execnz .LBB20_15
.LBB20_12:                              ;   in Loop: Header=BB20_4 Depth=1
	s_or_b64 exec, exec, s[18:19]
	s_and_saveexec_b64 s[0:1], s[2:3]
	s_cbranch_execnz .LBB20_16
.LBB20_13:                              ;   in Loop: Header=BB20_4 Depth=1
	s_or_b64 exec, exec, s[0:1]
	s_and_saveexec_b64 s[0:1], s[4:5]
	s_cbranch_execz .LBB20_3
	s_branch .LBB20_17
.LBB20_14:                              ;   in Loop: Header=BB20_4 Depth=1
	v_mov_b32_e32 v1, s13
	v_add_co_u32_e32 v36, vcc, s12, v8
	v_addc_co_u32_e32 v37, vcc, v7, v1, vcc
	v_pk_add_f32 v[24:25], v[24:25], s[8:9]
	global_store_dwordx2 v[36:37], v[24:25], off
	s_or_b64 exec, exec, s[18:19]
	s_and_saveexec_b64 s[18:19], s[0:1]
	s_cbranch_execz .LBB20_12
.LBB20_15:                              ;   in Loop: Header=BB20_4 Depth=1
	v_pk_add_f32 v[24:25], v[26:27], s[8:9]
	v_mov_b32_e32 v1, s13
	v_add_co_u32_e32 v26, vcc, s12, v20
	v_addc_co_u32_e32 v27, vcc, v19, v1, vcc
	global_store_dwordx2 v[26:27], v[24:25], off
	s_or_b64 exec, exec, s[18:19]
	s_and_saveexec_b64 s[0:1], s[2:3]
	s_cbranch_execz .LBB20_13
.LBB20_16:                              ;   in Loop: Header=BB20_4 Depth=1
	v_mov_b32_e32 v1, s13
	v_add_co_u32_e32 v24, vcc, s12, v16
	v_pk_add_f32 v[22:23], v[22:23], s[8:9]
	v_addc_co_u32_e32 v25, vcc, v15, v1, vcc
	global_store_dwordx2 v[24:25], v[22:23], off
	s_or_b64 exec, exec, s[0:1]
	s_and_saveexec_b64 s[0:1], s[4:5]
	s_cbranch_execz .LBB20_3
.LBB20_17:                              ;   in Loop: Header=BB20_4 Depth=1
	v_mov_b32_e32 v1, s13
	v_add_co_u32_e32 v22, vcc, s12, v12
	v_addc_co_u32_e32 v23, vcc, v11, v1, vcc
	global_store_dwordx2 v[22:23], v[28:29], off
	s_branch .LBB20_3
.LBB20_18:
	s_mov_b64 s[4:5], 0
.LBB20_19:
	s_andn2_b64 vcc, exec, s[4:5]
	s_cbranch_vccnz .LBB20_24
; %bb.20:
	v_mov_b32_e32 v7, 0
	v_lshlrev_b32_e32 v6, 2, v2
	s_mov_b32 s0, 0
	v_cmp_gt_i64_e32 vcc, s[10:11], v[6:7]
	s_and_saveexec_b64 s[2:3], vcc
	s_cbranch_execz .LBB20_24
; %bb.21:
	s_load_dword s1, s[6:7], 0xc64
	v_lshlrev_b32_e32 v8, 5, v2
	s_mov_b64 s[4:5], 0
	s_mov_b64 s[6:7], 0xffff
	v_mov_b32_e32 v5, s0
	s_waitcnt lgkmcnt(0)
	s_and_b32 s1, s1, 0xffff
	v_add_lshl_u32 v6, v2, s1, 2
	s_lshl_b32 s12, s1, 2
	s_lshl_b32 s13, s1, 5
.LBB20_22:                              ; =>This Inner Loop Header: Depth=1
	v_mov_b32_e32 v0, s21
	v_add_co_u32_e32 v14, vcc, s20, v8
	v_addc_co_u32_e32 v15, vcc, 0, v0, vcc
	global_load_dwordx4 v[0:3], v[14:15], off offset:16
	global_load_dwordx4 v[10:13], v[14:15], off
	v_cmp_le_i64_e32 vcc, s[10:11], v[6:7]
	v_cmp_lt_u64_e64 s[0:1], s[6:7], v[6:7]
	s_or_b64 s[0:1], vcc, s[0:1]
	v_add_co_u32_e64 v6, s[2:3], s12, v6
	s_add_u32 s20, s20, s13
	v_addc_co_u32_e64 v7, s[2:3], v7, v5, s[2:3]
	s_addc_u32 s21, s21, 0
	v_add_co_u32_e64 v14, s[2:3], s22, v8
	s_add_u32 s22, s22, s13
	v_mov_b32_e32 v9, s23
	s_addc_u32 s23, s23, 0
	s_and_b64 s[0:1], exec, s[0:1]
	v_addc_co_u32_e64 v15, s[2:3], 0, v9, s[2:3]
	s_or_b64 s[4:5], s[0:1], s[4:5]
	s_waitcnt vmcnt(1)
	v_pk_add_f32 v[2:3], s[8:9], v[2:3]
	s_waitcnt vmcnt(0)
	v_pk_add_f32 v[10:11], v[10:11], s[8:9]
	v_pk_add_f32 v[12:13], v[12:13], s[8:9]
	;; [unrolled: 1-line block ×3, first 2 shown]
	global_store_dwordx4 v[14:15], v[10:13], off
	global_store_dwordx4 v[14:15], v[0:3], off offset:16
	s_andn2_b64 exec, exec, s[4:5]
	s_cbranch_execnz .LBB20_22
; %bb.23:
	s_or_b64 exec, exec, s[4:5]
	ds_write_b64 v4, v[2:3]
.LBB20_24:
	s_endpgm
	.section	.rodata,"a",@progbits
	.p2align	6, 0x0
	.amdhsa_kernel _ZN2at6native12_GLOBAL__N_125multi_tensor_apply_kernelINS1_18TensorListMetadataILi2EEENS1_21BinaryOpScalarFunctorIN3c107complexIfEELi2ELi1ELi1EEEJSt4plusIS8_ES8_EEEvT_T0_DpT1_
		.amdhsa_group_segment_fixed_size 4096
		.amdhsa_private_segment_fixed_size 0
		.amdhsa_kernarg_size 3416
		.amdhsa_user_sgpr_count 8
		.amdhsa_user_sgpr_private_segment_buffer 1
		.amdhsa_user_sgpr_dispatch_ptr 1
		.amdhsa_user_sgpr_queue_ptr 0
		.amdhsa_user_sgpr_kernarg_segment_ptr 1
		.amdhsa_user_sgpr_dispatch_id 0
		.amdhsa_user_sgpr_flat_scratch_init 0
		.amdhsa_user_sgpr_kernarg_preload_length 0
		.amdhsa_user_sgpr_kernarg_preload_offset 0
		.amdhsa_user_sgpr_private_segment_size 0
		.amdhsa_uses_dynamic_stack 0
		.amdhsa_system_sgpr_private_segment_wavefront_offset 0
		.amdhsa_system_sgpr_workgroup_id_x 1
		.amdhsa_system_sgpr_workgroup_id_y 0
		.amdhsa_system_sgpr_workgroup_id_z 0
		.amdhsa_system_sgpr_workgroup_info 0
		.amdhsa_system_vgpr_workitem_id 2
		.amdhsa_next_free_vgpr 38
		.amdhsa_next_free_sgpr 27
		.amdhsa_accum_offset 40
		.amdhsa_reserve_vcc 1
		.amdhsa_reserve_flat_scratch 0
		.amdhsa_float_round_mode_32 0
		.amdhsa_float_round_mode_16_64 0
		.amdhsa_float_denorm_mode_32 3
		.amdhsa_float_denorm_mode_16_64 3
		.amdhsa_dx10_clamp 1
		.amdhsa_ieee_mode 1
		.amdhsa_fp16_overflow 0
		.amdhsa_tg_split 0
		.amdhsa_exception_fp_ieee_invalid_op 0
		.amdhsa_exception_fp_denorm_src 0
		.amdhsa_exception_fp_ieee_div_zero 0
		.amdhsa_exception_fp_ieee_overflow 0
		.amdhsa_exception_fp_ieee_underflow 0
		.amdhsa_exception_fp_ieee_inexact 0
		.amdhsa_exception_int_div_zero 0
	.end_amdhsa_kernel
	.section	.text._ZN2at6native12_GLOBAL__N_125multi_tensor_apply_kernelINS1_18TensorListMetadataILi2EEENS1_21BinaryOpScalarFunctorIN3c107complexIfEELi2ELi1ELi1EEEJSt4plusIS8_ES8_EEEvT_T0_DpT1_,"axG",@progbits,_ZN2at6native12_GLOBAL__N_125multi_tensor_apply_kernelINS1_18TensorListMetadataILi2EEENS1_21BinaryOpScalarFunctorIN3c107complexIfEELi2ELi1ELi1EEEJSt4plusIS8_ES8_EEEvT_T0_DpT1_,comdat
.Lfunc_end20:
	.size	_ZN2at6native12_GLOBAL__N_125multi_tensor_apply_kernelINS1_18TensorListMetadataILi2EEENS1_21BinaryOpScalarFunctorIN3c107complexIfEELi2ELi1ELi1EEEJSt4plusIS8_ES8_EEEvT_T0_DpT1_, .Lfunc_end20-_ZN2at6native12_GLOBAL__N_125multi_tensor_apply_kernelINS1_18TensorListMetadataILi2EEENS1_21BinaryOpScalarFunctorIN3c107complexIfEELi2ELi1ELi1EEEJSt4plusIS8_ES8_EEEvT_T0_DpT1_
                                        ; -- End function
	.section	.AMDGPU.csdata,"",@progbits
; Kernel info:
; codeLenInByte = 1408
; NumSgprs: 31
; NumVgprs: 38
; NumAgprs: 0
; TotalNumVgprs: 38
; ScratchSize: 0
; MemoryBound: 0
; FloatMode: 240
; IeeeMode: 1
; LDSByteSize: 4096 bytes/workgroup (compile time only)
; SGPRBlocks: 3
; VGPRBlocks: 4
; NumSGPRsForWavesPerEU: 31
; NumVGPRsForWavesPerEU: 38
; AccumOffset: 40
; Occupancy: 8
; WaveLimiterHint : 0
; COMPUTE_PGM_RSRC2:SCRATCH_EN: 0
; COMPUTE_PGM_RSRC2:USER_SGPR: 8
; COMPUTE_PGM_RSRC2:TRAP_HANDLER: 0
; COMPUTE_PGM_RSRC2:TGID_X_EN: 1
; COMPUTE_PGM_RSRC2:TGID_Y_EN: 0
; COMPUTE_PGM_RSRC2:TGID_Z_EN: 0
; COMPUTE_PGM_RSRC2:TIDIG_COMP_CNT: 2
; COMPUTE_PGM_RSRC3_GFX90A:ACCUM_OFFSET: 9
; COMPUTE_PGM_RSRC3_GFX90A:TG_SPLIT: 0
	.section	.text._ZN2at6native12_GLOBAL__N_125multi_tensor_apply_kernelINS1_18TensorListMetadataILi2EEENS1_21BinaryOpScalarFunctorIbLi2ELi1ELi1EEEJSt4plusIbEbEEEvT_T0_DpT1_,"axG",@progbits,_ZN2at6native12_GLOBAL__N_125multi_tensor_apply_kernelINS1_18TensorListMetadataILi2EEENS1_21BinaryOpScalarFunctorIbLi2ELi1ELi1EEEJSt4plusIbEbEEEvT_T0_DpT1_,comdat
	.globl	_ZN2at6native12_GLOBAL__N_125multi_tensor_apply_kernelINS1_18TensorListMetadataILi2EEENS1_21BinaryOpScalarFunctorIbLi2ELi1ELi1EEEJSt4plusIbEbEEEvT_T0_DpT1_ ; -- Begin function _ZN2at6native12_GLOBAL__N_125multi_tensor_apply_kernelINS1_18TensorListMetadataILi2EEENS1_21BinaryOpScalarFunctorIbLi2ELi1ELi1EEEJSt4plusIbEbEEEvT_T0_DpT1_
	.p2align	8
	.type	_ZN2at6native12_GLOBAL__N_125multi_tensor_apply_kernelINS1_18TensorListMetadataILi2EEENS1_21BinaryOpScalarFunctorIbLi2ELi1ELi1EEEJSt4plusIbEbEEEvT_T0_DpT1_,@function
_ZN2at6native12_GLOBAL__N_125multi_tensor_apply_kernelINS1_18TensorListMetadataILi2EEENS1_21BinaryOpScalarFunctorIbLi2ELi1ELi1EEEJSt4plusIbEbEEEvT_T0_DpT1_: ; @_ZN2at6native12_GLOBAL__N_125multi_tensor_apply_kernelINS1_18TensorListMetadataILi2EEENS1_21BinaryOpScalarFunctorIbLi2ELi1ELi1EEEJSt4plusIbEbEEEvT_T0_DpT1_
; %bb.0:
	v_mov_b32_e32 v1, s6
	global_load_ubyte v1, v1, s[4:5] offset:1536
	s_load_dword s0, s[4:5], 0xc48
	s_mul_i32 s2, s6, 3
	s_mul_hi_u32 s1, s6, 3
	s_waitcnt lgkmcnt(0)
	s_lshr_b32 s14, s0, 16
	s_add_u32 s0, s4, s6
	s_addc_u32 s3, s5, 0
	s_add_u32 s0, s0, s2
	s_addc_u32 s1, s3, s1
	s_load_dword s6, s[0:1], 0x740
	v_and_b32_e64 v4, s14, 1
	s_waitcnt vmcnt(0)
	v_readfirstlane_b32 s2, v1
	s_lshl_b32 s7, s2, 3
	s_load_dwordx2 s[0:1], s[4:5], s7 offset:0x0
	s_load_dwordx2 s[8:9], s[4:5], s7 offset:0x400
	;; [unrolled: 1-line block ×3, first 2 shown]
	s_waitcnt lgkmcnt(0)
	s_ashr_i32 s7, s6, 31
	s_lshl_b64 s[6:7], s[6:7], 16
	s_add_u32 s10, s0, s6
	s_addc_u32 s11, s1, s7
	s_add_u32 s20, s2, s6
	s_addc_u32 s21, s3, s7
	s_or_b64 s[12:13], s[8:9], s[10:11]
	s_or_b32 s12, s20, s12
	s_and_b32 s15, s12, 3
	s_sub_u32 s12, s8, s6
	s_subb_u32 s13, s9, s7
	s_cmp_eq_u32 s15, 0
	s_mov_b64 s[8:9], -1
	s_cbranch_scc1 .LBB21_21
; %bb.1:
	v_cmp_lt_i64_e64 s[8:9], s[12:13], 1
	s_and_b64 vcc, exec, s[8:9]
	s_cbranch_vccnz .LBB21_20
; %bb.2:
	s_load_dword s8, s[4:5], 0xc5c
	v_mov_b32_e32 v2, 0x10000
	v_mov_b32_e32 v3, 0
	v_cmp_lt_u64_e32 vcc, s[12:13], v[2:3]
	v_mov_b32_e32 v1, s7
	s_waitcnt lgkmcnt(0)
	s_and_b32 s16, s8, 0xffff
	s_and_b64 s[8:9], vcc, exec
	v_add_co_u32_e32 v2, vcc, s6, v0
	v_addc_co_u32_e32 v3, vcc, 0, v1, vcc
	v_mov_b32_e32 v21, s1
	v_add_co_u32_e32 v1, vcc, s0, v2
	s_cselect_b32 s15, s13, 0
	s_cselect_b32 s14, s12, 0x10000
	s_lshl_b32 s17, s16, 1
	s_mul_i32 s8, s16, 3
	s_lshl_b32 s22, s16, 2
	v_addc_co_u32_e32 v5, vcc, v21, v3, vcc
	v_mov_b32_e32 v23, s3
	v_add_co_u32_e32 v6, vcc, s2, v2
	s_add_u32 s1, s6, s8
	v_addc_co_u32_e32 v7, vcc, v23, v3, vcc
	s_addc_u32 s3, s7, 0
	v_mov_b32_e32 v8, s3
	v_add_co_u32_e32 v10, vcc, s1, v0
	v_addc_co_u32_e32 v11, vcc, 0, v8, vcc
	v_add_co_u32_e32 v8, vcc, s0, v10
	v_addc_co_u32_e32 v9, vcc, v21, v11, vcc
	v_add_co_u32_e32 v10, vcc, s2, v10
	v_addc_co_u32_e32 v11, vcc, v23, v11, vcc
	s_add_u32 s1, s6, s17
	v_add_co_u32_e32 v12, vcc, s8, v0
	s_addc_u32 s3, s7, 0
	v_addc_co_u32_e64 v13, s[8:9], 0, 0, vcc
	v_mov_b32_e32 v14, s3
	v_add_co_u32_e32 v16, vcc, s1, v0
	v_addc_co_u32_e32 v17, vcc, 0, v14, vcc
	v_add_co_u32_e32 v14, vcc, s0, v16
	v_addc_co_u32_e32 v15, vcc, v21, v17, vcc
	;; [unrolled: 2-line block ×3, first 2 shown]
	v_add_co_u32_e32 v18, vcc, s17, v0
	v_addc_co_u32_e64 v19, s[6:7], 0, 0, vcc
	v_add_co_u32_e32 v2, vcc, s16, v2
	v_addc_co_u32_e32 v3, vcc, 0, v3, vcc
	v_add_co_u32_e32 v20, vcc, s0, v2
	v_addc_co_u32_e32 v21, vcc, v21, v3, vcc
	v_add_co_u32_e32 v22, vcc, s2, v2
	v_addc_co_u32_e32 v23, vcc, v23, v3, vcc
	v_add_co_u32_e32 v24, vcc, s16, v0
	v_addc_co_u32_e64 v25, s[0:1], 0, 0, vcc
	s_mov_b64 s[16:17], 0
	v_pk_mov_b32 v[2:3], s[12:13], s[12:13] op_sel:[0,1]
	s_branch .LBB21_4
.LBB21_3:                               ;   in Loop: Header=BB21_4 Depth=1
	s_or_b64 exec, exec, s[0:1]
	s_add_u32 s16, s16, s22
	s_waitcnt vmcnt(0)
	v_mov_b32_e32 v26, 0x10000
	s_addc_u32 s17, s17, 0
	v_mov_b32_e32 v27, 0
	v_cmp_lt_i64_e32 vcc, s[16:17], v[2:3]
	v_cmp_lt_u64_e64 s[0:1], s[16:17], v[26:27]
	s_and_b64 s[0:1], vcc, s[0:1]
	s_and_b64 vcc, exec, s[0:1]
	s_cbranch_vccz .LBB21_20
.LBB21_4:                               ; =>This Inner Loop Header: Depth=1
	v_mov_b32_e32 v27, s17
	v_add_co_u32_e32 v26, vcc, s16, v0
	v_addc_co_u32_e32 v27, vcc, 0, v27, vcc
	v_cmp_gt_u64_e32 vcc, s[14:15], v[26:27]
	v_mov_b32_e32 v26, 0
	s_and_saveexec_b64 s[2:3], vcc
	s_cbranch_execz .LBB21_6
; %bb.5:                                ;   in Loop: Header=BB21_4 Depth=1
	v_mov_b32_e32 v27, s17
	v_add_co_u32_e64 v26, s[0:1], s16, v1
	v_addc_co_u32_e64 v27, s[0:1], v5, v27, s[0:1]
	global_load_ubyte v26, v[26:27], off
.LBB21_6:                               ;   in Loop: Header=BB21_4 Depth=1
	s_or_b64 exec, exec, s[2:3]
	v_mov_b32_e32 v27, s17
	v_add_co_u32_e64 v28, s[0:1], s16, v24
	v_addc_co_u32_e64 v29, s[0:1], v25, v27, s[0:1]
	v_cmp_gt_u64_e64 s[0:1], s[14:15], v[28:29]
	v_mov_b32_e32 v28, 0
	s_and_saveexec_b64 s[6:7], s[0:1]
	s_cbranch_execz .LBB21_8
; %bb.7:                                ;   in Loop: Header=BB21_4 Depth=1
	v_mov_b32_e32 v27, s17
	v_add_co_u32_e64 v28, s[2:3], s16, v20
	v_addc_co_u32_e64 v29, s[2:3], v21, v27, s[2:3]
	global_load_ubyte v28, v[28:29], off
.LBB21_8:                               ;   in Loop: Header=BB21_4 Depth=1
	s_or_b64 exec, exec, s[6:7]
	v_mov_b32_e32 v27, s17
	v_add_co_u32_e64 v30, s[2:3], s16, v18
	v_addc_co_u32_e64 v31, s[2:3], v19, v27, s[2:3]
	v_cmp_gt_u64_e64 s[2:3], s[14:15], v[30:31]
	v_mov_b32_e32 v27, 0
	v_mov_b32_e32 v29, 0
	s_and_saveexec_b64 s[8:9], s[2:3]
	s_cbranch_execz .LBB21_10
; %bb.9:                                ;   in Loop: Header=BB21_4 Depth=1
	v_mov_b32_e32 v29, s17
	v_add_co_u32_e64 v30, s[6:7], s16, v14
	v_addc_co_u32_e64 v31, s[6:7], v15, v29, s[6:7]
	global_load_ubyte v29, v[30:31], off
.LBB21_10:                              ;   in Loop: Header=BB21_4 Depth=1
	s_or_b64 exec, exec, s[8:9]
	v_mov_b32_e32 v31, s17
	v_add_co_u32_e64 v30, s[6:7], s16, v12
	v_addc_co_u32_e64 v31, s[6:7], v13, v31, s[6:7]
	v_cmp_gt_u64_e64 s[6:7], s[14:15], v[30:31]
	s_and_saveexec_b64 s[18:19], s[6:7]
	s_cbranch_execnz .LBB21_15
; %bb.11:                               ;   in Loop: Header=BB21_4 Depth=1
	s_or_b64 exec, exec, s[18:19]
	s_and_saveexec_b64 s[8:9], vcc
	s_cbranch_execnz .LBB21_16
.LBB21_12:                              ;   in Loop: Header=BB21_4 Depth=1
	s_or_b64 exec, exec, s[8:9]
	s_and_saveexec_b64 s[8:9], s[0:1]
	s_cbranch_execnz .LBB21_17
.LBB21_13:                              ;   in Loop: Header=BB21_4 Depth=1
	s_or_b64 exec, exec, s[8:9]
	s_and_saveexec_b64 s[0:1], s[2:3]
	s_cbranch_execnz .LBB21_18
.LBB21_14:                              ;   in Loop: Header=BB21_4 Depth=1
	s_or_b64 exec, exec, s[0:1]
	s_and_saveexec_b64 s[0:1], s[6:7]
	s_cbranch_execz .LBB21_3
	s_branch .LBB21_19
.LBB21_15:                              ;   in Loop: Header=BB21_4 Depth=1
	v_mov_b32_e32 v27, s17
	v_add_co_u32_e64 v30, s[8:9], s16, v8
	v_addc_co_u32_e64 v31, s[8:9], v9, v27, s[8:9]
	global_load_ubyte v27, v[30:31], off
	s_or_b64 exec, exec, s[18:19]
	s_and_saveexec_b64 s[8:9], vcc
	s_cbranch_execz .LBB21_12
.LBB21_16:                              ;   in Loop: Header=BB21_4 Depth=1
	v_mov_b32_e32 v31, s17
	v_add_co_u32_e32 v30, vcc, s16, v6
	s_waitcnt vmcnt(0)
	v_or_b32_e32 v26, v26, v4
	v_addc_co_u32_e32 v31, vcc, v7, v31, vcc
	global_store_byte v[30:31], v26, off
	s_or_b64 exec, exec, s[8:9]
	s_and_saveexec_b64 s[8:9], s[0:1]
	s_cbranch_execz .LBB21_13
.LBB21_17:                              ;   in Loop: Header=BB21_4 Depth=1
	s_waitcnt vmcnt(0)
	v_or_b32_e32 v26, v28, v4
	v_mov_b32_e32 v28, s17
	v_add_co_u32_e32 v30, vcc, s16, v22
	v_addc_co_u32_e32 v31, vcc, v23, v28, vcc
	global_store_byte v[30:31], v26, off
	s_or_b64 exec, exec, s[8:9]
	s_and_saveexec_b64 s[0:1], s[2:3]
	s_cbranch_execz .LBB21_14
.LBB21_18:                              ;   in Loop: Header=BB21_4 Depth=1
	s_waitcnt vmcnt(0)
	v_or_b32_e32 v26, v29, v4
	v_mov_b32_e32 v29, s17
	v_add_co_u32_e32 v28, vcc, s16, v16
	v_addc_co_u32_e32 v29, vcc, v17, v29, vcc
	global_store_byte v[28:29], v26, off
	s_or_b64 exec, exec, s[0:1]
	s_and_saveexec_b64 s[0:1], s[6:7]
	s_cbranch_execz .LBB21_3
.LBB21_19:                              ;   in Loop: Header=BB21_4 Depth=1
	s_waitcnt vmcnt(0)
	v_or_b32_e32 v28, v27, v4
	v_mov_b32_e32 v27, s17
	v_add_co_u32_e32 v26, vcc, s16, v10
	v_addc_co_u32_e32 v27, vcc, v11, v27, vcc
	global_store_byte v[26:27], v28, off
	s_branch .LBB21_3
.LBB21_20:
	s_mov_b64 s[8:9], 0
.LBB21_21:
	s_andn2_b64 vcc, exec, s[8:9]
	s_cbranch_vccnz .LBB21_25
; %bb.22:
	v_lshlrev_b32_e32 v0, 2, v0
	v_mov_b32_e32 v1, 0
	v_cmp_gt_i64_e32 vcc, s[12:13], v[0:1]
	s_and_saveexec_b64 s[0:1], vcc
	s_cbranch_execz .LBB21_25
; %bb.23:
	s_load_dword s0, s[4:5], 0xc5c
	s_mov_b32 s1, 0
	s_mov_b64 s[2:3], 0
	v_mov_b32_e32 v2, s11
	v_mov_b32_e32 v3, s21
	s_waitcnt lgkmcnt(0)
	s_and_b32 s0, s0, 0xffff
	s_lshl_b32 s6, s0, 2
	v_mov_b32_e32 v5, s1
	s_mov_b64 s[4:5], 0xffff
	v_mov_b32_e32 v6, 8
.LBB21_24:                              ; =>This Inner Loop Header: Depth=1
	v_add_co_u32_e32 v8, vcc, s10, v0
	v_addc_co_u32_e32 v9, vcc, v2, v1, vcc
	global_load_dword v7, v[8:9], off
	v_add_co_u32_e32 v8, vcc, s20, v0
	v_addc_co_u32_e32 v9, vcc, v3, v1, vcc
	v_add_co_u32_e32 v0, vcc, s6, v0
	v_addc_co_u32_e32 v1, vcc, v5, v1, vcc
	v_cmp_le_i64_e32 vcc, s[12:13], v[0:1]
	v_cmp_lt_u64_e64 s[0:1], s[4:5], v[0:1]
	s_or_b64 s[0:1], vcc, s[0:1]
	s_and_b64 s[0:1], exec, s[0:1]
	s_or_b64 s[2:3], s[0:1], s[2:3]
	s_waitcnt vmcnt(0)
	v_or_b32_sdwa v12, v7, v4 dst_sel:DWORD dst_unused:UNUSED_PAD src0_sel:WORD_1 src1_sel:DWORD
	v_lshrrev_b32_e32 v11, 8, v7
	v_and_b32_e32 v12, 0xff, v12
	v_or_b32_e32 v10, v7, v4
	v_or_b32_sdwa v7, v7, v4 dst_sel:DWORD dst_unused:UNUSED_PAD src0_sel:BYTE_3 src1_sel:DWORD
	v_or_b32_e32 v11, v11, v4
	v_lshlrev_b32_e32 v12, 16, v12
	v_and_b32_e32 v10, 0xff, v10
	v_lshlrev_b32_sdwa v11, v6, v11 dst_sel:DWORD dst_unused:UNUSED_PAD src0_sel:DWORD src1_sel:BYTE_0
	v_lshl_or_b32 v7, v7, 24, v12
	v_or3_b32 v7, v7, v11, v10
	global_store_dword v[8:9], v7, off
	s_andn2_b64 exec, exec, s[2:3]
	s_cbranch_execnz .LBB21_24
.LBB21_25:
	s_endpgm
	.section	.rodata,"a",@progbits
	.p2align	6, 0x0
	.amdhsa_kernel _ZN2at6native12_GLOBAL__N_125multi_tensor_apply_kernelINS1_18TensorListMetadataILi2EEENS1_21BinaryOpScalarFunctorIbLi2ELi1ELi1EEEJSt4plusIbEbEEEvT_T0_DpT1_
		.amdhsa_group_segment_fixed_size 0
		.amdhsa_private_segment_fixed_size 0
		.amdhsa_kernarg_size 3408
		.amdhsa_user_sgpr_count 6
		.amdhsa_user_sgpr_private_segment_buffer 1
		.amdhsa_user_sgpr_dispatch_ptr 0
		.amdhsa_user_sgpr_queue_ptr 0
		.amdhsa_user_sgpr_kernarg_segment_ptr 1
		.amdhsa_user_sgpr_dispatch_id 0
		.amdhsa_user_sgpr_flat_scratch_init 0
		.amdhsa_user_sgpr_kernarg_preload_length 0
		.amdhsa_user_sgpr_kernarg_preload_offset 0
		.amdhsa_user_sgpr_private_segment_size 0
		.amdhsa_uses_dynamic_stack 0
		.amdhsa_system_sgpr_private_segment_wavefront_offset 0
		.amdhsa_system_sgpr_workgroup_id_x 1
		.amdhsa_system_sgpr_workgroup_id_y 0
		.amdhsa_system_sgpr_workgroup_id_z 0
		.amdhsa_system_sgpr_workgroup_info 0
		.amdhsa_system_vgpr_workitem_id 0
		.amdhsa_next_free_vgpr 32
		.amdhsa_next_free_sgpr 23
		.amdhsa_accum_offset 32
		.amdhsa_reserve_vcc 1
		.amdhsa_reserve_flat_scratch 0
		.amdhsa_float_round_mode_32 0
		.amdhsa_float_round_mode_16_64 0
		.amdhsa_float_denorm_mode_32 3
		.amdhsa_float_denorm_mode_16_64 3
		.amdhsa_dx10_clamp 1
		.amdhsa_ieee_mode 1
		.amdhsa_fp16_overflow 0
		.amdhsa_tg_split 0
		.amdhsa_exception_fp_ieee_invalid_op 0
		.amdhsa_exception_fp_denorm_src 0
		.amdhsa_exception_fp_ieee_div_zero 0
		.amdhsa_exception_fp_ieee_overflow 0
		.amdhsa_exception_fp_ieee_underflow 0
		.amdhsa_exception_fp_ieee_inexact 0
		.amdhsa_exception_int_div_zero 0
	.end_amdhsa_kernel
	.section	.text._ZN2at6native12_GLOBAL__N_125multi_tensor_apply_kernelINS1_18TensorListMetadataILi2EEENS1_21BinaryOpScalarFunctorIbLi2ELi1ELi1EEEJSt4plusIbEbEEEvT_T0_DpT1_,"axG",@progbits,_ZN2at6native12_GLOBAL__N_125multi_tensor_apply_kernelINS1_18TensorListMetadataILi2EEENS1_21BinaryOpScalarFunctorIbLi2ELi1ELi1EEEJSt4plusIbEbEEEvT_T0_DpT1_,comdat
.Lfunc_end21:
	.size	_ZN2at6native12_GLOBAL__N_125multi_tensor_apply_kernelINS1_18TensorListMetadataILi2EEENS1_21BinaryOpScalarFunctorIbLi2ELi1ELi1EEEJSt4plusIbEbEEEvT_T0_DpT1_, .Lfunc_end21-_ZN2at6native12_GLOBAL__N_125multi_tensor_apply_kernelINS1_18TensorListMetadataILi2EEENS1_21BinaryOpScalarFunctorIbLi2ELi1ELi1EEEJSt4plusIbEbEEEvT_T0_DpT1_
                                        ; -- End function
	.section	.AMDGPU.csdata,"",@progbits
; Kernel info:
; codeLenInByte = 1208
; NumSgprs: 27
; NumVgprs: 32
; NumAgprs: 0
; TotalNumVgprs: 32
; ScratchSize: 0
; MemoryBound: 0
; FloatMode: 240
; IeeeMode: 1
; LDSByteSize: 0 bytes/workgroup (compile time only)
; SGPRBlocks: 3
; VGPRBlocks: 3
; NumSGPRsForWavesPerEU: 27
; NumVGPRsForWavesPerEU: 32
; AccumOffset: 32
; Occupancy: 8
; WaveLimiterHint : 0
; COMPUTE_PGM_RSRC2:SCRATCH_EN: 0
; COMPUTE_PGM_RSRC2:USER_SGPR: 6
; COMPUTE_PGM_RSRC2:TRAP_HANDLER: 0
; COMPUTE_PGM_RSRC2:TGID_X_EN: 1
; COMPUTE_PGM_RSRC2:TGID_Y_EN: 0
; COMPUTE_PGM_RSRC2:TGID_Z_EN: 0
; COMPUTE_PGM_RSRC2:TIDIG_COMP_CNT: 0
; COMPUTE_PGM_RSRC3_GFX90A:ACCUM_OFFSET: 7
; COMPUTE_PGM_RSRC3_GFX90A:TG_SPLIT: 0
	.section	.text._ZN2at6native12_GLOBAL__N_125multi_tensor_apply_kernelINS1_18TensorListMetadataILi2EEENS1_21BinaryOpScalarFunctorIN3c104HalfELi2ELi1ELi1EEEJSt4plusIfEfEEEvT_T0_DpT1_,"axG",@progbits,_ZN2at6native12_GLOBAL__N_125multi_tensor_apply_kernelINS1_18TensorListMetadataILi2EEENS1_21BinaryOpScalarFunctorIN3c104HalfELi2ELi1ELi1EEEJSt4plusIfEfEEEvT_T0_DpT1_,comdat
	.globl	_ZN2at6native12_GLOBAL__N_125multi_tensor_apply_kernelINS1_18TensorListMetadataILi2EEENS1_21BinaryOpScalarFunctorIN3c104HalfELi2ELi1ELi1EEEJSt4plusIfEfEEEvT_T0_DpT1_ ; -- Begin function _ZN2at6native12_GLOBAL__N_125multi_tensor_apply_kernelINS1_18TensorListMetadataILi2EEENS1_21BinaryOpScalarFunctorIN3c104HalfELi2ELi1ELi1EEEJSt4plusIfEfEEEvT_T0_DpT1_
	.p2align	8
	.type	_ZN2at6native12_GLOBAL__N_125multi_tensor_apply_kernelINS1_18TensorListMetadataILi2EEENS1_21BinaryOpScalarFunctorIN3c104HalfELi2ELi1ELi1EEEJSt4plusIfEfEEEvT_T0_DpT1_,@function
_ZN2at6native12_GLOBAL__N_125multi_tensor_apply_kernelINS1_18TensorListMetadataILi2EEENS1_21BinaryOpScalarFunctorIN3c104HalfELi2ELi1ELi1EEEJSt4plusIfEfEEEvT_T0_DpT1_: ; @_ZN2at6native12_GLOBAL__N_125multi_tensor_apply_kernelINS1_18TensorListMetadataILi2EEENS1_21BinaryOpScalarFunctorIN3c104HalfELi2ELi1ELi1EEEJSt4plusIfEfEEEvT_T0_DpT1_
; %bb.0:
	v_mov_b32_e32 v1, s6
	global_load_ubyte v1, v1, s[4:5] offset:1536
	s_add_u32 s0, s4, s6
	s_mul_hi_u32 s2, s6, 3
	s_mul_i32 s6, s6, 3
	s_addc_u32 s7, s5, 0
	s_add_u32 s6, s0, s6
	s_addc_u32 s7, s7, s2
	s_load_dword s6, s[6:7], 0x740
	s_mov_b32 s1, 0
	s_mov_b32 s17, s1
	;; [unrolled: 1-line block ×3, first 2 shown]
	s_waitcnt lgkmcnt(0)
	s_ashr_i32 s7, s6, 31
	s_lshl_b64 s[18:19], s[6:7], 17
	s_waitcnt vmcnt(0)
	v_readfirstlane_b32 s0, v1
	s_lshl_b32 s0, s0, 3
	s_load_dwordx2 s[10:11], s[4:5], s0 offset:0x0
	s_load_dword s12, s[4:5], 0xc4c
	s_load_dwordx2 s[8:9], s[4:5], s0 offset:0x400
	s_load_dwordx2 s[14:15], s[4:5], s0 offset:0x200
	s_waitcnt lgkmcnt(0)
	s_and_b32 s0, s10, 7
	s_and_b32 s16, s8, 3
	;; [unrolled: 1-line block ×3, first 2 shown]
	s_or_b64 s[0:1], s[0:1], s[16:17]
	s_or_b64 s[0:1], s[2:3], s[0:1]
	s_lshl_b64 s[2:3], s[6:7], 16
	s_sub_u32 s16, s8, s2
	s_subb_u32 s17, s9, s3
	s_cmp_eq_u64 s[0:1], 0
	s_mov_b64 s[0:1], -1
	s_cbranch_scc1 .LBB22_21
; %bb.1:
	v_cmp_lt_i64_e64 s[0:1], s[16:17], 1
	s_and_b64 vcc, exec, s[0:1]
	s_cbranch_vccnz .LBB22_20
; %bb.2:
	s_load_dword s0, s[4:5], 0xc5c
	v_mov_b32_e32 v2, 0x10000
	v_mov_b32_e32 v3, 0
	v_cmp_lt_u64_e32 vcc, s[16:17], v[2:3]
	v_lshlrev_b32_e32 v10, 1, v0
	s_waitcnt lgkmcnt(0)
	s_and_b32 s2, s0, 0xffff
	s_and_b64 s[0:1], vcc, exec
	v_mov_b32_e32 v13, s11
	v_add_co_u32_e32 v2, vcc, s10, v10
	v_addc_co_u32_e32 v1, vcc, 0, v13, vcc
	v_mov_b32_e32 v11, 0
	v_mov_b32_e32 v15, s15
	v_add_co_u32_e32 v4, vcc, s14, v10
	v_addc_co_u32_e32 v3, vcc, 0, v15, vcc
	v_mad_u64_u32 v[8:9], s[0:1], s2, 6, v[10:11]
	v_add_co_u32_e32 v6, vcc, s10, v8
	v_addc_co_u32_e32 v5, vcc, v13, v9, vcc
	v_add_co_u32_e32 v8, vcc, s14, v8
	s_mul_i32 s6, s2, 3
	v_addc_co_u32_e32 v7, vcc, v15, v9, vcc
	s_cselect_b32 s21, s17, 0
	s_cselect_b32 s20, s16, 0x10000
	s_lshl_b32 s26, s2, 2
	v_add_co_u32_e32 v17, vcc, s6, v0
	v_addc_co_u32_e64 v18, s[0:1], 0, 0, vcc
	v_add_co_u32_e32 v11, vcc, s26, v10
	v_addc_co_u32_e64 v14, s[0:1], 0, 0, vcc
	v_add_co_u32_e32 v10, vcc, s10, v11
	v_addc_co_u32_e32 v9, vcc, v13, v14, vcc
	v_add_co_u32_e32 v12, vcc, s14, v11
	s_lshl_b32 s3, s2, 1
	v_addc_co_u32_e32 v11, vcc, v15, v14, vcc
	v_add_co_u32_e32 v19, vcc, s3, v0
	v_addc_co_u32_e64 v20, s[0:1], 0, 0, vcc
	v_add_co_u32_e32 v21, vcc, s2, v0
	v_lshlrev_b32_e32 v16, 1, v21
	v_addc_co_u32_e64 v22, s[0:1], 0, 0, vcc
	v_add_co_u32_e32 v14, vcc, s10, v16
	v_addc_co_u32_e32 v13, vcc, 0, v13, vcc
	v_add_co_u32_e32 v16, vcc, s14, v16
	s_mov_b32 s13, 0
	s_lshl_b32 s27, s2, 3
	v_addc_co_u32_e32 v15, vcc, 0, v15, vcc
	s_mov_b64 s[22:23], 0
	s_branch .LBB22_4
.LBB22_3:                               ;   in Loop: Header=BB22_4 Depth=1
	s_or_b64 exec, exec, s[0:1]
	s_add_u32 s22, s22, s26
	s_addc_u32 s23, s23, 0
	s_waitcnt vmcnt(0)
	v_pk_mov_b32 v[24:25], s[16:17], s[16:17] op_sel:[0,1]
	v_cmp_lt_i64_e32 vcc, s[22:23], v[24:25]
	v_mov_b32_e32 v24, 0x10000
	v_mov_b32_e32 v25, 0
	v_cmp_lt_u64_e64 s[0:1], s[22:23], v[24:25]
	s_and_b64 s[0:1], vcc, s[0:1]
	v_mov_b32_e32 v23, s13
	v_add_co_u32_e32 v2, vcc, s27, v2
	v_addc_co_u32_e32 v1, vcc, v1, v23, vcc
	v_add_co_u32_e32 v4, vcc, s27, v4
	v_addc_co_u32_e32 v3, vcc, v3, v23, vcc
	;; [unrolled: 2-line block ×8, first 2 shown]
	s_and_b64 vcc, exec, s[0:1]
	s_cbranch_vccz .LBB22_20
.LBB22_4:                               ; =>This Inner Loop Header: Depth=1
	v_mov_b32_e32 v23, s23
	v_add_co_u32_e32 v24, vcc, s22, v0
	v_addc_co_u32_e32 v25, vcc, 0, v23, vcc
	v_cmp_gt_u64_e32 vcc, s[20:21], v[24:25]
	v_mov_b32_e32 v24, 0
	s_and_saveexec_b64 s[2:3], vcc
	s_cbranch_execz .LBB22_6
; %bb.5:                                ;   in Loop: Header=BB22_4 Depth=1
	v_mov_b32_e32 v23, s19
	v_add_co_u32_e64 v24, s[0:1], s18, v2
	v_addc_co_u32_e64 v25, s[0:1], v1, v23, s[0:1]
	global_load_ushort v24, v[24:25], off
.LBB22_6:                               ;   in Loop: Header=BB22_4 Depth=1
	s_or_b64 exec, exec, s[2:3]
	v_mov_b32_e32 v23, s23
	v_add_co_u32_e64 v26, s[0:1], s22, v21
	v_addc_co_u32_e64 v27, s[0:1], v22, v23, s[0:1]
	v_cmp_gt_u64_e64 s[0:1], s[20:21], v[26:27]
	v_mov_b32_e32 v25, 0
	s_and_saveexec_b64 s[6:7], s[0:1]
	s_cbranch_execz .LBB22_8
; %bb.7:                                ;   in Loop: Header=BB22_4 Depth=1
	v_mov_b32_e32 v23, s19
	v_add_co_u32_e64 v26, s[2:3], s18, v14
	v_addc_co_u32_e64 v27, s[2:3], v13, v23, s[2:3]
	global_load_ushort v25, v[26:27], off
.LBB22_8:                               ;   in Loop: Header=BB22_4 Depth=1
	s_or_b64 exec, exec, s[6:7]
	v_mov_b32_e32 v23, s23
	v_add_co_u32_e64 v26, s[2:3], s22, v19
	v_addc_co_u32_e64 v27, s[2:3], v20, v23, s[2:3]
	v_cmp_gt_u64_e64 s[2:3], s[20:21], v[26:27]
	v_mov_b32_e32 v23, 0
	v_mov_b32_e32 v26, 0
	s_and_saveexec_b64 s[8:9], s[2:3]
	s_cbranch_execz .LBB22_10
; %bb.9:                                ;   in Loop: Header=BB22_4 Depth=1
	v_mov_b32_e32 v27, s19
	v_add_co_u32_e64 v26, s[6:7], s18, v10
	v_addc_co_u32_e64 v27, s[6:7], v9, v27, s[6:7]
	global_load_ushort v26, v[26:27], off
.LBB22_10:                              ;   in Loop: Header=BB22_4 Depth=1
	s_or_b64 exec, exec, s[8:9]
	v_mov_b32_e32 v27, s23
	v_add_co_u32_e64 v28, s[6:7], s22, v17
	v_addc_co_u32_e64 v29, s[6:7], v18, v27, s[6:7]
	v_cmp_gt_u64_e64 s[6:7], s[20:21], v[28:29]
	s_and_saveexec_b64 s[24:25], s[6:7]
	s_cbranch_execnz .LBB22_15
; %bb.11:                               ;   in Loop: Header=BB22_4 Depth=1
	s_or_b64 exec, exec, s[24:25]
	s_and_saveexec_b64 s[8:9], vcc
	s_cbranch_execnz .LBB22_16
.LBB22_12:                              ;   in Loop: Header=BB22_4 Depth=1
	s_or_b64 exec, exec, s[8:9]
	s_and_saveexec_b64 s[8:9], s[0:1]
	s_cbranch_execnz .LBB22_17
.LBB22_13:                              ;   in Loop: Header=BB22_4 Depth=1
	s_or_b64 exec, exec, s[8:9]
	s_and_saveexec_b64 s[0:1], s[2:3]
	s_cbranch_execnz .LBB22_18
.LBB22_14:                              ;   in Loop: Header=BB22_4 Depth=1
	s_or_b64 exec, exec, s[0:1]
	s_and_saveexec_b64 s[0:1], s[6:7]
	s_cbranch_execz .LBB22_3
	s_branch .LBB22_19
.LBB22_15:                              ;   in Loop: Header=BB22_4 Depth=1
	v_mov_b32_e32 v23, s19
	v_add_co_u32_e64 v28, s[8:9], s18, v6
	v_addc_co_u32_e64 v29, s[8:9], v5, v23, s[8:9]
	global_load_ushort v23, v[28:29], off
	s_or_b64 exec, exec, s[24:25]
	s_and_saveexec_b64 s[8:9], vcc
	s_cbranch_execz .LBB22_12
.LBB22_16:                              ;   in Loop: Header=BB22_4 Depth=1
	s_waitcnt vmcnt(0)
	v_cvt_f32_f16_e32 v24, v24
	v_mov_b32_e32 v27, s19
	v_add_co_u32_e32 v28, vcc, s18, v4
	v_add_f32_e32 v24, s12, v24
	v_cvt_f16_f32_e32 v24, v24
	v_addc_co_u32_e32 v29, vcc, v3, v27, vcc
	global_store_short v[28:29], v24, off
	s_or_b64 exec, exec, s[8:9]
	s_and_saveexec_b64 s[8:9], s[0:1]
	s_cbranch_execz .LBB22_13
.LBB22_17:                              ;   in Loop: Header=BB22_4 Depth=1
	s_waitcnt vmcnt(0)
	v_cvt_f32_f16_e32 v24, v25
	v_mov_b32_e32 v25, s19
	v_add_f32_e32 v24, s12, v24
	v_cvt_f16_f32_e32 v27, v24
	v_add_co_u32_e32 v24, vcc, s18, v16
	v_addc_co_u32_e32 v25, vcc, v15, v25, vcc
	global_store_short v[24:25], v27, off
	s_or_b64 exec, exec, s[8:9]
	s_and_saveexec_b64 s[0:1], s[2:3]
	s_cbranch_execz .LBB22_14
.LBB22_18:                              ;   in Loop: Header=BB22_4 Depth=1
	s_waitcnt vmcnt(0)
	v_cvt_f32_f16_e32 v24, v26
	v_mov_b32_e32 v25, s19
	v_add_f32_e32 v24, s12, v24
	v_cvt_f16_f32_e32 v26, v24
	v_add_co_u32_e32 v24, vcc, s18, v12
	v_addc_co_u32_e32 v25, vcc, v11, v25, vcc
	global_store_short v[24:25], v26, off
	s_or_b64 exec, exec, s[0:1]
	s_and_saveexec_b64 s[0:1], s[6:7]
	s_cbranch_execz .LBB22_3
.LBB22_19:                              ;   in Loop: Header=BB22_4 Depth=1
	s_waitcnt vmcnt(0)
	v_cvt_f32_f16_e32 v23, v23
	v_mov_b32_e32 v25, s19
	v_add_co_u32_e32 v24, vcc, s18, v8
	v_add_f32_e32 v23, s12, v23
	v_cvt_f16_f32_e32 v23, v23
	v_addc_co_u32_e32 v25, vcc, v7, v25, vcc
	global_store_short v[24:25], v23, off
	s_branch .LBB22_3
.LBB22_20:
	s_mov_b64 s[0:1], 0
.LBB22_21:
	s_andn2_b64 vcc, exec, s[0:1]
	s_cbranch_vccnz .LBB22_25
; %bb.22:
	v_mov_b32_e32 v3, 0
	v_lshlrev_b32_e32 v2, 2, v0
	s_mov_b32 s0, 0
	v_cmp_gt_i64_e32 vcc, s[16:17], v[2:3]
	s_and_saveexec_b64 s[2:3], vcc
	s_cbranch_execz .LBB22_25
; %bb.23:
	s_load_dword s1, s[4:5], 0xc5c
	v_lshlrev_b32_e32 v1, 3, v0
	v_mov_b32_e32 v2, s19
	v_add_co_u32_e32 v4, vcc, s18, v1
	s_waitcnt lgkmcnt(0)
	s_and_b32 s1, s1, 0xffff
	s_mov_b32 s13, s12
	s_mov_b32 s4, s12
	;; [unrolled: 1-line block ×3, first 2 shown]
	v_addc_co_u32_e32 v1, vcc, 0, v2, vcc
	s_lshl_b32 s18, s1, 3
	v_add_lshl_u32 v2, v0, s1, 2
	s_lshl_b32 s19, s1, 2
	s_mov_b64 s[6:7], 0
	v_mov_b32_e32 v0, s11
	v_mov_b32_e32 v5, s15
	s_mov_b64 s[8:9], 0xffff
	v_mov_b32_e32 v6, s0
	v_mov_b32_e32 v7, s0
.LBB22_24:                              ; =>This Inner Loop Header: Depth=1
	v_add_co_u32_e32 v8, vcc, s10, v4
	v_addc_co_u32_e32 v9, vcc, v0, v1, vcc
	global_load_dwordx2 v[8:9], v[8:9], off
	v_add_co_u32_e32 v10, vcc, s14, v4
	v_addc_co_u32_e32 v11, vcc, v5, v1, vcc
	v_cmp_le_i64_e32 vcc, s[16:17], v[2:3]
	v_cmp_lt_u64_e64 s[0:1], s[8:9], v[2:3]
	v_add_co_u32_e64 v4, s[2:3], s18, v4
	v_addc_co_u32_e64 v1, s[2:3], v1, v6, s[2:3]
	s_or_b64 s[0:1], vcc, s[0:1]
	v_add_co_u32_e64 v2, s[2:3], s19, v2
	s_and_b64 s[0:1], exec, s[0:1]
	v_addc_co_u32_e64 v3, s[2:3], v3, v7, s[2:3]
	s_or_b64 s[6:7], s[0:1], s[6:7]
	s_waitcnt vmcnt(0)
	v_cvt_f32_f16_e32 v12, v9
	v_cvt_f32_f16_e32 v14, v8
	v_cvt_f32_f16_sdwa v15, v8 dst_sel:DWORD dst_unused:UNUSED_PAD src0_sel:WORD_1
	v_cvt_f32_f16_sdwa v13, v9 dst_sel:DWORD dst_unused:UNUSED_PAD src0_sel:WORD_1
	v_pk_add_f32 v[8:9], s[12:13], v[14:15]
	v_pk_add_f32 v[12:13], s[4:5], v[12:13]
	v_cvt_f16_f32_e32 v13, v13
	v_cvt_f16_f32_e32 v12, v12
	;; [unrolled: 1-line block ×4, first 2 shown]
	v_pack_b32_f16 v9, v12, v13
	v_pack_b32_f16 v8, v8, v14
	global_store_dwordx2 v[10:11], v[8:9], off
	s_andn2_b64 exec, exec, s[6:7]
	s_cbranch_execnz .LBB22_24
.LBB22_25:
	s_endpgm
	.section	.rodata,"a",@progbits
	.p2align	6, 0x0
	.amdhsa_kernel _ZN2at6native12_GLOBAL__N_125multi_tensor_apply_kernelINS1_18TensorListMetadataILi2EEENS1_21BinaryOpScalarFunctorIN3c104HalfELi2ELi1ELi1EEEJSt4plusIfEfEEEvT_T0_DpT1_
		.amdhsa_group_segment_fixed_size 0
		.amdhsa_private_segment_fixed_size 0
		.amdhsa_kernarg_size 3408
		.amdhsa_user_sgpr_count 6
		.amdhsa_user_sgpr_private_segment_buffer 1
		.amdhsa_user_sgpr_dispatch_ptr 0
		.amdhsa_user_sgpr_queue_ptr 0
		.amdhsa_user_sgpr_kernarg_segment_ptr 1
		.amdhsa_user_sgpr_dispatch_id 0
		.amdhsa_user_sgpr_flat_scratch_init 0
		.amdhsa_user_sgpr_kernarg_preload_length 0
		.amdhsa_user_sgpr_kernarg_preload_offset 0
		.amdhsa_user_sgpr_private_segment_size 0
		.amdhsa_uses_dynamic_stack 0
		.amdhsa_system_sgpr_private_segment_wavefront_offset 0
		.amdhsa_system_sgpr_workgroup_id_x 1
		.amdhsa_system_sgpr_workgroup_id_y 0
		.amdhsa_system_sgpr_workgroup_id_z 0
		.amdhsa_system_sgpr_workgroup_info 0
		.amdhsa_system_vgpr_workitem_id 0
		.amdhsa_next_free_vgpr 30
		.amdhsa_next_free_sgpr 28
		.amdhsa_accum_offset 32
		.amdhsa_reserve_vcc 1
		.amdhsa_reserve_flat_scratch 0
		.amdhsa_float_round_mode_32 0
		.amdhsa_float_round_mode_16_64 0
		.amdhsa_float_denorm_mode_32 3
		.amdhsa_float_denorm_mode_16_64 3
		.amdhsa_dx10_clamp 1
		.amdhsa_ieee_mode 1
		.amdhsa_fp16_overflow 0
		.amdhsa_tg_split 0
		.amdhsa_exception_fp_ieee_invalid_op 0
		.amdhsa_exception_fp_denorm_src 0
		.amdhsa_exception_fp_ieee_div_zero 0
		.amdhsa_exception_fp_ieee_overflow 0
		.amdhsa_exception_fp_ieee_underflow 0
		.amdhsa_exception_fp_ieee_inexact 0
		.amdhsa_exception_int_div_zero 0
	.end_amdhsa_kernel
	.section	.text._ZN2at6native12_GLOBAL__N_125multi_tensor_apply_kernelINS1_18TensorListMetadataILi2EEENS1_21BinaryOpScalarFunctorIN3c104HalfELi2ELi1ELi1EEEJSt4plusIfEfEEEvT_T0_DpT1_,"axG",@progbits,_ZN2at6native12_GLOBAL__N_125multi_tensor_apply_kernelINS1_18TensorListMetadataILi2EEENS1_21BinaryOpScalarFunctorIN3c104HalfELi2ELi1ELi1EEEJSt4plusIfEfEEEvT_T0_DpT1_,comdat
.Lfunc_end22:
	.size	_ZN2at6native12_GLOBAL__N_125multi_tensor_apply_kernelINS1_18TensorListMetadataILi2EEENS1_21BinaryOpScalarFunctorIN3c104HalfELi2ELi1ELi1EEEJSt4plusIfEfEEEvT_T0_DpT1_, .Lfunc_end22-_ZN2at6native12_GLOBAL__N_125multi_tensor_apply_kernelINS1_18TensorListMetadataILi2EEENS1_21BinaryOpScalarFunctorIN3c104HalfELi2ELi1ELi1EEEJSt4plusIfEfEEEvT_T0_DpT1_
                                        ; -- End function
	.section	.AMDGPU.csdata,"",@progbits
; Kernel info:
; codeLenInByte = 1348
; NumSgprs: 32
; NumVgprs: 30
; NumAgprs: 0
; TotalNumVgprs: 30
; ScratchSize: 0
; MemoryBound: 0
; FloatMode: 240
; IeeeMode: 1
; LDSByteSize: 0 bytes/workgroup (compile time only)
; SGPRBlocks: 3
; VGPRBlocks: 3
; NumSGPRsForWavesPerEU: 32
; NumVGPRsForWavesPerEU: 30
; AccumOffset: 32
; Occupancy: 8
; WaveLimiterHint : 0
; COMPUTE_PGM_RSRC2:SCRATCH_EN: 0
; COMPUTE_PGM_RSRC2:USER_SGPR: 6
; COMPUTE_PGM_RSRC2:TRAP_HANDLER: 0
; COMPUTE_PGM_RSRC2:TGID_X_EN: 1
; COMPUTE_PGM_RSRC2:TGID_Y_EN: 0
; COMPUTE_PGM_RSRC2:TGID_Z_EN: 0
; COMPUTE_PGM_RSRC2:TIDIG_COMP_CNT: 0
; COMPUTE_PGM_RSRC3_GFX90A:ACCUM_OFFSET: 7
; COMPUTE_PGM_RSRC3_GFX90A:TG_SPLIT: 0
	.section	.text._ZN2at6native12_GLOBAL__N_125multi_tensor_apply_kernelINS1_18TensorListMetadataILi2EEENS1_21BinaryOpScalarFunctorIN3c108BFloat16ELi2ELi1ELi1EEEJSt4plusIfEfEEEvT_T0_DpT1_,"axG",@progbits,_ZN2at6native12_GLOBAL__N_125multi_tensor_apply_kernelINS1_18TensorListMetadataILi2EEENS1_21BinaryOpScalarFunctorIN3c108BFloat16ELi2ELi1ELi1EEEJSt4plusIfEfEEEvT_T0_DpT1_,comdat
	.globl	_ZN2at6native12_GLOBAL__N_125multi_tensor_apply_kernelINS1_18TensorListMetadataILi2EEENS1_21BinaryOpScalarFunctorIN3c108BFloat16ELi2ELi1ELi1EEEJSt4plusIfEfEEEvT_T0_DpT1_ ; -- Begin function _ZN2at6native12_GLOBAL__N_125multi_tensor_apply_kernelINS1_18TensorListMetadataILi2EEENS1_21BinaryOpScalarFunctorIN3c108BFloat16ELi2ELi1ELi1EEEJSt4plusIfEfEEEvT_T0_DpT1_
	.p2align	8
	.type	_ZN2at6native12_GLOBAL__N_125multi_tensor_apply_kernelINS1_18TensorListMetadataILi2EEENS1_21BinaryOpScalarFunctorIN3c108BFloat16ELi2ELi1ELi1EEEJSt4plusIfEfEEEvT_T0_DpT1_,@function
_ZN2at6native12_GLOBAL__N_125multi_tensor_apply_kernelINS1_18TensorListMetadataILi2EEENS1_21BinaryOpScalarFunctorIN3c108BFloat16ELi2ELi1ELi1EEEJSt4plusIfEfEEEvT_T0_DpT1_: ; @_ZN2at6native12_GLOBAL__N_125multi_tensor_apply_kernelINS1_18TensorListMetadataILi2EEENS1_21BinaryOpScalarFunctorIN3c108BFloat16ELi2ELi1ELi1EEEJSt4plusIfEfEEEvT_T0_DpT1_
; %bb.0:
	v_mov_b32_e32 v1, s6
	global_load_ubyte v1, v1, s[4:5] offset:1536
	s_add_u32 s0, s4, s6
	s_mul_hi_u32 s2, s6, 3
	s_mul_i32 s6, s6, 3
	s_addc_u32 s7, s5, 0
	s_add_u32 s6, s0, s6
	s_addc_u32 s7, s7, s2
	s_load_dword s6, s[6:7], 0x740
	s_mov_b32 s1, 0
	s_mov_b32 s15, s1
	;; [unrolled: 1-line block ×3, first 2 shown]
	s_waitcnt lgkmcnt(0)
	s_ashr_i32 s7, s6, 31
	s_lshl_b64 s[16:17], s[6:7], 17
	s_waitcnt vmcnt(0)
	v_readfirstlane_b32 s0, v1
	s_lshl_b32 s0, s0, 3
	s_load_dwordx2 s[10:11], s[4:5], s0 offset:0x0
	s_load_dword s24, s[4:5], 0xc4c
	s_load_dwordx2 s[8:9], s[4:5], s0 offset:0x400
	s_load_dwordx2 s[12:13], s[4:5], s0 offset:0x200
	s_waitcnt lgkmcnt(0)
	s_and_b32 s0, s10, 7
	s_and_b32 s14, s8, 3
	;; [unrolled: 1-line block ×3, first 2 shown]
	s_or_b64 s[0:1], s[0:1], s[14:15]
	s_or_b64 s[0:1], s[2:3], s[0:1]
	s_lshl_b64 s[2:3], s[6:7], 16
	s_sub_u32 s14, s8, s2
	s_subb_u32 s15, s9, s3
	s_cmp_eq_u64 s[0:1], 0
	s_mov_b64 s[0:1], -1
	s_cbranch_scc1 .LBB23_21
; %bb.1:
	v_cmp_lt_i64_e64 s[0:1], s[14:15], 1
	s_and_b64 vcc, exec, s[0:1]
	s_cbranch_vccnz .LBB23_20
; %bb.2:
	s_load_dword s0, s[4:5], 0xc5c
	v_mov_b32_e32 v2, 0x10000
	v_mov_b32_e32 v3, 0
	v_cmp_lt_u64_e32 vcc, s[14:15], v[2:3]
	v_lshlrev_b32_e32 v10, 1, v0
	s_waitcnt lgkmcnt(0)
	s_and_b32 s2, s0, 0xffff
	s_and_b64 s[0:1], vcc, exec
	v_mov_b32_e32 v13, s11
	v_add_co_u32_e32 v2, vcc, s10, v10
	v_addc_co_u32_e32 v1, vcc, 0, v13, vcc
	v_mov_b32_e32 v11, 0
	v_mov_b32_e32 v15, s13
	v_add_co_u32_e32 v4, vcc, s12, v10
	v_addc_co_u32_e32 v3, vcc, 0, v15, vcc
	v_mad_u64_u32 v[8:9], s[0:1], s2, 6, v[10:11]
	v_add_co_u32_e32 v6, vcc, s10, v8
	v_addc_co_u32_e32 v5, vcc, v13, v9, vcc
	v_add_co_u32_e32 v8, vcc, s12, v8
	s_mul_i32 s6, s2, 3
	v_addc_co_u32_e32 v7, vcc, v15, v9, vcc
	s_cselect_b32 s19, s15, 0
	s_cselect_b32 s18, s14, 0x10000
	s_lshl_b32 s26, s2, 2
	v_add_co_u32_e32 v17, vcc, s6, v0
	v_addc_co_u32_e64 v18, s[0:1], 0, 0, vcc
	v_add_co_u32_e32 v11, vcc, s26, v10
	v_addc_co_u32_e64 v14, s[0:1], 0, 0, vcc
	v_add_co_u32_e32 v10, vcc, s10, v11
	v_addc_co_u32_e32 v9, vcc, v13, v14, vcc
	v_add_co_u32_e32 v12, vcc, s12, v11
	s_lshl_b32 s3, s2, 1
	v_addc_co_u32_e32 v11, vcc, v15, v14, vcc
	v_add_co_u32_e32 v19, vcc, s3, v0
	v_addc_co_u32_e64 v20, s[0:1], 0, 0, vcc
	v_add_co_u32_e32 v21, vcc, s2, v0
	v_lshlrev_b32_e32 v16, 1, v21
	v_addc_co_u32_e64 v22, s[0:1], 0, 0, vcc
	v_add_co_u32_e32 v14, vcc, s10, v16
	v_addc_co_u32_e32 v13, vcc, 0, v13, vcc
	v_add_co_u32_e32 v16, vcc, s12, v16
	s_mov_b32 s25, 0
	s_lshl_b32 s27, s2, 3
	v_addc_co_u32_e32 v15, vcc, 0, v15, vcc
	s_mov_b64 s[20:21], 0
	s_movk_i32 s28, 0x7fff
	v_mov_b32_e32 v23, 0x7fc0
	s_branch .LBB23_4
.LBB23_3:                               ;   in Loop: Header=BB23_4 Depth=1
	s_or_b64 exec, exec, s[0:1]
	s_add_u32 s20, s20, s26
	s_addc_u32 s21, s21, 0
	s_waitcnt vmcnt(0)
	v_pk_mov_b32 v[24:25], s[14:15], s[14:15] op_sel:[0,1]
	v_cmp_lt_i64_e32 vcc, s[20:21], v[24:25]
	v_mov_b32_e32 v24, 0x10000
	v_mov_b32_e32 v25, 0
	v_cmp_lt_u64_e64 s[0:1], s[20:21], v[24:25]
	s_and_b64 s[0:1], vcc, s[0:1]
	v_mov_b32_e32 v24, s25
	v_add_co_u32_e32 v2, vcc, s27, v2
	v_addc_co_u32_e32 v1, vcc, v1, v24, vcc
	v_add_co_u32_e32 v4, vcc, s27, v4
	v_addc_co_u32_e32 v3, vcc, v3, v24, vcc
	v_add_co_u32_e32 v6, vcc, s27, v6
	v_addc_co_u32_e32 v5, vcc, v5, v24, vcc
	v_add_co_u32_e32 v8, vcc, s27, v8
	v_addc_co_u32_e32 v7, vcc, v7, v24, vcc
	v_add_co_u32_e32 v10, vcc, s27, v10
	v_addc_co_u32_e32 v9, vcc, v9, v24, vcc
	v_add_co_u32_e32 v12, vcc, s27, v12
	v_addc_co_u32_e32 v11, vcc, v11, v24, vcc
	v_add_co_u32_e32 v14, vcc, s27, v14
	v_addc_co_u32_e32 v13, vcc, v13, v24, vcc
	v_add_co_u32_e32 v16, vcc, s27, v16
	v_addc_co_u32_e32 v15, vcc, v15, v24, vcc
	s_and_b64 vcc, exec, s[0:1]
	s_cbranch_vccz .LBB23_20
.LBB23_4:                               ; =>This Inner Loop Header: Depth=1
	v_mov_b32_e32 v25, s21
	v_add_co_u32_e32 v24, vcc, s20, v0
	v_addc_co_u32_e32 v25, vcc, 0, v25, vcc
	v_cmp_gt_u64_e32 vcc, s[18:19], v[24:25]
	v_mov_b32_e32 v25, 0
	s_and_saveexec_b64 s[2:3], vcc
	s_cbranch_execz .LBB23_6
; %bb.5:                                ;   in Loop: Header=BB23_4 Depth=1
	v_mov_b32_e32 v25, s17
	v_add_co_u32_e64 v24, s[0:1], s16, v2
	v_addc_co_u32_e64 v25, s[0:1], v1, v25, s[0:1]
	global_load_ushort v25, v[24:25], off
.LBB23_6:                               ;   in Loop: Header=BB23_4 Depth=1
	s_or_b64 exec, exec, s[2:3]
	v_mov_b32_e32 v24, s21
	v_add_co_u32_e64 v26, s[0:1], s20, v21
	v_addc_co_u32_e64 v27, s[0:1], v22, v24, s[0:1]
	v_cmp_gt_u64_e64 s[0:1], s[18:19], v[26:27]
	v_mov_b32_e32 v26, 0
	s_and_saveexec_b64 s[6:7], s[0:1]
	s_cbranch_execz .LBB23_8
; %bb.7:                                ;   in Loop: Header=BB23_4 Depth=1
	v_mov_b32_e32 v24, s17
	v_add_co_u32_e64 v26, s[2:3], s16, v14
	v_addc_co_u32_e64 v27, s[2:3], v13, v24, s[2:3]
	global_load_ushort v26, v[26:27], off
.LBB23_8:                               ;   in Loop: Header=BB23_4 Depth=1
	s_or_b64 exec, exec, s[6:7]
	v_mov_b32_e32 v24, s21
	v_add_co_u32_e64 v28, s[2:3], s20, v19
	v_addc_co_u32_e64 v29, s[2:3], v20, v24, s[2:3]
	v_cmp_gt_u64_e64 s[2:3], s[18:19], v[28:29]
	v_mov_b32_e32 v24, 0
	v_mov_b32_e32 v27, 0
	s_and_saveexec_b64 s[8:9], s[2:3]
	s_cbranch_execz .LBB23_10
; %bb.9:                                ;   in Loop: Header=BB23_4 Depth=1
	v_mov_b32_e32 v27, s17
	v_add_co_u32_e64 v28, s[6:7], s16, v10
	v_addc_co_u32_e64 v29, s[6:7], v9, v27, s[6:7]
	global_load_ushort v27, v[28:29], off
.LBB23_10:                              ;   in Loop: Header=BB23_4 Depth=1
	s_or_b64 exec, exec, s[8:9]
	v_mov_b32_e32 v29, s21
	v_add_co_u32_e64 v28, s[6:7], s20, v17
	v_addc_co_u32_e64 v29, s[6:7], v18, v29, s[6:7]
	v_cmp_gt_u64_e64 s[6:7], s[18:19], v[28:29]
	s_and_saveexec_b64 s[22:23], s[6:7]
	s_cbranch_execnz .LBB23_15
; %bb.11:                               ;   in Loop: Header=BB23_4 Depth=1
	s_or_b64 exec, exec, s[22:23]
	s_and_saveexec_b64 s[8:9], vcc
	s_cbranch_execnz .LBB23_16
.LBB23_12:                              ;   in Loop: Header=BB23_4 Depth=1
	s_or_b64 exec, exec, s[8:9]
	s_and_saveexec_b64 s[8:9], s[0:1]
	s_cbranch_execnz .LBB23_17
.LBB23_13:                              ;   in Loop: Header=BB23_4 Depth=1
	s_or_b64 exec, exec, s[8:9]
	s_and_saveexec_b64 s[0:1], s[2:3]
	s_cbranch_execnz .LBB23_18
.LBB23_14:                              ;   in Loop: Header=BB23_4 Depth=1
	s_or_b64 exec, exec, s[0:1]
	s_and_saveexec_b64 s[0:1], s[6:7]
	s_cbranch_execz .LBB23_3
	s_branch .LBB23_19
.LBB23_15:                              ;   in Loop: Header=BB23_4 Depth=1
	v_mov_b32_e32 v24, s17
	v_add_co_u32_e64 v28, s[8:9], s16, v6
	v_addc_co_u32_e64 v29, s[8:9], v5, v24, s[8:9]
	global_load_ushort v24, v[28:29], off
	s_or_b64 exec, exec, s[22:23]
	s_and_saveexec_b64 s[8:9], vcc
	s_cbranch_execz .LBB23_12
.LBB23_16:                              ;   in Loop: Header=BB23_4 Depth=1
	s_waitcnt vmcnt(0)
	v_lshlrev_b32_e32 v25, 16, v25
	v_add_f32_e32 v25, s24, v25
	v_mov_b32_e32 v29, s17
	v_add_co_u32_e32 v28, vcc, s16, v4
	v_bfe_u32 v30, v25, 16, 1
	v_addc_co_u32_e32 v29, vcc, v3, v29, vcc
	v_add3_u32 v30, v25, v30, s28
	v_lshrrev_b32_e32 v30, 16, v30
	v_cmp_o_f32_e32 vcc, v25, v25
	v_cndmask_b32_e32 v25, v23, v30, vcc
	global_store_short v[28:29], v25, off
	s_or_b64 exec, exec, s[8:9]
	s_and_saveexec_b64 s[8:9], s[0:1]
	s_cbranch_execz .LBB23_13
.LBB23_17:                              ;   in Loop: Header=BB23_4 Depth=1
	s_waitcnt vmcnt(0)
	v_lshlrev_b32_e32 v25, 16, v26
	v_add_f32_e32 v25, s24, v25
	v_bfe_u32 v26, v25, 16, 1
	v_add3_u32 v26, v25, v26, s28
	v_lshrrev_b32_e32 v26, 16, v26
	v_cmp_o_f32_e32 vcc, v25, v25
	v_cndmask_b32_e32 v25, v23, v26, vcc
	v_mov_b32_e32 v26, s17
	v_add_co_u32_e32 v28, vcc, s16, v16
	v_addc_co_u32_e32 v29, vcc, v15, v26, vcc
	global_store_short v[28:29], v25, off
	s_or_b64 exec, exec, s[8:9]
	s_and_saveexec_b64 s[0:1], s[2:3]
	s_cbranch_execz .LBB23_14
.LBB23_18:                              ;   in Loop: Header=BB23_4 Depth=1
	s_waitcnt vmcnt(0)
	v_lshlrev_b32_e32 v25, 16, v27
	v_add_f32_e32 v25, s24, v25
	v_bfe_u32 v26, v25, 16, 1
	v_add3_u32 v26, v25, v26, s28
	v_lshrrev_b32_e32 v26, 16, v26
	v_cmp_o_f32_e32 vcc, v25, v25
	v_cndmask_b32_e32 v25, v23, v26, vcc
	v_mov_b32_e32 v27, s17
	v_add_co_u32_e32 v26, vcc, s16, v12
	v_addc_co_u32_e32 v27, vcc, v11, v27, vcc
	global_store_short v[26:27], v25, off
	s_or_b64 exec, exec, s[0:1]
	s_and_saveexec_b64 s[0:1], s[6:7]
	s_cbranch_execz .LBB23_3
.LBB23_19:                              ;   in Loop: Header=BB23_4 Depth=1
	s_waitcnt vmcnt(0)
	v_lshlrev_b32_e32 v24, 16, v24
	v_add_f32_e32 v24, s24, v24
	v_bfe_u32 v25, v24, 16, 1
	v_add3_u32 v25, v24, v25, s28
	v_lshrrev_b32_e32 v25, 16, v25
	v_cmp_o_f32_e32 vcc, v24, v24
	v_cndmask_b32_e32 v26, v23, v25, vcc
	v_mov_b32_e32 v25, s17
	v_add_co_u32_e32 v24, vcc, s16, v8
	v_addc_co_u32_e32 v25, vcc, v7, v25, vcc
	global_store_short v[24:25], v26, off
	s_branch .LBB23_3
.LBB23_20:
	s_mov_b64 s[0:1], 0
.LBB23_21:
	s_andn2_b64 vcc, exec, s[0:1]
	s_cbranch_vccnz .LBB23_25
; %bb.22:
	v_mov_b32_e32 v3, 0
	v_lshlrev_b32_e32 v2, 2, v0
	s_mov_b32 s0, 0
	v_cmp_gt_i64_e32 vcc, s[14:15], v[2:3]
	s_and_saveexec_b64 s[2:3], vcc
	s_cbranch_execz .LBB23_25
; %bb.23:
	s_load_dword s1, s[4:5], 0xc5c
	v_lshlrev_b32_e32 v1, 3, v0
	v_mov_b32_e32 v2, s17
	v_add_co_u32_e32 v4, vcc, s16, v1
	s_waitcnt lgkmcnt(0)
	s_and_b32 s1, s1, 0xffff
	v_addc_co_u32_e32 v1, vcc, 0, v2, vcc
	s_lshl_b32 s8, s1, 3
	v_add_lshl_u32 v2, v0, s1, 2
	s_lshl_b32 s9, s1, 2
	s_mov_b64 s[4:5], 0
	v_mov_b32_e32 v0, s11
	s_movk_i32 s11, 0x7fff
	v_mov_b32_e32 v5, s13
	v_mov_b32_e32 v6, 0x7fc00000
	;; [unrolled: 1-line block ×3, first 2 shown]
	s_mov_b64 s[6:7], 0xffff
	v_mov_b32_e32 v8, s0
	v_mov_b32_e32 v9, s0
.LBB23_24:                              ; =>This Inner Loop Header: Depth=1
	v_add_co_u32_e32 v10, vcc, s10, v4
	v_addc_co_u32_e32 v11, vcc, v0, v1, vcc
	global_load_dwordx2 v[10:11], v[10:11], off
	v_add_co_u32_e32 v12, vcc, s12, v4
	v_addc_co_u32_e32 v13, vcc, v5, v1, vcc
	v_cmp_le_i64_e32 vcc, s[14:15], v[2:3]
	v_cmp_lt_u64_e64 s[0:1], s[6:7], v[2:3]
	v_add_co_u32_e64 v4, s[2:3], s8, v4
	v_addc_co_u32_e64 v1, s[2:3], v1, v8, s[2:3]
	s_or_b64 s[0:1], vcc, s[0:1]
	v_add_co_u32_e64 v2, s[2:3], s9, v2
	s_and_b64 s[0:1], exec, s[0:1]
	v_addc_co_u32_e64 v3, s[2:3], v3, v9, s[2:3]
	s_or_b64 s[4:5], s[0:1], s[4:5]
	s_waitcnt vmcnt(0)
	v_lshlrev_b32_e32 v14, 16, v10
	v_and_b32_e32 v15, 0xffff0000, v10
	v_alignbit_b32 v10, v11, v10, 16
	v_and_b32_e32 v11, 0xffff0000, v11
	v_add_f32_e32 v14, s24, v14
	v_add_f32_e32 v15, s24, v15
	v_and_b32_e32 v10, 0xffff0000, v10
	v_add_f32_e32 v11, s24, v11
	v_bfe_u32 v16, v14, 16, 1
	v_bfe_u32 v17, v15, 16, 1
	v_add_f32_e32 v10, s24, v10
	v_bfe_u32 v18, v11, 16, 1
	v_add3_u32 v16, v14, v16, s11
	v_add3_u32 v17, v15, v17, s11
	v_bfe_u32 v19, v10, 16, 1
	v_add3_u32 v18, v11, v18, s11
	v_lshrrev_b32_e32 v16, 16, v16
	v_and_b32_e32 v17, 0xffff0000, v17
	v_add3_u32 v19, v10, v19, s11
	v_cmp_o_f32_e32 vcc, v15, v15
	v_cmp_o_f32_e64 s[0:1], v14, v14
	v_and_b32_e32 v18, 0xffff0000, v18
	v_cmp_o_f32_e64 s[2:3], v11, v11
	v_lshrrev_b32_e32 v11, 16, v19
	v_cndmask_b32_e32 v15, v6, v17, vcc
	v_cndmask_b32_e64 v16, v7, v16, s[0:1]
	v_cmp_o_f32_e32 vcc, v10, v10
	v_cndmask_b32_e64 v14, v6, v18, s[2:3]
	v_cndmask_b32_e32 v10, v7, v11, vcc
	v_or_b32_e32 v15, v16, v15
	v_or3_b32 v11, 0, v10, v14
	v_or3_b32 v10, v15, 0, 0
	global_store_dwordx2 v[12:13], v[10:11], off
	s_andn2_b64 exec, exec, s[4:5]
	s_cbranch_execnz .LBB23_24
.LBB23_25:
	s_endpgm
	.section	.rodata,"a",@progbits
	.p2align	6, 0x0
	.amdhsa_kernel _ZN2at6native12_GLOBAL__N_125multi_tensor_apply_kernelINS1_18TensorListMetadataILi2EEENS1_21BinaryOpScalarFunctorIN3c108BFloat16ELi2ELi1ELi1EEEJSt4plusIfEfEEEvT_T0_DpT1_
		.amdhsa_group_segment_fixed_size 0
		.amdhsa_private_segment_fixed_size 0
		.amdhsa_kernarg_size 3408
		.amdhsa_user_sgpr_count 6
		.amdhsa_user_sgpr_private_segment_buffer 1
		.amdhsa_user_sgpr_dispatch_ptr 0
		.amdhsa_user_sgpr_queue_ptr 0
		.amdhsa_user_sgpr_kernarg_segment_ptr 1
		.amdhsa_user_sgpr_dispatch_id 0
		.amdhsa_user_sgpr_flat_scratch_init 0
		.amdhsa_user_sgpr_kernarg_preload_length 0
		.amdhsa_user_sgpr_kernarg_preload_offset 0
		.amdhsa_user_sgpr_private_segment_size 0
		.amdhsa_uses_dynamic_stack 0
		.amdhsa_system_sgpr_private_segment_wavefront_offset 0
		.amdhsa_system_sgpr_workgroup_id_x 1
		.amdhsa_system_sgpr_workgroup_id_y 0
		.amdhsa_system_sgpr_workgroup_id_z 0
		.amdhsa_system_sgpr_workgroup_info 0
		.amdhsa_system_vgpr_workitem_id 0
		.amdhsa_next_free_vgpr 31
		.amdhsa_next_free_sgpr 29
		.amdhsa_accum_offset 32
		.amdhsa_reserve_vcc 1
		.amdhsa_reserve_flat_scratch 0
		.amdhsa_float_round_mode_32 0
		.amdhsa_float_round_mode_16_64 0
		.amdhsa_float_denorm_mode_32 3
		.amdhsa_float_denorm_mode_16_64 3
		.amdhsa_dx10_clamp 1
		.amdhsa_ieee_mode 1
		.amdhsa_fp16_overflow 0
		.amdhsa_tg_split 0
		.amdhsa_exception_fp_ieee_invalid_op 0
		.amdhsa_exception_fp_denorm_src 0
		.amdhsa_exception_fp_ieee_div_zero 0
		.amdhsa_exception_fp_ieee_overflow 0
		.amdhsa_exception_fp_ieee_underflow 0
		.amdhsa_exception_fp_ieee_inexact 0
		.amdhsa_exception_int_div_zero 0
	.end_amdhsa_kernel
	.section	.text._ZN2at6native12_GLOBAL__N_125multi_tensor_apply_kernelINS1_18TensorListMetadataILi2EEENS1_21BinaryOpScalarFunctorIN3c108BFloat16ELi2ELi1ELi1EEEJSt4plusIfEfEEEvT_T0_DpT1_,"axG",@progbits,_ZN2at6native12_GLOBAL__N_125multi_tensor_apply_kernelINS1_18TensorListMetadataILi2EEENS1_21BinaryOpScalarFunctorIN3c108BFloat16ELi2ELi1ELi1EEEJSt4plusIfEfEEEvT_T0_DpT1_,comdat
.Lfunc_end23:
	.size	_ZN2at6native12_GLOBAL__N_125multi_tensor_apply_kernelINS1_18TensorListMetadataILi2EEENS1_21BinaryOpScalarFunctorIN3c108BFloat16ELi2ELi1ELi1EEEJSt4plusIfEfEEEvT_T0_DpT1_, .Lfunc_end23-_ZN2at6native12_GLOBAL__N_125multi_tensor_apply_kernelINS1_18TensorListMetadataILi2EEENS1_21BinaryOpScalarFunctorIN3c108BFloat16ELi2ELi1ELi1EEEJSt4plusIfEfEEEvT_T0_DpT1_
                                        ; -- End function
	.section	.AMDGPU.csdata,"",@progbits
; Kernel info:
; codeLenInByte = 1600
; NumSgprs: 33
; NumVgprs: 31
; NumAgprs: 0
; TotalNumVgprs: 31
; ScratchSize: 0
; MemoryBound: 0
; FloatMode: 240
; IeeeMode: 1
; LDSByteSize: 0 bytes/workgroup (compile time only)
; SGPRBlocks: 4
; VGPRBlocks: 3
; NumSGPRsForWavesPerEU: 33
; NumVGPRsForWavesPerEU: 31
; AccumOffset: 32
; Occupancy: 8
; WaveLimiterHint : 0
; COMPUTE_PGM_RSRC2:SCRATCH_EN: 0
; COMPUTE_PGM_RSRC2:USER_SGPR: 6
; COMPUTE_PGM_RSRC2:TRAP_HANDLER: 0
; COMPUTE_PGM_RSRC2:TGID_X_EN: 1
; COMPUTE_PGM_RSRC2:TGID_Y_EN: 0
; COMPUTE_PGM_RSRC2:TGID_Z_EN: 0
; COMPUTE_PGM_RSRC2:TIDIG_COMP_CNT: 0
; COMPUTE_PGM_RSRC3_GFX90A:ACCUM_OFFSET: 7
; COMPUTE_PGM_RSRC3_GFX90A:TG_SPLIT: 0
	.section	.text._ZN2at6native12_GLOBAL__N_125multi_tensor_apply_kernelINS1_18TensorListMetadataILi1EEENS1_21BinaryOpScalarFunctorIhLi1ELi1ELi0EEEJSt10multipliesIhEhEEEvT_T0_DpT1_,"axG",@progbits,_ZN2at6native12_GLOBAL__N_125multi_tensor_apply_kernelINS1_18TensorListMetadataILi1EEENS1_21BinaryOpScalarFunctorIhLi1ELi1ELi0EEEJSt10multipliesIhEhEEEvT_T0_DpT1_,comdat
	.globl	_ZN2at6native12_GLOBAL__N_125multi_tensor_apply_kernelINS1_18TensorListMetadataILi1EEENS1_21BinaryOpScalarFunctorIhLi1ELi1ELi0EEEJSt10multipliesIhEhEEEvT_T0_DpT1_ ; -- Begin function _ZN2at6native12_GLOBAL__N_125multi_tensor_apply_kernelINS1_18TensorListMetadataILi1EEENS1_21BinaryOpScalarFunctorIhLi1ELi1ELi0EEEJSt10multipliesIhEhEEEvT_T0_DpT1_
	.p2align	8
	.type	_ZN2at6native12_GLOBAL__N_125multi_tensor_apply_kernelINS1_18TensorListMetadataILi1EEENS1_21BinaryOpScalarFunctorIhLi1ELi1ELi0EEEJSt10multipliesIhEhEEEvT_T0_DpT1_,@function
_ZN2at6native12_GLOBAL__N_125multi_tensor_apply_kernelINS1_18TensorListMetadataILi1EEENS1_21BinaryOpScalarFunctorIhLi1ELi1ELi0EEEJSt10multipliesIhEhEEEvT_T0_DpT1_: ; @_ZN2at6native12_GLOBAL__N_125multi_tensor_apply_kernelINS1_18TensorListMetadataILi1EEENS1_21BinaryOpScalarFunctorIhLi1ELi1ELi0EEEJSt10multipliesIhEhEEEvT_T0_DpT1_
; %bb.0:
	v_mov_b32_e32 v1, s6
	global_load_ubyte v1, v1, s[4:5] offset:1760
	s_add_u32 s0, s4, s6
	s_mul_hi_u32 s1, s6, 3
	s_mul_i32 s6, s6, 3
	s_addc_u32 s2, s5, 0
	s_add_u32 s0, s0, s6
	s_addc_u32 s1, s2, s1
	s_load_dword s2, s[0:1], 0x820
	s_waitcnt vmcnt(0)
	v_readfirstlane_b32 s0, v1
	s_lshl_b32 s3, s0, 3
	s_load_dwordx2 s[0:1], s[4:5], s3 offset:0x0
	s_load_dword s19, s[4:5], 0xd28
	s_load_dwordx2 s[6:7], s[4:5], s3 offset:0x370
	s_waitcnt lgkmcnt(0)
	s_ashr_i32 s3, s2, 31
	s_lshl_b64 s[2:3], s[2:3], 16
	s_add_u32 s18, s0, s2
	s_addc_u32 s20, s1, s3
	s_sub_u32 s10, s6, s2
	s_subb_u32 s11, s7, s3
	s_or_b32 s6, s6, s18
	s_and_b32 s6, s6, 3
	s_cmp_eq_u32 s6, 0
	s_cbranch_scc1 .LBB24_21
; %bb.1:
	v_cmp_lt_i64_e64 s[6:7], s[10:11], 1
	s_and_b64 vcc, exec, s[6:7]
	s_cbranch_vccnz .LBB24_20
; %bb.2:
	s_load_dword s6, s[4:5], 0xd3c
	v_mov_b32_e32 v2, 0x10000
	v_mov_b32_e32 v3, 0
	v_cmp_lt_u64_e32 vcc, s[10:11], v[2:3]
	v_mov_b32_e32 v1, s3
	s_waitcnt lgkmcnt(0)
	s_and_b32 s8, s6, 0xffff
	s_and_b64 s[6:7], vcc, exec
	s_cselect_b32 s13, s11, 0
	s_cselect_b32 s12, s10, 0x10000
	s_lshl_b32 s9, s8, 1
	s_mul_i32 s6, s8, 3
	s_lshl_b32 s21, s8, 2
	s_add_u32 s7, s2, s6
	v_add_co_u32_e32 v4, vcc, s2, v0
	s_addc_u32 s14, s3, 0
	v_addc_co_u32_e32 v5, vcc, 0, v1, vcc
	s_add_u32 s7, s0, s7
	v_mov_b32_e32 v6, s1
	v_add_co_u32_e32 v1, vcc, s0, v4
	s_addc_u32 s14, s1, s14
	v_addc_co_u32_e32 v6, vcc, v6, v5, vcc
	s_add_u32 s2, s2, s9
	v_mov_b32_e32 v8, s14
	v_add_co_u32_e32 v7, vcc, s7, v0
	s_addc_u32 s3, s3, 0
	v_addc_co_u32_e32 v8, vcc, 0, v8, vcc
	s_add_u32 s2, s0, s2
	v_add_co_u32_e32 v9, vcc, s6, v0
	s_addc_u32 s3, s1, s3
	v_addc_co_u32_e64 v10, s[6:7], 0, 0, vcc
	v_mov_b32_e32 v12, s3
	v_add_co_u32_e32 v11, vcc, s2, v0
	v_addc_co_u32_e32 v12, vcc, 0, v12, vcc
	s_add_u32 s0, s0, s8
	v_add_co_u32_e32 v13, vcc, s9, v0
	s_addc_u32 s1, s1, 0
	v_addc_co_u32_e64 v14, s[2:3], 0, 0, vcc
	v_mov_b32_e32 v16, s1
	v_add_co_u32_e32 v15, vcc, s0, v4
	v_addc_co_u32_e32 v16, vcc, v16, v5, vcc
	v_add_co_u32_e32 v17, vcc, s8, v0
	v_addc_co_u32_e64 v18, s[0:1], 0, 0, vcc
	s_mov_b64 s[14:15], 0
	s_lshr_b32 s22, s19, 16
	v_pk_mov_b32 v[4:5], s[10:11], s[10:11] op_sel:[0,1]
	s_branch .LBB24_4
.LBB24_3:                               ;   in Loop: Header=BB24_4 Depth=1
	s_or_b64 exec, exec, s[0:1]
	s_add_u32 s14, s14, s21
	s_addc_u32 s15, s15, 0
	v_cmp_lt_i64_e32 vcc, s[14:15], v[4:5]
	v_cmp_lt_u64_e64 s[0:1], s[14:15], v[2:3]
	s_and_b64 s[0:1], vcc, s[0:1]
	s_and_b64 vcc, exec, s[0:1]
	s_cbranch_vccz .LBB24_20
.LBB24_4:                               ; =>This Inner Loop Header: Depth=1
	s_waitcnt vmcnt(0)
	v_mov_b32_e32 v19, s15
	v_add_co_u32_e32 v20, vcc, s14, v0
	v_addc_co_u32_e32 v21, vcc, 0, v19, vcc
	v_cmp_gt_u64_e32 vcc, s[12:13], v[20:21]
	v_mov_b32_e32 v19, 0
	s_and_saveexec_b64 s[2:3], vcc
	s_cbranch_execz .LBB24_6
; %bb.5:                                ;   in Loop: Header=BB24_4 Depth=1
	v_mov_b32_e32 v19, s15
	v_add_co_u32_e64 v20, s[0:1], s14, v1
	v_addc_co_u32_e64 v21, s[0:1], v6, v19, s[0:1]
	global_load_ubyte v19, v[20:21], off
.LBB24_6:                               ;   in Loop: Header=BB24_4 Depth=1
	s_or_b64 exec, exec, s[2:3]
	v_mov_b32_e32 v21, s15
	v_add_co_u32_e64 v20, s[0:1], s14, v17
	v_addc_co_u32_e64 v21, s[0:1], v18, v21, s[0:1]
	v_cmp_gt_u64_e64 s[0:1], s[12:13], v[20:21]
	v_mov_b32_e32 v21, 0
	s_and_saveexec_b64 s[6:7], s[0:1]
	s_cbranch_execz .LBB24_8
; %bb.7:                                ;   in Loop: Header=BB24_4 Depth=1
	v_mov_b32_e32 v21, s15
	v_add_co_u32_e64 v20, s[2:3], s14, v15
	v_addc_co_u32_e64 v21, s[2:3], v16, v21, s[2:3]
	global_load_ubyte v21, v[20:21], off
.LBB24_8:                               ;   in Loop: Header=BB24_4 Depth=1
	s_or_b64 exec, exec, s[6:7]
	v_mov_b32_e32 v20, s15
	v_add_co_u32_e64 v22, s[2:3], s14, v13
	v_addc_co_u32_e64 v23, s[2:3], v14, v20, s[2:3]
	v_cmp_gt_u64_e64 s[2:3], s[12:13], v[22:23]
	v_mov_b32_e32 v20, 0
	v_mov_b32_e32 v22, 0
	s_and_saveexec_b64 s[8:9], s[2:3]
	s_cbranch_execz .LBB24_10
; %bb.9:                                ;   in Loop: Header=BB24_4 Depth=1
	v_mov_b32_e32 v23, s15
	v_add_co_u32_e64 v22, s[6:7], s14, v11
	v_addc_co_u32_e64 v23, s[6:7], v12, v23, s[6:7]
	global_load_ubyte v22, v[22:23], off
.LBB24_10:                              ;   in Loop: Header=BB24_4 Depth=1
	s_or_b64 exec, exec, s[8:9]
	v_mov_b32_e32 v23, s15
	v_add_co_u32_e64 v24, s[6:7], s14, v9
	v_addc_co_u32_e64 v25, s[6:7], v10, v23, s[6:7]
	v_cmp_gt_u64_e64 s[6:7], s[12:13], v[24:25]
	s_and_saveexec_b64 s[16:17], s[6:7]
	s_cbranch_execnz .LBB24_15
; %bb.11:                               ;   in Loop: Header=BB24_4 Depth=1
	s_or_b64 exec, exec, s[16:17]
	s_and_saveexec_b64 s[8:9], vcc
	s_cbranch_execnz .LBB24_16
.LBB24_12:                              ;   in Loop: Header=BB24_4 Depth=1
	s_or_b64 exec, exec, s[8:9]
	s_and_saveexec_b64 s[8:9], s[0:1]
	s_cbranch_execnz .LBB24_17
.LBB24_13:                              ;   in Loop: Header=BB24_4 Depth=1
	s_or_b64 exec, exec, s[8:9]
	s_and_saveexec_b64 s[0:1], s[2:3]
	s_cbranch_execnz .LBB24_18
.LBB24_14:                              ;   in Loop: Header=BB24_4 Depth=1
	s_or_b64 exec, exec, s[0:1]
	s_and_saveexec_b64 s[0:1], s[6:7]
	s_cbranch_execz .LBB24_3
	s_branch .LBB24_19
.LBB24_15:                              ;   in Loop: Header=BB24_4 Depth=1
	v_mov_b32_e32 v20, s15
	v_add_co_u32_e64 v24, s[8:9], s14, v7
	v_addc_co_u32_e64 v25, s[8:9], v8, v20, s[8:9]
	global_load_ubyte v20, v[24:25], off
	s_or_b64 exec, exec, s[16:17]
	s_and_saveexec_b64 s[8:9], vcc
	s_cbranch_execz .LBB24_12
.LBB24_16:                              ;   in Loop: Header=BB24_4 Depth=1
	v_mov_b32_e32 v23, s15
	v_add_co_u32_e32 v24, vcc, s14, v1
	s_waitcnt vmcnt(0)
	v_mul_lo_u16_e32 v19, s22, v19
	v_addc_co_u32_e32 v25, vcc, v6, v23, vcc
	global_store_byte v[24:25], v19, off
	s_or_b64 exec, exec, s[8:9]
	s_and_saveexec_b64 s[8:9], s[0:1]
	s_cbranch_execz .LBB24_13
.LBB24_17:                              ;   in Loop: Header=BB24_4 Depth=1
	s_waitcnt vmcnt(0)
	v_mul_lo_u16_e32 v19, s22, v21
	v_mov_b32_e32 v21, s15
	v_add_co_u32_e32 v24, vcc, s14, v15
	v_addc_co_u32_e32 v25, vcc, v16, v21, vcc
	global_store_byte v[24:25], v19, off
	s_or_b64 exec, exec, s[8:9]
	s_and_saveexec_b64 s[0:1], s[2:3]
	s_cbranch_execz .LBB24_14
.LBB24_18:                              ;   in Loop: Header=BB24_4 Depth=1
	s_waitcnt vmcnt(0)
	v_mul_lo_u16_e32 v19, s22, v22
	v_mov_b32_e32 v21, s15
	v_add_co_u32_e32 v22, vcc, s14, v11
	v_addc_co_u32_e32 v23, vcc, v12, v21, vcc
	global_store_byte v[22:23], v19, off
	s_or_b64 exec, exec, s[0:1]
	s_and_saveexec_b64 s[0:1], s[6:7]
	s_cbranch_execz .LBB24_3
.LBB24_19:                              ;   in Loop: Header=BB24_4 Depth=1
	s_waitcnt vmcnt(0)
	v_mul_lo_u16_e32 v19, s22, v20
	v_mov_b32_e32 v21, s15
	v_add_co_u32_e32 v20, vcc, s14, v7
	v_addc_co_u32_e32 v21, vcc, v8, v21, vcc
	global_store_byte v[20:21], v19, off
	s_branch .LBB24_3
.LBB24_20:
	s_cbranch_execz .LBB24_22
	s_branch .LBB24_25
.LBB24_21:
.LBB24_22:
	v_lshlrev_b32_e32 v0, 2, v0
	v_mov_b32_e32 v1, 0
	v_cmp_gt_i64_e32 vcc, s[10:11], v[0:1]
	s_and_saveexec_b64 s[0:1], vcc
	s_cbranch_execz .LBB24_25
; %bb.23:
	s_load_dword s0, s[4:5], 0xd3c
	s_mov_b32 s1, 0
	s_mov_b64 s[2:3], 0
	s_lshr_b32 s6, s19, 16
	v_mov_b32_e32 v2, s20
	s_waitcnt lgkmcnt(0)
	s_and_b32 s0, s0, 0xffff
	s_lshl_b32 s7, s0, 2
	v_mov_b32_e32 v3, s1
	s_mov_b64 s[4:5], 0xffff
	v_mov_b32_e32 v4, 8
.LBB24_24:                              ; =>This Inner Loop Header: Depth=1
	v_add_co_u32_e32 v6, vcc, s18, v0
	v_addc_co_u32_e32 v7, vcc, v2, v1, vcc
	global_load_dword v5, v[6:7], off
	v_add_co_u32_e32 v0, vcc, s7, v0
	v_addc_co_u32_e32 v1, vcc, v3, v1, vcc
	v_cmp_le_i64_e32 vcc, s[10:11], v[0:1]
	v_cmp_lt_u64_e64 s[0:1], s[4:5], v[0:1]
	s_or_b64 s[0:1], vcc, s[0:1]
	s_and_b64 s[0:1], exec, s[0:1]
	s_or_b64 s[2:3], s[0:1], s[2:3]
	s_waitcnt vmcnt(0)
	v_mul_lo_u16_sdwa v10, v5, s6 dst_sel:DWORD dst_unused:UNUSED_PAD src0_sel:WORD_1 src1_sel:DWORD
	v_lshrrev_b32_e32 v9, 8, v5
	v_and_b32_e32 v10, 0xff, v10
	v_mul_lo_u16_e32 v8, s6, v5
	v_mul_lo_u16_sdwa v5, v5, s6 dst_sel:DWORD dst_unused:UNUSED_PAD src0_sel:BYTE_3 src1_sel:DWORD
	v_mul_lo_u16_e32 v9, s6, v9
	v_lshlrev_b32_e32 v10, 16, v10
	v_and_b32_e32 v8, 0xff, v8
	v_lshlrev_b32_sdwa v9, v4, v9 dst_sel:DWORD dst_unused:UNUSED_PAD src0_sel:DWORD src1_sel:BYTE_0
	v_lshl_or_b32 v5, v5, 24, v10
	v_or3_b32 v5, v5, v9, v8
	global_store_dword v[6:7], v5, off
	s_andn2_b64 exec, exec, s[2:3]
	s_cbranch_execnz .LBB24_24
.LBB24_25:
	s_endpgm
	.section	.rodata,"a",@progbits
	.p2align	6, 0x0
	.amdhsa_kernel _ZN2at6native12_GLOBAL__N_125multi_tensor_apply_kernelINS1_18TensorListMetadataILi1EEENS1_21BinaryOpScalarFunctorIhLi1ELi1ELi0EEEJSt10multipliesIhEhEEEvT_T0_DpT1_
		.amdhsa_group_segment_fixed_size 0
		.amdhsa_private_segment_fixed_size 0
		.amdhsa_kernarg_size 3632
		.amdhsa_user_sgpr_count 6
		.amdhsa_user_sgpr_private_segment_buffer 1
		.amdhsa_user_sgpr_dispatch_ptr 0
		.amdhsa_user_sgpr_queue_ptr 0
		.amdhsa_user_sgpr_kernarg_segment_ptr 1
		.amdhsa_user_sgpr_dispatch_id 0
		.amdhsa_user_sgpr_flat_scratch_init 0
		.amdhsa_user_sgpr_kernarg_preload_length 0
		.amdhsa_user_sgpr_kernarg_preload_offset 0
		.amdhsa_user_sgpr_private_segment_size 0
		.amdhsa_uses_dynamic_stack 0
		.amdhsa_system_sgpr_private_segment_wavefront_offset 0
		.amdhsa_system_sgpr_workgroup_id_x 1
		.amdhsa_system_sgpr_workgroup_id_y 0
		.amdhsa_system_sgpr_workgroup_id_z 0
		.amdhsa_system_sgpr_workgroup_info 0
		.amdhsa_system_vgpr_workitem_id 0
		.amdhsa_next_free_vgpr 26
		.amdhsa_next_free_sgpr 23
		.amdhsa_accum_offset 28
		.amdhsa_reserve_vcc 1
		.amdhsa_reserve_flat_scratch 0
		.amdhsa_float_round_mode_32 0
		.amdhsa_float_round_mode_16_64 0
		.amdhsa_float_denorm_mode_32 3
		.amdhsa_float_denorm_mode_16_64 3
		.amdhsa_dx10_clamp 1
		.amdhsa_ieee_mode 1
		.amdhsa_fp16_overflow 0
		.amdhsa_tg_split 0
		.amdhsa_exception_fp_ieee_invalid_op 0
		.amdhsa_exception_fp_denorm_src 0
		.amdhsa_exception_fp_ieee_div_zero 0
		.amdhsa_exception_fp_ieee_overflow 0
		.amdhsa_exception_fp_ieee_underflow 0
		.amdhsa_exception_fp_ieee_inexact 0
		.amdhsa_exception_int_div_zero 0
	.end_amdhsa_kernel
	.section	.text._ZN2at6native12_GLOBAL__N_125multi_tensor_apply_kernelINS1_18TensorListMetadataILi1EEENS1_21BinaryOpScalarFunctorIhLi1ELi1ELi0EEEJSt10multipliesIhEhEEEvT_T0_DpT1_,"axG",@progbits,_ZN2at6native12_GLOBAL__N_125multi_tensor_apply_kernelINS1_18TensorListMetadataILi1EEENS1_21BinaryOpScalarFunctorIhLi1ELi1ELi0EEEJSt10multipliesIhEhEEEvT_T0_DpT1_,comdat
.Lfunc_end24:
	.size	_ZN2at6native12_GLOBAL__N_125multi_tensor_apply_kernelINS1_18TensorListMetadataILi1EEENS1_21BinaryOpScalarFunctorIhLi1ELi1ELi0EEEJSt10multipliesIhEhEEEvT_T0_DpT1_, .Lfunc_end24-_ZN2at6native12_GLOBAL__N_125multi_tensor_apply_kernelINS1_18TensorListMetadataILi1EEENS1_21BinaryOpScalarFunctorIhLi1ELi1ELi0EEEJSt10multipliesIhEhEEEvT_T0_DpT1_
                                        ; -- End function
	.section	.AMDGPU.csdata,"",@progbits
; Kernel info:
; codeLenInByte = 1116
; NumSgprs: 27
; NumVgprs: 26
; NumAgprs: 0
; TotalNumVgprs: 26
; ScratchSize: 0
; MemoryBound: 0
; FloatMode: 240
; IeeeMode: 1
; LDSByteSize: 0 bytes/workgroup (compile time only)
; SGPRBlocks: 3
; VGPRBlocks: 3
; NumSGPRsForWavesPerEU: 27
; NumVGPRsForWavesPerEU: 26
; AccumOffset: 28
; Occupancy: 8
; WaveLimiterHint : 0
; COMPUTE_PGM_RSRC2:SCRATCH_EN: 0
; COMPUTE_PGM_RSRC2:USER_SGPR: 6
; COMPUTE_PGM_RSRC2:TRAP_HANDLER: 0
; COMPUTE_PGM_RSRC2:TGID_X_EN: 1
; COMPUTE_PGM_RSRC2:TGID_Y_EN: 0
; COMPUTE_PGM_RSRC2:TGID_Z_EN: 0
; COMPUTE_PGM_RSRC2:TIDIG_COMP_CNT: 0
; COMPUTE_PGM_RSRC3_GFX90A:ACCUM_OFFSET: 6
; COMPUTE_PGM_RSRC3_GFX90A:TG_SPLIT: 0
	.section	.text._ZN2at6native12_GLOBAL__N_125multi_tensor_apply_kernelINS1_18TensorListMetadataILi1EEENS1_21BinaryOpScalarFunctorIaLi1ELi1ELi0EEEJSt10multipliesIaEaEEEvT_T0_DpT1_,"axG",@progbits,_ZN2at6native12_GLOBAL__N_125multi_tensor_apply_kernelINS1_18TensorListMetadataILi1EEENS1_21BinaryOpScalarFunctorIaLi1ELi1ELi0EEEJSt10multipliesIaEaEEEvT_T0_DpT1_,comdat
	.globl	_ZN2at6native12_GLOBAL__N_125multi_tensor_apply_kernelINS1_18TensorListMetadataILi1EEENS1_21BinaryOpScalarFunctorIaLi1ELi1ELi0EEEJSt10multipliesIaEaEEEvT_T0_DpT1_ ; -- Begin function _ZN2at6native12_GLOBAL__N_125multi_tensor_apply_kernelINS1_18TensorListMetadataILi1EEENS1_21BinaryOpScalarFunctorIaLi1ELi1ELi0EEEJSt10multipliesIaEaEEEvT_T0_DpT1_
	.p2align	8
	.type	_ZN2at6native12_GLOBAL__N_125multi_tensor_apply_kernelINS1_18TensorListMetadataILi1EEENS1_21BinaryOpScalarFunctorIaLi1ELi1ELi0EEEJSt10multipliesIaEaEEEvT_T0_DpT1_,@function
_ZN2at6native12_GLOBAL__N_125multi_tensor_apply_kernelINS1_18TensorListMetadataILi1EEENS1_21BinaryOpScalarFunctorIaLi1ELi1ELi0EEEJSt10multipliesIaEaEEEvT_T0_DpT1_: ; @_ZN2at6native12_GLOBAL__N_125multi_tensor_apply_kernelINS1_18TensorListMetadataILi1EEENS1_21BinaryOpScalarFunctorIaLi1ELi1ELi0EEEJSt10multipliesIaEaEEEvT_T0_DpT1_
; %bb.0:
	v_mov_b32_e32 v1, s6
	global_load_ubyte v1, v1, s[4:5] offset:1760
	s_add_u32 s0, s4, s6
	s_mul_hi_u32 s1, s6, 3
	s_mul_i32 s6, s6, 3
	s_addc_u32 s2, s5, 0
	s_add_u32 s0, s0, s6
	s_addc_u32 s1, s2, s1
	s_load_dword s2, s[0:1], 0x820
	s_waitcnt vmcnt(0)
	v_readfirstlane_b32 s0, v1
	s_lshl_b32 s3, s0, 3
	s_load_dwordx2 s[0:1], s[4:5], s3 offset:0x0
	s_load_dword s19, s[4:5], 0xd28
	s_load_dwordx2 s[6:7], s[4:5], s3 offset:0x370
	s_waitcnt lgkmcnt(0)
	s_ashr_i32 s3, s2, 31
	s_lshl_b64 s[2:3], s[2:3], 16
	s_add_u32 s18, s0, s2
	s_addc_u32 s20, s1, s3
	s_sub_u32 s10, s6, s2
	s_subb_u32 s11, s7, s3
	s_or_b32 s6, s6, s18
	s_and_b32 s6, s6, 3
	s_cmp_eq_u32 s6, 0
	s_cbranch_scc1 .LBB25_21
; %bb.1:
	v_cmp_lt_i64_e64 s[6:7], s[10:11], 1
	s_and_b64 vcc, exec, s[6:7]
	s_cbranch_vccnz .LBB25_20
; %bb.2:
	s_load_dword s6, s[4:5], 0xd3c
	v_mov_b32_e32 v2, 0x10000
	v_mov_b32_e32 v3, 0
	v_cmp_lt_u64_e32 vcc, s[10:11], v[2:3]
	v_mov_b32_e32 v1, s3
	s_waitcnt lgkmcnt(0)
	s_and_b32 s8, s6, 0xffff
	s_and_b64 s[6:7], vcc, exec
	s_cselect_b32 s13, s11, 0
	s_cselect_b32 s12, s10, 0x10000
	s_lshl_b32 s9, s8, 1
	s_mul_i32 s6, s8, 3
	s_lshl_b32 s21, s8, 2
	s_add_u32 s7, s2, s6
	v_add_co_u32_e32 v4, vcc, s2, v0
	s_addc_u32 s14, s3, 0
	v_addc_co_u32_e32 v5, vcc, 0, v1, vcc
	s_add_u32 s7, s0, s7
	v_mov_b32_e32 v6, s1
	v_add_co_u32_e32 v1, vcc, s0, v4
	s_addc_u32 s14, s1, s14
	v_addc_co_u32_e32 v6, vcc, v6, v5, vcc
	s_add_u32 s2, s2, s9
	v_mov_b32_e32 v8, s14
	v_add_co_u32_e32 v7, vcc, s7, v0
	s_addc_u32 s3, s3, 0
	v_addc_co_u32_e32 v8, vcc, 0, v8, vcc
	s_add_u32 s2, s0, s2
	v_add_co_u32_e32 v9, vcc, s6, v0
	s_addc_u32 s3, s1, s3
	v_addc_co_u32_e64 v10, s[6:7], 0, 0, vcc
	v_mov_b32_e32 v12, s3
	v_add_co_u32_e32 v11, vcc, s2, v0
	v_addc_co_u32_e32 v12, vcc, 0, v12, vcc
	s_add_u32 s0, s0, s8
	v_add_co_u32_e32 v13, vcc, s9, v0
	s_addc_u32 s1, s1, 0
	v_addc_co_u32_e64 v14, s[2:3], 0, 0, vcc
	v_mov_b32_e32 v16, s1
	v_add_co_u32_e32 v15, vcc, s0, v4
	v_addc_co_u32_e32 v16, vcc, v16, v5, vcc
	v_add_co_u32_e32 v17, vcc, s8, v0
	v_addc_co_u32_e64 v18, s[0:1], 0, 0, vcc
	s_mov_b64 s[14:15], 0
	s_lshr_b32 s22, s19, 16
	v_pk_mov_b32 v[4:5], s[10:11], s[10:11] op_sel:[0,1]
	s_branch .LBB25_4
.LBB25_3:                               ;   in Loop: Header=BB25_4 Depth=1
	s_or_b64 exec, exec, s[0:1]
	s_add_u32 s14, s14, s21
	s_addc_u32 s15, s15, 0
	v_cmp_lt_i64_e32 vcc, s[14:15], v[4:5]
	v_cmp_lt_u64_e64 s[0:1], s[14:15], v[2:3]
	s_and_b64 s[0:1], vcc, s[0:1]
	s_and_b64 vcc, exec, s[0:1]
	s_cbranch_vccz .LBB25_20
.LBB25_4:                               ; =>This Inner Loop Header: Depth=1
	s_waitcnt vmcnt(0)
	v_mov_b32_e32 v19, s15
	v_add_co_u32_e32 v20, vcc, s14, v0
	v_addc_co_u32_e32 v21, vcc, 0, v19, vcc
	v_cmp_gt_u64_e32 vcc, s[12:13], v[20:21]
	v_mov_b32_e32 v19, 0
	s_and_saveexec_b64 s[2:3], vcc
	s_cbranch_execz .LBB25_6
; %bb.5:                                ;   in Loop: Header=BB25_4 Depth=1
	v_mov_b32_e32 v19, s15
	v_add_co_u32_e64 v20, s[0:1], s14, v1
	v_addc_co_u32_e64 v21, s[0:1], v6, v19, s[0:1]
	global_load_ubyte v19, v[20:21], off
.LBB25_6:                               ;   in Loop: Header=BB25_4 Depth=1
	s_or_b64 exec, exec, s[2:3]
	v_mov_b32_e32 v21, s15
	v_add_co_u32_e64 v20, s[0:1], s14, v17
	v_addc_co_u32_e64 v21, s[0:1], v18, v21, s[0:1]
	v_cmp_gt_u64_e64 s[0:1], s[12:13], v[20:21]
	v_mov_b32_e32 v21, 0
	s_and_saveexec_b64 s[6:7], s[0:1]
	s_cbranch_execz .LBB25_8
; %bb.7:                                ;   in Loop: Header=BB25_4 Depth=1
	v_mov_b32_e32 v21, s15
	v_add_co_u32_e64 v20, s[2:3], s14, v15
	v_addc_co_u32_e64 v21, s[2:3], v16, v21, s[2:3]
	global_load_ubyte v21, v[20:21], off
.LBB25_8:                               ;   in Loop: Header=BB25_4 Depth=1
	s_or_b64 exec, exec, s[6:7]
	v_mov_b32_e32 v20, s15
	v_add_co_u32_e64 v22, s[2:3], s14, v13
	v_addc_co_u32_e64 v23, s[2:3], v14, v20, s[2:3]
	v_cmp_gt_u64_e64 s[2:3], s[12:13], v[22:23]
	v_mov_b32_e32 v20, 0
	v_mov_b32_e32 v22, 0
	s_and_saveexec_b64 s[8:9], s[2:3]
	s_cbranch_execz .LBB25_10
; %bb.9:                                ;   in Loop: Header=BB25_4 Depth=1
	v_mov_b32_e32 v23, s15
	v_add_co_u32_e64 v22, s[6:7], s14, v11
	v_addc_co_u32_e64 v23, s[6:7], v12, v23, s[6:7]
	global_load_ubyte v22, v[22:23], off
.LBB25_10:                              ;   in Loop: Header=BB25_4 Depth=1
	s_or_b64 exec, exec, s[8:9]
	v_mov_b32_e32 v23, s15
	v_add_co_u32_e64 v24, s[6:7], s14, v9
	v_addc_co_u32_e64 v25, s[6:7], v10, v23, s[6:7]
	v_cmp_gt_u64_e64 s[6:7], s[12:13], v[24:25]
	s_and_saveexec_b64 s[16:17], s[6:7]
	s_cbranch_execnz .LBB25_15
; %bb.11:                               ;   in Loop: Header=BB25_4 Depth=1
	s_or_b64 exec, exec, s[16:17]
	s_and_saveexec_b64 s[8:9], vcc
	s_cbranch_execnz .LBB25_16
.LBB25_12:                              ;   in Loop: Header=BB25_4 Depth=1
	s_or_b64 exec, exec, s[8:9]
	s_and_saveexec_b64 s[8:9], s[0:1]
	s_cbranch_execnz .LBB25_17
.LBB25_13:                              ;   in Loop: Header=BB25_4 Depth=1
	s_or_b64 exec, exec, s[8:9]
	s_and_saveexec_b64 s[0:1], s[2:3]
	s_cbranch_execnz .LBB25_18
.LBB25_14:                              ;   in Loop: Header=BB25_4 Depth=1
	s_or_b64 exec, exec, s[0:1]
	s_and_saveexec_b64 s[0:1], s[6:7]
	s_cbranch_execz .LBB25_3
	s_branch .LBB25_19
.LBB25_15:                              ;   in Loop: Header=BB25_4 Depth=1
	v_mov_b32_e32 v20, s15
	v_add_co_u32_e64 v24, s[8:9], s14, v7
	v_addc_co_u32_e64 v25, s[8:9], v8, v20, s[8:9]
	global_load_ubyte v20, v[24:25], off
	s_or_b64 exec, exec, s[16:17]
	s_and_saveexec_b64 s[8:9], vcc
	s_cbranch_execz .LBB25_12
.LBB25_16:                              ;   in Loop: Header=BB25_4 Depth=1
	v_mov_b32_e32 v23, s15
	v_add_co_u32_e32 v24, vcc, s14, v1
	s_waitcnt vmcnt(0)
	v_mul_lo_u16_e32 v19, s22, v19
	v_addc_co_u32_e32 v25, vcc, v6, v23, vcc
	global_store_byte v[24:25], v19, off
	s_or_b64 exec, exec, s[8:9]
	s_and_saveexec_b64 s[8:9], s[0:1]
	s_cbranch_execz .LBB25_13
.LBB25_17:                              ;   in Loop: Header=BB25_4 Depth=1
	s_waitcnt vmcnt(0)
	v_mul_lo_u16_e32 v19, s22, v21
	v_mov_b32_e32 v21, s15
	v_add_co_u32_e32 v24, vcc, s14, v15
	v_addc_co_u32_e32 v25, vcc, v16, v21, vcc
	global_store_byte v[24:25], v19, off
	s_or_b64 exec, exec, s[8:9]
	s_and_saveexec_b64 s[0:1], s[2:3]
	s_cbranch_execz .LBB25_14
.LBB25_18:                              ;   in Loop: Header=BB25_4 Depth=1
	s_waitcnt vmcnt(0)
	v_mul_lo_u16_e32 v19, s22, v22
	v_mov_b32_e32 v21, s15
	v_add_co_u32_e32 v22, vcc, s14, v11
	v_addc_co_u32_e32 v23, vcc, v12, v21, vcc
	global_store_byte v[22:23], v19, off
	s_or_b64 exec, exec, s[0:1]
	s_and_saveexec_b64 s[0:1], s[6:7]
	s_cbranch_execz .LBB25_3
.LBB25_19:                              ;   in Loop: Header=BB25_4 Depth=1
	s_waitcnt vmcnt(0)
	v_mul_lo_u16_e32 v19, s22, v20
	v_mov_b32_e32 v21, s15
	v_add_co_u32_e32 v20, vcc, s14, v7
	v_addc_co_u32_e32 v21, vcc, v8, v21, vcc
	global_store_byte v[20:21], v19, off
	s_branch .LBB25_3
.LBB25_20:
	s_cbranch_execz .LBB25_22
	s_branch .LBB25_25
.LBB25_21:
.LBB25_22:
	v_lshlrev_b32_e32 v0, 2, v0
	v_mov_b32_e32 v1, 0
	v_cmp_gt_i64_e32 vcc, s[10:11], v[0:1]
	s_and_saveexec_b64 s[0:1], vcc
	s_cbranch_execz .LBB25_25
; %bb.23:
	s_load_dword s0, s[4:5], 0xd3c
	s_mov_b32 s1, 0
	s_mov_b64 s[2:3], 0
	s_lshr_b32 s6, s19, 16
	v_mov_b32_e32 v2, s20
	s_waitcnt lgkmcnt(0)
	s_and_b32 s0, s0, 0xffff
	s_lshl_b32 s7, s0, 2
	v_mov_b32_e32 v3, s1
	s_mov_b64 s[4:5], 0xffff
	v_mov_b32_e32 v4, 8
.LBB25_24:                              ; =>This Inner Loop Header: Depth=1
	v_add_co_u32_e32 v6, vcc, s18, v0
	v_addc_co_u32_e32 v7, vcc, v2, v1, vcc
	global_load_dword v5, v[6:7], off
	v_add_co_u32_e32 v0, vcc, s7, v0
	v_addc_co_u32_e32 v1, vcc, v3, v1, vcc
	v_cmp_le_i64_e32 vcc, s[10:11], v[0:1]
	v_cmp_lt_u64_e64 s[0:1], s[4:5], v[0:1]
	s_or_b64 s[0:1], vcc, s[0:1]
	s_and_b64 s[0:1], exec, s[0:1]
	s_or_b64 s[2:3], s[0:1], s[2:3]
	s_waitcnt vmcnt(0)
	v_mul_lo_u16_sdwa v10, v5, s6 dst_sel:DWORD dst_unused:UNUSED_PAD src0_sel:WORD_1 src1_sel:DWORD
	v_lshrrev_b32_e32 v9, 8, v5
	v_and_b32_e32 v10, 0xff, v10
	v_mul_lo_u16_e32 v8, s6, v5
	v_mul_lo_u16_sdwa v5, v5, s6 dst_sel:DWORD dst_unused:UNUSED_PAD src0_sel:BYTE_3 src1_sel:DWORD
	v_mul_lo_u16_e32 v9, s6, v9
	v_lshlrev_b32_e32 v10, 16, v10
	v_and_b32_e32 v8, 0xff, v8
	v_lshlrev_b32_sdwa v9, v4, v9 dst_sel:DWORD dst_unused:UNUSED_PAD src0_sel:DWORD src1_sel:BYTE_0
	v_lshl_or_b32 v5, v5, 24, v10
	v_or3_b32 v5, v5, v9, v8
	global_store_dword v[6:7], v5, off
	s_andn2_b64 exec, exec, s[2:3]
	s_cbranch_execnz .LBB25_24
.LBB25_25:
	s_endpgm
	.section	.rodata,"a",@progbits
	.p2align	6, 0x0
	.amdhsa_kernel _ZN2at6native12_GLOBAL__N_125multi_tensor_apply_kernelINS1_18TensorListMetadataILi1EEENS1_21BinaryOpScalarFunctorIaLi1ELi1ELi0EEEJSt10multipliesIaEaEEEvT_T0_DpT1_
		.amdhsa_group_segment_fixed_size 0
		.amdhsa_private_segment_fixed_size 0
		.amdhsa_kernarg_size 3632
		.amdhsa_user_sgpr_count 6
		.amdhsa_user_sgpr_private_segment_buffer 1
		.amdhsa_user_sgpr_dispatch_ptr 0
		.amdhsa_user_sgpr_queue_ptr 0
		.amdhsa_user_sgpr_kernarg_segment_ptr 1
		.amdhsa_user_sgpr_dispatch_id 0
		.amdhsa_user_sgpr_flat_scratch_init 0
		.amdhsa_user_sgpr_kernarg_preload_length 0
		.amdhsa_user_sgpr_kernarg_preload_offset 0
		.amdhsa_user_sgpr_private_segment_size 0
		.amdhsa_uses_dynamic_stack 0
		.amdhsa_system_sgpr_private_segment_wavefront_offset 0
		.amdhsa_system_sgpr_workgroup_id_x 1
		.amdhsa_system_sgpr_workgroup_id_y 0
		.amdhsa_system_sgpr_workgroup_id_z 0
		.amdhsa_system_sgpr_workgroup_info 0
		.amdhsa_system_vgpr_workitem_id 0
		.amdhsa_next_free_vgpr 26
		.amdhsa_next_free_sgpr 23
		.amdhsa_accum_offset 28
		.amdhsa_reserve_vcc 1
		.amdhsa_reserve_flat_scratch 0
		.amdhsa_float_round_mode_32 0
		.amdhsa_float_round_mode_16_64 0
		.amdhsa_float_denorm_mode_32 3
		.amdhsa_float_denorm_mode_16_64 3
		.amdhsa_dx10_clamp 1
		.amdhsa_ieee_mode 1
		.amdhsa_fp16_overflow 0
		.amdhsa_tg_split 0
		.amdhsa_exception_fp_ieee_invalid_op 0
		.amdhsa_exception_fp_denorm_src 0
		.amdhsa_exception_fp_ieee_div_zero 0
		.amdhsa_exception_fp_ieee_overflow 0
		.amdhsa_exception_fp_ieee_underflow 0
		.amdhsa_exception_fp_ieee_inexact 0
		.amdhsa_exception_int_div_zero 0
	.end_amdhsa_kernel
	.section	.text._ZN2at6native12_GLOBAL__N_125multi_tensor_apply_kernelINS1_18TensorListMetadataILi1EEENS1_21BinaryOpScalarFunctorIaLi1ELi1ELi0EEEJSt10multipliesIaEaEEEvT_T0_DpT1_,"axG",@progbits,_ZN2at6native12_GLOBAL__N_125multi_tensor_apply_kernelINS1_18TensorListMetadataILi1EEENS1_21BinaryOpScalarFunctorIaLi1ELi1ELi0EEEJSt10multipliesIaEaEEEvT_T0_DpT1_,comdat
.Lfunc_end25:
	.size	_ZN2at6native12_GLOBAL__N_125multi_tensor_apply_kernelINS1_18TensorListMetadataILi1EEENS1_21BinaryOpScalarFunctorIaLi1ELi1ELi0EEEJSt10multipliesIaEaEEEvT_T0_DpT1_, .Lfunc_end25-_ZN2at6native12_GLOBAL__N_125multi_tensor_apply_kernelINS1_18TensorListMetadataILi1EEENS1_21BinaryOpScalarFunctorIaLi1ELi1ELi0EEEJSt10multipliesIaEaEEEvT_T0_DpT1_
                                        ; -- End function
	.section	.AMDGPU.csdata,"",@progbits
; Kernel info:
; codeLenInByte = 1116
; NumSgprs: 27
; NumVgprs: 26
; NumAgprs: 0
; TotalNumVgprs: 26
; ScratchSize: 0
; MemoryBound: 0
; FloatMode: 240
; IeeeMode: 1
; LDSByteSize: 0 bytes/workgroup (compile time only)
; SGPRBlocks: 3
; VGPRBlocks: 3
; NumSGPRsForWavesPerEU: 27
; NumVGPRsForWavesPerEU: 26
; AccumOffset: 28
; Occupancy: 8
; WaveLimiterHint : 0
; COMPUTE_PGM_RSRC2:SCRATCH_EN: 0
; COMPUTE_PGM_RSRC2:USER_SGPR: 6
; COMPUTE_PGM_RSRC2:TRAP_HANDLER: 0
; COMPUTE_PGM_RSRC2:TGID_X_EN: 1
; COMPUTE_PGM_RSRC2:TGID_Y_EN: 0
; COMPUTE_PGM_RSRC2:TGID_Z_EN: 0
; COMPUTE_PGM_RSRC2:TIDIG_COMP_CNT: 0
; COMPUTE_PGM_RSRC3_GFX90A:ACCUM_OFFSET: 6
; COMPUTE_PGM_RSRC3_GFX90A:TG_SPLIT: 0
	.section	.text._ZN2at6native12_GLOBAL__N_125multi_tensor_apply_kernelINS1_18TensorListMetadataILi1EEENS1_21BinaryOpScalarFunctorIiLi1ELi1ELi0EEEJSt10multipliesIiEiEEEvT_T0_DpT1_,"axG",@progbits,_ZN2at6native12_GLOBAL__N_125multi_tensor_apply_kernelINS1_18TensorListMetadataILi1EEENS1_21BinaryOpScalarFunctorIiLi1ELi1ELi0EEEJSt10multipliesIiEiEEEvT_T0_DpT1_,comdat
	.globl	_ZN2at6native12_GLOBAL__N_125multi_tensor_apply_kernelINS1_18TensorListMetadataILi1EEENS1_21BinaryOpScalarFunctorIiLi1ELi1ELi0EEEJSt10multipliesIiEiEEEvT_T0_DpT1_ ; -- Begin function _ZN2at6native12_GLOBAL__N_125multi_tensor_apply_kernelINS1_18TensorListMetadataILi1EEENS1_21BinaryOpScalarFunctorIiLi1ELi1ELi0EEEJSt10multipliesIiEiEEEvT_T0_DpT1_
	.p2align	8
	.type	_ZN2at6native12_GLOBAL__N_125multi_tensor_apply_kernelINS1_18TensorListMetadataILi1EEENS1_21BinaryOpScalarFunctorIiLi1ELi1ELi0EEEJSt10multipliesIiEiEEEvT_T0_DpT1_,@function
_ZN2at6native12_GLOBAL__N_125multi_tensor_apply_kernelINS1_18TensorListMetadataILi1EEENS1_21BinaryOpScalarFunctorIiLi1ELi1ELi0EEEJSt10multipliesIiEiEEEvT_T0_DpT1_: ; @_ZN2at6native12_GLOBAL__N_125multi_tensor_apply_kernelINS1_18TensorListMetadataILi1EEENS1_21BinaryOpScalarFunctorIiLi1ELi1ELi0EEEJSt10multipliesIiEiEEEvT_T0_DpT1_
; %bb.0:
	v_mov_b32_e32 v1, s6
	global_load_ubyte v1, v1, s[4:5] offset:1760
	s_add_u32 s0, s4, s6
	s_mul_hi_u32 s1, s6, 3
	s_mul_i32 s6, s6, 3
	s_addc_u32 s2, s5, 0
	s_add_u32 s0, s0, s6
	s_addc_u32 s1, s2, s1
	s_load_dword s0, s[0:1], 0x820
	s_mov_b32 s7, 0
	s_waitcnt vmcnt(0)
	v_readfirstlane_b32 s1, v1
	s_lshl_b32 s1, s1, 3
	s_load_dword s22, s[4:5], 0xd2c
	s_load_dwordx2 s[2:3], s[4:5], s1 offset:0x370
	s_load_dwordx2 s[12:13], s[4:5], s1 offset:0x0
	s_waitcnt lgkmcnt(0)
	s_ashr_i32 s1, s0, 31
	s_lshl_b64 s[14:15], s[0:1], 18
	s_lshl_b64 s[0:1], s[0:1], 16
	s_and_b32 s6, s12, 15
	s_sub_u32 s10, s2, s0
	s_subb_u32 s11, s3, s1
	s_and_b32 s0, s2, 3
	s_mov_b32 s1, s7
	s_or_b64 s[0:1], s[6:7], s[0:1]
	s_cmp_eq_u64 s[0:1], 0
	s_cbranch_scc1 .LBB26_21
; %bb.1:
	v_cmp_lt_i64_e64 s[0:1], s[10:11], 1
	s_and_b64 vcc, exec, s[0:1]
	s_cbranch_vccnz .LBB26_20
; %bb.2:
	s_load_dword s0, s[4:5], 0xd3c
	v_mov_b32_e32 v2, 0x10000
	v_mov_b32_e32 v3, 0
	v_cmp_lt_u64_e32 vcc, s[10:11], v[2:3]
	v_lshlrev_b32_e32 v1, 2, v0
	s_waitcnt lgkmcnt(0)
	s_and_b32 s3, s0, 0xffff
	s_and_b64 s[0:1], vcc, exec
	s_cselect_b32 s17, s11, 0
	s_cselect_b32 s16, s10, 0x10000
	s_lshl_b32 s6, s3, 1
	s_lshl_b32 s23, s3, 2
	s_add_u32 s7, s12, s14
	s_addc_u32 s8, s13, s15
	v_mov_b32_e32 v5, s8
	v_add_co_u32_e32 v4, vcc, s7, v1
	s_mul_i32 s0, s3, 3
	v_addc_co_u32_e32 v5, vcc, 0, v5, vcc
	v_add_co_u32_e32 v1, vcc, s0, v0
	v_addc_co_u32_e64 v10, s[0:1], 0, 0, vcc
	v_add_co_u32_e32 v11, vcc, s6, v0
	v_addc_co_u32_e64 v12, s[0:1], 0, 0, vcc
	v_add_co_u32_e32 v13, vcc, s3, v0
	v_lshlrev_b32_e32 v6, 2, v13
	s_mov_b32 s2, 0
	v_addc_co_u32_e64 v14, s[0:1], 0, 0, vcc
	v_mov_b32_e32 v7, s8
	v_add_co_u32_e32 v6, vcc, s7, v6
	s_lshl_b32 s24, s3, 4
	s_mul_i32 s25, s3, 12
	s_mov_b32 s26, s2
	s_lshl_b32 s27, s3, 3
	s_mov_b32 s28, s2
	v_addc_co_u32_e32 v7, vcc, 0, v7, vcc
	s_mov_b64 s[18:19], 0
	v_pk_mov_b32 v[8:9], s[10:11], s[10:11] op_sel:[0,1]
	v_mov_b32_e32 v15, s2
	s_branch .LBB26_4
.LBB26_3:                               ;   in Loop: Header=BB26_4 Depth=1
	s_or_b64 exec, exec, s[0:1]
	s_add_u32 s18, s18, s23
	s_addc_u32 s19, s19, 0
	v_cmp_lt_i64_e32 vcc, s[18:19], v[8:9]
	v_cmp_lt_u64_e64 s[0:1], s[18:19], v[2:3]
	s_and_b64 s[0:1], vcc, s[0:1]
	v_add_co_u32_e32 v4, vcc, s24, v4
	v_addc_co_u32_e32 v5, vcc, v5, v15, vcc
	v_add_co_u32_e32 v6, vcc, s24, v6
	v_addc_co_u32_e32 v7, vcc, v7, v15, vcc
	s_and_b64 vcc, exec, s[0:1]
	s_cbranch_vccz .LBB26_20
.LBB26_4:                               ; =>This Inner Loop Header: Depth=1
	s_waitcnt vmcnt(0)
	v_mov_b32_e32 v17, s19
	v_add_co_u32_e32 v16, vcc, s18, v0
	v_addc_co_u32_e32 v17, vcc, 0, v17, vcc
	v_cmp_gt_u64_e32 vcc, s[16:17], v[16:17]
	v_mov_b32_e32 v16, 0
	s_and_saveexec_b64 s[0:1], vcc
	s_cbranch_execz .LBB26_6
; %bb.5:                                ;   in Loop: Header=BB26_4 Depth=1
	global_load_dword v16, v[4:5], off
.LBB26_6:                               ;   in Loop: Header=BB26_4 Depth=1
	s_or_b64 exec, exec, s[0:1]
	v_mov_b32_e32 v17, s19
	v_add_co_u32_e64 v18, s[0:1], s18, v13
	v_addc_co_u32_e64 v19, s[0:1], v14, v17, s[0:1]
	v_cmp_gt_u64_e64 s[0:1], s[16:17], v[18:19]
	v_mov_b32_e32 v18, 0
	s_and_saveexec_b64 s[2:3], s[0:1]
	s_cbranch_execz .LBB26_8
; %bb.7:                                ;   in Loop: Header=BB26_4 Depth=1
	global_load_dword v18, v[6:7], off
.LBB26_8:                               ;   in Loop: Header=BB26_4 Depth=1
	s_or_b64 exec, exec, s[2:3]
	v_mov_b32_e32 v17, s19
	v_add_co_u32_e64 v20, s[2:3], s18, v11
	v_addc_co_u32_e64 v21, s[2:3], v12, v17, s[2:3]
	v_cmp_gt_u64_e64 s[2:3], s[16:17], v[20:21]
	v_mov_b32_e32 v17, 0
	v_mov_b32_e32 v19, 0
	s_and_saveexec_b64 s[8:9], s[2:3]
	s_cbranch_execz .LBB26_10
; %bb.9:                                ;   in Loop: Header=BB26_4 Depth=1
	v_mov_b32_e32 v19, s28
	v_add_co_u32_e64 v20, s[6:7], s27, v4
	v_addc_co_u32_e64 v21, s[6:7], v5, v19, s[6:7]
	global_load_dword v19, v[20:21], off
.LBB26_10:                              ;   in Loop: Header=BB26_4 Depth=1
	s_or_b64 exec, exec, s[8:9]
	v_mov_b32_e32 v21, s19
	v_add_co_u32_e64 v20, s[6:7], s18, v1
	v_addc_co_u32_e64 v21, s[6:7], v10, v21, s[6:7]
	v_cmp_gt_u64_e64 s[6:7], s[16:17], v[20:21]
	s_and_saveexec_b64 s[20:21], s[6:7]
	s_cbranch_execnz .LBB26_15
; %bb.11:                               ;   in Loop: Header=BB26_4 Depth=1
	s_or_b64 exec, exec, s[20:21]
	s_and_saveexec_b64 s[8:9], vcc
	s_cbranch_execnz .LBB26_16
.LBB26_12:                              ;   in Loop: Header=BB26_4 Depth=1
	s_or_b64 exec, exec, s[8:9]
	s_and_saveexec_b64 s[8:9], s[0:1]
	s_cbranch_execnz .LBB26_17
.LBB26_13:                              ;   in Loop: Header=BB26_4 Depth=1
	s_or_b64 exec, exec, s[8:9]
	s_and_saveexec_b64 s[0:1], s[2:3]
	s_cbranch_execnz .LBB26_18
.LBB26_14:                              ;   in Loop: Header=BB26_4 Depth=1
	s_or_b64 exec, exec, s[0:1]
	s_and_saveexec_b64 s[0:1], s[6:7]
	s_cbranch_execz .LBB26_3
	s_branch .LBB26_19
.LBB26_15:                              ;   in Loop: Header=BB26_4 Depth=1
	v_mov_b32_e32 v17, s26
	v_add_co_u32_e64 v20, s[8:9], s25, v4
	v_addc_co_u32_e64 v21, s[8:9], v5, v17, s[8:9]
	global_load_dword v17, v[20:21], off
	s_or_b64 exec, exec, s[20:21]
	s_and_saveexec_b64 s[8:9], vcc
	s_cbranch_execz .LBB26_12
.LBB26_16:                              ;   in Loop: Header=BB26_4 Depth=1
	s_waitcnt vmcnt(0)
	v_mul_lo_u32 v16, v16, s22
	global_store_dword v[4:5], v16, off
	s_or_b64 exec, exec, s[8:9]
	s_and_saveexec_b64 s[8:9], s[0:1]
	s_cbranch_execz .LBB26_13
.LBB26_17:                              ;   in Loop: Header=BB26_4 Depth=1
	s_waitcnt vmcnt(0)
	v_mul_lo_u32 v16, v18, s22
	global_store_dword v[6:7], v16, off
	s_or_b64 exec, exec, s[8:9]
	s_and_saveexec_b64 s[0:1], s[2:3]
	s_cbranch_execz .LBB26_14
.LBB26_18:                              ;   in Loop: Header=BB26_4 Depth=1
	s_waitcnt vmcnt(0)
	v_mul_lo_u32 v16, v19, s22
	v_mov_b32_e32 v19, s28
	v_add_co_u32_e32 v18, vcc, s27, v4
	v_addc_co_u32_e32 v19, vcc, v5, v19, vcc
	global_store_dword v[18:19], v16, off
	s_or_b64 exec, exec, s[0:1]
	s_and_saveexec_b64 s[0:1], s[6:7]
	s_cbranch_execz .LBB26_3
.LBB26_19:                              ;   in Loop: Header=BB26_4 Depth=1
	s_waitcnt vmcnt(0)
	v_mul_lo_u32 v18, v17, s22
	v_mov_b32_e32 v17, s26
	v_add_co_u32_e32 v16, vcc, s25, v4
	v_addc_co_u32_e32 v17, vcc, v5, v17, vcc
	global_store_dword v[16:17], v18, off
	s_branch .LBB26_3
.LBB26_20:
	s_cbranch_execz .LBB26_22
	s_branch .LBB26_25
.LBB26_21:
.LBB26_22:
	v_mov_b32_e32 v3, 0
	v_lshlrev_b32_e32 v2, 2, v0
	s_mov_b32 s0, 0
	v_cmp_gt_i64_e32 vcc, s[10:11], v[2:3]
	s_and_saveexec_b64 s[2:3], vcc
	s_cbranch_execz .LBB26_25
; %bb.23:
	s_load_dword s1, s[4:5], 0xd3c
	v_lshlrev_b32_e32 v1, 4, v0
	s_mov_b32 s6, s22
	s_mov_b64 s[4:5], 0xffff
	s_waitcnt lgkmcnt(0)
	s_and_b32 s1, s1, 0xffff
	s_add_u32 s2, s12, s14
	s_addc_u32 s3, s13, s15
	v_mov_b32_e32 v2, s3
	v_add_co_u32_e32 v1, vcc, s2, v1
	v_addc_co_u32_e32 v2, vcc, 0, v2, vcc
	v_add_co_u32_e32 v4, vcc, 8, v1
	v_addc_co_u32_e32 v5, vcc, 0, v2, vcc
	s_lshl_b32 s7, s1, 4
	v_add_lshl_u32 v2, v0, s1, 2
	s_lshl_b32 s8, s1, 2
	s_mov_b64 s[2:3], 0
	v_mov_b32_e32 v0, s0
	v_mov_b32_e32 v1, s0
.LBB26_24:                              ; =>This Inner Loop Header: Depth=1
	global_load_dwordx4 v[6:9], v[4:5], off offset:-8
	v_cmp_le_i64_e32 vcc, s[10:11], v[2:3]
	v_cmp_lt_u64_e64 s[0:1], s[4:5], v[2:3]
	s_or_b64 s[0:1], vcc, s[0:1]
	s_and_b64 s[0:1], exec, s[0:1]
	s_or_b64 s[2:3], s[0:1], s[2:3]
	s_waitcnt vmcnt(0)
	v_mul_lo_u32 v7, v7, s6
	v_mul_lo_u32 v6, v6, s22
	;; [unrolled: 1-line block ×4, first 2 shown]
	global_store_dwordx4 v[4:5], v[6:9], off offset:-8
	v_add_co_u32_e32 v4, vcc, s7, v4
	v_addc_co_u32_e32 v5, vcc, v5, v0, vcc
	v_add_co_u32_e32 v2, vcc, s8, v2
	v_addc_co_u32_e32 v3, vcc, v3, v1, vcc
	s_andn2_b64 exec, exec, s[2:3]
	s_cbranch_execnz .LBB26_24
.LBB26_25:
	s_endpgm
	.section	.rodata,"a",@progbits
	.p2align	6, 0x0
	.amdhsa_kernel _ZN2at6native12_GLOBAL__N_125multi_tensor_apply_kernelINS1_18TensorListMetadataILi1EEENS1_21BinaryOpScalarFunctorIiLi1ELi1ELi0EEEJSt10multipliesIiEiEEEvT_T0_DpT1_
		.amdhsa_group_segment_fixed_size 0
		.amdhsa_private_segment_fixed_size 0
		.amdhsa_kernarg_size 3632
		.amdhsa_user_sgpr_count 6
		.amdhsa_user_sgpr_private_segment_buffer 1
		.amdhsa_user_sgpr_dispatch_ptr 0
		.amdhsa_user_sgpr_queue_ptr 0
		.amdhsa_user_sgpr_kernarg_segment_ptr 1
		.amdhsa_user_sgpr_dispatch_id 0
		.amdhsa_user_sgpr_flat_scratch_init 0
		.amdhsa_user_sgpr_kernarg_preload_length 0
		.amdhsa_user_sgpr_kernarg_preload_offset 0
		.amdhsa_user_sgpr_private_segment_size 0
		.amdhsa_uses_dynamic_stack 0
		.amdhsa_system_sgpr_private_segment_wavefront_offset 0
		.amdhsa_system_sgpr_workgroup_id_x 1
		.amdhsa_system_sgpr_workgroup_id_y 0
		.amdhsa_system_sgpr_workgroup_id_z 0
		.amdhsa_system_sgpr_workgroup_info 0
		.amdhsa_system_vgpr_workitem_id 0
		.amdhsa_next_free_vgpr 22
		.amdhsa_next_free_sgpr 29
		.amdhsa_accum_offset 24
		.amdhsa_reserve_vcc 1
		.amdhsa_reserve_flat_scratch 0
		.amdhsa_float_round_mode_32 0
		.amdhsa_float_round_mode_16_64 0
		.amdhsa_float_denorm_mode_32 3
		.amdhsa_float_denorm_mode_16_64 3
		.amdhsa_dx10_clamp 1
		.amdhsa_ieee_mode 1
		.amdhsa_fp16_overflow 0
		.amdhsa_tg_split 0
		.amdhsa_exception_fp_ieee_invalid_op 0
		.amdhsa_exception_fp_denorm_src 0
		.amdhsa_exception_fp_ieee_div_zero 0
		.amdhsa_exception_fp_ieee_overflow 0
		.amdhsa_exception_fp_ieee_underflow 0
		.amdhsa_exception_fp_ieee_inexact 0
		.amdhsa_exception_int_div_zero 0
	.end_amdhsa_kernel
	.section	.text._ZN2at6native12_GLOBAL__N_125multi_tensor_apply_kernelINS1_18TensorListMetadataILi1EEENS1_21BinaryOpScalarFunctorIiLi1ELi1ELi0EEEJSt10multipliesIiEiEEEvT_T0_DpT1_,"axG",@progbits,_ZN2at6native12_GLOBAL__N_125multi_tensor_apply_kernelINS1_18TensorListMetadataILi1EEENS1_21BinaryOpScalarFunctorIiLi1ELi1ELi0EEEJSt10multipliesIiEiEEEvT_T0_DpT1_,comdat
.Lfunc_end26:
	.size	_ZN2at6native12_GLOBAL__N_125multi_tensor_apply_kernelINS1_18TensorListMetadataILi1EEENS1_21BinaryOpScalarFunctorIiLi1ELi1ELi0EEEJSt10multipliesIiEiEEEvT_T0_DpT1_, .Lfunc_end26-_ZN2at6native12_GLOBAL__N_125multi_tensor_apply_kernelINS1_18TensorListMetadataILi1EEENS1_21BinaryOpScalarFunctorIiLi1ELi1ELi0EEEJSt10multipliesIiEiEEEvT_T0_DpT1_
                                        ; -- End function
	.section	.AMDGPU.csdata,"",@progbits
; Kernel info:
; codeLenInByte = 1056
; NumSgprs: 33
; NumVgprs: 22
; NumAgprs: 0
; TotalNumVgprs: 22
; ScratchSize: 0
; MemoryBound: 0
; FloatMode: 240
; IeeeMode: 1
; LDSByteSize: 0 bytes/workgroup (compile time only)
; SGPRBlocks: 4
; VGPRBlocks: 2
; NumSGPRsForWavesPerEU: 33
; NumVGPRsForWavesPerEU: 22
; AccumOffset: 24
; Occupancy: 8
; WaveLimiterHint : 0
; COMPUTE_PGM_RSRC2:SCRATCH_EN: 0
; COMPUTE_PGM_RSRC2:USER_SGPR: 6
; COMPUTE_PGM_RSRC2:TRAP_HANDLER: 0
; COMPUTE_PGM_RSRC2:TGID_X_EN: 1
; COMPUTE_PGM_RSRC2:TGID_Y_EN: 0
; COMPUTE_PGM_RSRC2:TGID_Z_EN: 0
; COMPUTE_PGM_RSRC2:TIDIG_COMP_CNT: 0
; COMPUTE_PGM_RSRC3_GFX90A:ACCUM_OFFSET: 5
; COMPUTE_PGM_RSRC3_GFX90A:TG_SPLIT: 0
	.section	.text._ZN2at6native12_GLOBAL__N_125multi_tensor_apply_kernelINS1_18TensorListMetadataILi1EEENS1_21BinaryOpScalarFunctorIlLi1ELi1ELi0EEEJSt10multipliesIlElEEEvT_T0_DpT1_,"axG",@progbits,_ZN2at6native12_GLOBAL__N_125multi_tensor_apply_kernelINS1_18TensorListMetadataILi1EEENS1_21BinaryOpScalarFunctorIlLi1ELi1ELi0EEEJSt10multipliesIlElEEEvT_T0_DpT1_,comdat
	.globl	_ZN2at6native12_GLOBAL__N_125multi_tensor_apply_kernelINS1_18TensorListMetadataILi1EEENS1_21BinaryOpScalarFunctorIlLi1ELi1ELi0EEEJSt10multipliesIlElEEEvT_T0_DpT1_ ; -- Begin function _ZN2at6native12_GLOBAL__N_125multi_tensor_apply_kernelINS1_18TensorListMetadataILi1EEENS1_21BinaryOpScalarFunctorIlLi1ELi1ELi0EEEJSt10multipliesIlElEEEvT_T0_DpT1_
	.p2align	8
	.type	_ZN2at6native12_GLOBAL__N_125multi_tensor_apply_kernelINS1_18TensorListMetadataILi1EEENS1_21BinaryOpScalarFunctorIlLi1ELi1ELi0EEEJSt10multipliesIlElEEEvT_T0_DpT1_,@function
_ZN2at6native12_GLOBAL__N_125multi_tensor_apply_kernelINS1_18TensorListMetadataILi1EEENS1_21BinaryOpScalarFunctorIlLi1ELi1ELi0EEEJSt10multipliesIlElEEEvT_T0_DpT1_: ; @_ZN2at6native12_GLOBAL__N_125multi_tensor_apply_kernelINS1_18TensorListMetadataILi1EEENS1_21BinaryOpScalarFunctorIlLi1ELi1ELi0EEEJSt10multipliesIlElEEEvT_T0_DpT1_
; %bb.0:
	v_mov_b32_e32 v1, s6
	global_load_ubyte v1, v1, s[4:5] offset:1760
	s_add_u32 s0, s4, s6
	s_mul_hi_u32 s1, s6, 3
	s_mul_i32 s6, s6, 3
	s_addc_u32 s2, s5, 0
	s_add_u32 s0, s0, s6
	s_addc_u32 s1, s2, s1
	s_load_dword s0, s[0:1], 0x820
	s_mov_b32 s7, 0
	s_waitcnt vmcnt(0)
	v_readfirstlane_b32 s1, v1
	s_lshl_b32 s1, s1, 3
	s_load_dwordx2 s[10:11], s[4:5], 0xd30
	s_load_dwordx2 s[2:3], s[4:5], s1 offset:0x370
	s_load_dwordx2 s[14:15], s[4:5], s1 offset:0x0
	s_waitcnt lgkmcnt(0)
	s_ashr_i32 s1, s0, 31
	s_lshl_b64 s[16:17], s[0:1], 19
	s_lshl_b64 s[0:1], s[0:1], 16
	s_and_b32 s6, s14, 31
	s_sub_u32 s12, s2, s0
	s_subb_u32 s13, s3, s1
	s_and_b32 s0, s2, 3
	s_mov_b32 s1, s7
	s_or_b64 s[0:1], s[6:7], s[0:1]
	s_cmp_eq_u64 s[0:1], 0
	s_cbranch_scc1 .LBB27_21
; %bb.1:
	v_cmp_lt_i64_e64 s[0:1], s[12:13], 1
	s_and_b64 vcc, exec, s[0:1]
	s_cbranch_vccnz .LBB27_20
; %bb.2:
	s_load_dword s0, s[4:5], 0xd44
	v_mov_b32_e32 v2, 0x10000
	v_mov_b32_e32 v3, 0
	v_cmp_lt_u64_e32 vcc, s[12:13], v[2:3]
	v_lshlrev_b32_e32 v1, 3, v0
	s_waitcnt lgkmcnt(0)
	s_and_b32 s3, s0, 0xffff
	s_and_b64 s[0:1], vcc, exec
	s_cselect_b32 s19, s13, 0
	s_cselect_b32 s18, s12, 0x10000
	s_lshl_b32 s6, s3, 1
	s_lshl_b32 s24, s3, 2
	s_add_u32 s7, s14, s16
	s_addc_u32 s8, s15, s17
	v_mov_b32_e32 v3, s8
	v_add_co_u32_e32 v2, vcc, s7, v1
	s_mul_i32 s0, s3, 3
	v_addc_co_u32_e32 v3, vcc, 0, v3, vcc
	v_add_co_u32_e32 v1, vcc, s0, v0
	v_addc_co_u32_e64 v16, s[0:1], 0, 0, vcc
	v_add_co_u32_e32 v17, vcc, s6, v0
	v_addc_co_u32_e64 v18, s[0:1], 0, 0, vcc
	v_add_co_u32_e32 v19, vcc, s3, v0
	v_lshlrev_b32_e32 v4, 3, v19
	s_mov_b32 s2, 0
	v_addc_co_u32_e64 v20, s[0:1], 0, 0, vcc
	v_mov_b32_e32 v5, s8
	v_add_co_u32_e32 v4, vcc, s7, v4
	s_lshl_b32 s25, s3, 5
	s_mul_i32 s26, s3, 24
	s_mov_b32 s27, s2
	s_lshl_b32 s28, s3, 4
	s_mov_b32 s29, s2
	v_addc_co_u32_e32 v5, vcc, 0, v5, vcc
	s_mov_b64 s[20:21], 0
	v_pk_mov_b32 v[6:7], s[12:13], s[12:13] op_sel:[0,1]
	v_mov_b32_e32 v21, s2
	s_branch .LBB27_4
.LBB27_3:                               ;   in Loop: Header=BB27_4 Depth=1
	s_or_b64 exec, exec, s[0:1]
	s_add_u32 s20, s20, s24
	s_waitcnt vmcnt(0)
	v_mov_b32_e32 v8, 0x10000
	s_addc_u32 s21, s21, 0
	v_mov_b32_e32 v9, 0
	v_cmp_lt_i64_e32 vcc, s[20:21], v[6:7]
	v_cmp_lt_u64_e64 s[0:1], s[20:21], v[8:9]
	s_and_b64 s[0:1], vcc, s[0:1]
	v_add_co_u32_e32 v2, vcc, s25, v2
	v_addc_co_u32_e32 v3, vcc, v3, v21, vcc
	v_add_co_u32_e32 v4, vcc, s25, v4
	v_addc_co_u32_e32 v5, vcc, v5, v21, vcc
	s_and_b64 vcc, exec, s[0:1]
	s_cbranch_vccz .LBB27_20
.LBB27_4:                               ; =>This Inner Loop Header: Depth=1
	v_mov_b32_e32 v9, s21
	v_add_co_u32_e32 v8, vcc, s20, v0
	v_addc_co_u32_e32 v9, vcc, 0, v9, vcc
	v_cmp_gt_u64_e32 vcc, s[18:19], v[8:9]
	v_pk_mov_b32 v[8:9], 0, 0
	v_pk_mov_b32 v[12:13], v[8:9], v[8:9] op_sel:[0,1]
	s_and_saveexec_b64 s[0:1], vcc
	s_cbranch_execz .LBB27_6
; %bb.5:                                ;   in Loop: Header=BB27_4 Depth=1
	global_load_dwordx2 v[12:13], v[2:3], off
.LBB27_6:                               ;   in Loop: Header=BB27_4 Depth=1
	s_or_b64 exec, exec, s[0:1]
	v_mov_b32_e32 v11, s21
	v_add_co_u32_e64 v10, s[0:1], s20, v19
	v_addc_co_u32_e64 v11, s[0:1], v20, v11, s[0:1]
	v_cmp_gt_u64_e64 s[0:1], s[18:19], v[10:11]
	s_and_saveexec_b64 s[2:3], s[0:1]
	s_cbranch_execz .LBB27_8
; %bb.7:                                ;   in Loop: Header=BB27_4 Depth=1
	global_load_dwordx2 v[8:9], v[4:5], off
.LBB27_8:                               ;   in Loop: Header=BB27_4 Depth=1
	s_or_b64 exec, exec, s[2:3]
	v_mov_b32_e32 v11, s21
	v_add_co_u32_e64 v10, s[2:3], s20, v17
	v_addc_co_u32_e64 v11, s[2:3], v18, v11, s[2:3]
	v_cmp_gt_u64_e64 s[2:3], s[18:19], v[10:11]
	v_pk_mov_b32 v[10:11], 0, 0
	v_pk_mov_b32 v[14:15], v[10:11], v[10:11] op_sel:[0,1]
	s_and_saveexec_b64 s[8:9], s[2:3]
	s_cbranch_execz .LBB27_10
; %bb.9:                                ;   in Loop: Header=BB27_4 Depth=1
	v_mov_b32_e32 v15, s29
	v_add_co_u32_e64 v14, s[6:7], s28, v2
	v_addc_co_u32_e64 v15, s[6:7], v3, v15, s[6:7]
	global_load_dwordx2 v[14:15], v[14:15], off
.LBB27_10:                              ;   in Loop: Header=BB27_4 Depth=1
	s_or_b64 exec, exec, s[8:9]
	v_mov_b32_e32 v23, s21
	v_add_co_u32_e64 v22, s[6:7], s20, v1
	v_addc_co_u32_e64 v23, s[6:7], v16, v23, s[6:7]
	v_cmp_gt_u64_e64 s[6:7], s[18:19], v[22:23]
	s_and_saveexec_b64 s[22:23], s[6:7]
	s_cbranch_execnz .LBB27_15
; %bb.11:                               ;   in Loop: Header=BB27_4 Depth=1
	s_or_b64 exec, exec, s[22:23]
	s_and_saveexec_b64 s[8:9], vcc
	s_cbranch_execnz .LBB27_16
.LBB27_12:                              ;   in Loop: Header=BB27_4 Depth=1
	s_or_b64 exec, exec, s[8:9]
	s_and_saveexec_b64 s[8:9], s[0:1]
	s_cbranch_execnz .LBB27_17
.LBB27_13:                              ;   in Loop: Header=BB27_4 Depth=1
	s_or_b64 exec, exec, s[8:9]
	s_and_saveexec_b64 s[0:1], s[2:3]
	s_cbranch_execnz .LBB27_18
.LBB27_14:                              ;   in Loop: Header=BB27_4 Depth=1
	s_or_b64 exec, exec, s[0:1]
	s_and_saveexec_b64 s[0:1], s[6:7]
	s_cbranch_execz .LBB27_3
	s_branch .LBB27_19
.LBB27_15:                              ;   in Loop: Header=BB27_4 Depth=1
	v_mov_b32_e32 v11, s27
	v_add_co_u32_e64 v10, s[8:9], s26, v2
	v_addc_co_u32_e64 v11, s[8:9], v3, v11, s[8:9]
	global_load_dwordx2 v[10:11], v[10:11], off
	s_or_b64 exec, exec, s[22:23]
	s_and_saveexec_b64 s[8:9], vcc
	s_cbranch_execz .LBB27_12
.LBB27_16:                              ;   in Loop: Header=BB27_4 Depth=1
	s_waitcnt vmcnt(0)
	v_mul_lo_u32 v22, v13, s10
	v_mul_lo_u32 v23, v12, s11
	v_mad_u64_u32 v[12:13], s[22:23], v12, s10, 0
	v_add3_u32 v13, v13, v23, v22
	global_store_dwordx2 v[2:3], v[12:13], off
	s_or_b64 exec, exec, s[8:9]
	s_and_saveexec_b64 s[8:9], s[0:1]
	s_cbranch_execz .LBB27_13
.LBB27_17:                              ;   in Loop: Header=BB27_4 Depth=1
	s_waitcnt vmcnt(0)
	v_mul_lo_u32 v12, v9, s10
	v_mul_lo_u32 v13, v8, s11
	v_mad_u64_u32 v[8:9], s[0:1], v8, s10, 0
	v_add3_u32 v9, v9, v13, v12
	global_store_dwordx2 v[4:5], v[8:9], off
	s_or_b64 exec, exec, s[8:9]
	s_and_saveexec_b64 s[0:1], s[2:3]
	s_cbranch_execz .LBB27_14
.LBB27_18:                              ;   in Loop: Header=BB27_4 Depth=1
	s_waitcnt vmcnt(0)
	v_mul_lo_u32 v12, v15, s10
	v_mul_lo_u32 v13, v14, s11
	v_mad_u64_u32 v[8:9], s[2:3], v14, s10, 0
	v_add3_u32 v9, v9, v13, v12
	v_mov_b32_e32 v13, s29
	v_add_co_u32_e32 v12, vcc, s28, v2
	v_addc_co_u32_e32 v13, vcc, v3, v13, vcc
	global_store_dwordx2 v[12:13], v[8:9], off
	s_or_b64 exec, exec, s[0:1]
	s_and_saveexec_b64 s[0:1], s[6:7]
	s_cbranch_execz .LBB27_3
.LBB27_19:                              ;   in Loop: Header=BB27_4 Depth=1
	s_waitcnt vmcnt(0)
	v_mul_lo_u32 v11, v11, s10
	v_mul_lo_u32 v12, v10, s11
	v_mad_u64_u32 v[8:9], s[2:3], v10, s10, 0
	v_add3_u32 v9, v9, v12, v11
	v_mov_b32_e32 v11, s27
	v_add_co_u32_e32 v10, vcc, s26, v2
	v_addc_co_u32_e32 v11, vcc, v3, v11, vcc
	global_store_dwordx2 v[10:11], v[8:9], off
	s_branch .LBB27_3
.LBB27_20:
	s_cbranch_execz .LBB27_22
	s_branch .LBB27_25
.LBB27_21:
.LBB27_22:
	v_mov_b32_e32 v3, 0
	v_lshlrev_b32_e32 v2, 2, v0
	s_mov_b32 s0, 0
	v_cmp_gt_i64_e32 vcc, s[12:13], v[2:3]
	s_and_saveexec_b64 s[2:3], vcc
	s_cbranch_execz .LBB27_25
; %bb.23:
	s_load_dword s1, s[4:5], 0xd44
	v_lshlrev_b32_e32 v1, 5, v0
	s_mov_b64 s[4:5], 0
	s_mov_b64 s[6:7], 0xffff
	v_mov_b32_e32 v5, s0
	s_waitcnt lgkmcnt(0)
	s_and_b32 s1, s1, 0xffff
	s_lshl_b32 s8, s1, 2
	s_add_u32 s2, s14, s16
	s_addc_u32 s3, s15, s17
	v_add_lshl_u32 v2, v0, s1, 2
	v_mov_b32_e32 v0, s3
	v_add_co_u32_e32 v1, vcc, s2, v1
	v_addc_co_u32_e32 v4, vcc, 0, v0, vcc
	v_add_co_u32_e32 v0, vcc, 16, v1
	v_addc_co_u32_e32 v1, vcc, 0, v4, vcc
	s_lshl_b32 s9, s1, 5
	v_mov_b32_e32 v4, s0
.LBB27_24:                              ; =>This Inner Loop Header: Depth=1
	global_load_dwordx4 v[6:9], v[0:1], off offset:-16
	global_load_dwordx4 v[10:13], v[0:1], off
	v_cmp_le_i64_e32 vcc, s[12:13], v[2:3]
	v_cmp_lt_u64_e64 s[0:1], s[6:7], v[2:3]
	s_or_b64 s[0:1], vcc, s[0:1]
	s_and_b64 s[0:1], exec, s[0:1]
	s_or_b64 s[4:5], s[0:1], s[4:5]
	v_add_co_u32_e64 v2, s[2:3], s8, v2
	v_addc_co_u32_e64 v3, s[2:3], v3, v4, s[2:3]
	s_waitcnt vmcnt(1)
	v_mul_lo_u32 v14, v7, s10
	v_mul_lo_u32 v15, v6, s11
	v_mad_u64_u32 v[6:7], s[0:1], v6, s10, 0
	v_mul_lo_u32 v16, v9, s10
	v_mul_lo_u32 v17, v8, s11
	v_mad_u64_u32 v[8:9], s[0:1], v8, s10, 0
	s_waitcnt vmcnt(0)
	v_mul_lo_u32 v18, v11, s10
	v_mul_lo_u32 v19, v10, s11
	v_mad_u64_u32 v[10:11], s[0:1], v10, s10, 0
	v_mul_lo_u32 v20, v13, s10
	v_mul_lo_u32 v21, v12, s11
	v_mad_u64_u32 v[12:13], s[0:1], v12, s10, 0
	v_add3_u32 v7, v7, v15, v14
	v_add3_u32 v9, v9, v17, v16
	;; [unrolled: 1-line block ×4, first 2 shown]
	global_store_dwordx4 v[0:1], v[6:9], off offset:-16
	global_store_dwordx4 v[0:1], v[10:13], off
	v_add_co_u32_e32 v0, vcc, s9, v0
	v_addc_co_u32_e32 v1, vcc, v1, v5, vcc
	s_andn2_b64 exec, exec, s[4:5]
	s_cbranch_execnz .LBB27_24
.LBB27_25:
	s_endpgm
	.section	.rodata,"a",@progbits
	.p2align	6, 0x0
	.amdhsa_kernel _ZN2at6native12_GLOBAL__N_125multi_tensor_apply_kernelINS1_18TensorListMetadataILi1EEENS1_21BinaryOpScalarFunctorIlLi1ELi1ELi0EEEJSt10multipliesIlElEEEvT_T0_DpT1_
		.amdhsa_group_segment_fixed_size 0
		.amdhsa_private_segment_fixed_size 0
		.amdhsa_kernarg_size 3640
		.amdhsa_user_sgpr_count 6
		.amdhsa_user_sgpr_private_segment_buffer 1
		.amdhsa_user_sgpr_dispatch_ptr 0
		.amdhsa_user_sgpr_queue_ptr 0
		.amdhsa_user_sgpr_kernarg_segment_ptr 1
		.amdhsa_user_sgpr_dispatch_id 0
		.amdhsa_user_sgpr_flat_scratch_init 0
		.amdhsa_user_sgpr_kernarg_preload_length 0
		.amdhsa_user_sgpr_kernarg_preload_offset 0
		.amdhsa_user_sgpr_private_segment_size 0
		.amdhsa_uses_dynamic_stack 0
		.amdhsa_system_sgpr_private_segment_wavefront_offset 0
		.amdhsa_system_sgpr_workgroup_id_x 1
		.amdhsa_system_sgpr_workgroup_id_y 0
		.amdhsa_system_sgpr_workgroup_id_z 0
		.amdhsa_system_sgpr_workgroup_info 0
		.amdhsa_system_vgpr_workitem_id 0
		.amdhsa_next_free_vgpr 24
		.amdhsa_next_free_sgpr 30
		.amdhsa_accum_offset 24
		.amdhsa_reserve_vcc 1
		.amdhsa_reserve_flat_scratch 0
		.amdhsa_float_round_mode_32 0
		.amdhsa_float_round_mode_16_64 0
		.amdhsa_float_denorm_mode_32 3
		.amdhsa_float_denorm_mode_16_64 3
		.amdhsa_dx10_clamp 1
		.amdhsa_ieee_mode 1
		.amdhsa_fp16_overflow 0
		.amdhsa_tg_split 0
		.amdhsa_exception_fp_ieee_invalid_op 0
		.amdhsa_exception_fp_denorm_src 0
		.amdhsa_exception_fp_ieee_div_zero 0
		.amdhsa_exception_fp_ieee_overflow 0
		.amdhsa_exception_fp_ieee_underflow 0
		.amdhsa_exception_fp_ieee_inexact 0
		.amdhsa_exception_int_div_zero 0
	.end_amdhsa_kernel
	.section	.text._ZN2at6native12_GLOBAL__N_125multi_tensor_apply_kernelINS1_18TensorListMetadataILi1EEENS1_21BinaryOpScalarFunctorIlLi1ELi1ELi0EEEJSt10multipliesIlElEEEvT_T0_DpT1_,"axG",@progbits,_ZN2at6native12_GLOBAL__N_125multi_tensor_apply_kernelINS1_18TensorListMetadataILi1EEENS1_21BinaryOpScalarFunctorIlLi1ELi1ELi0EEEJSt10multipliesIlElEEEvT_T0_DpT1_,comdat
.Lfunc_end27:
	.size	_ZN2at6native12_GLOBAL__N_125multi_tensor_apply_kernelINS1_18TensorListMetadataILi1EEENS1_21BinaryOpScalarFunctorIlLi1ELi1ELi0EEEJSt10multipliesIlElEEEvT_T0_DpT1_, .Lfunc_end27-_ZN2at6native12_GLOBAL__N_125multi_tensor_apply_kernelINS1_18TensorListMetadataILi1EEENS1_21BinaryOpScalarFunctorIlLi1ELi1ELi0EEEJSt10multipliesIlElEEEvT_T0_DpT1_
                                        ; -- End function
	.section	.AMDGPU.csdata,"",@progbits
; Kernel info:
; codeLenInByte = 1300
; NumSgprs: 34
; NumVgprs: 24
; NumAgprs: 0
; TotalNumVgprs: 24
; ScratchSize: 0
; MemoryBound: 0
; FloatMode: 240
; IeeeMode: 1
; LDSByteSize: 0 bytes/workgroup (compile time only)
; SGPRBlocks: 4
; VGPRBlocks: 2
; NumSGPRsForWavesPerEU: 34
; NumVGPRsForWavesPerEU: 24
; AccumOffset: 24
; Occupancy: 8
; WaveLimiterHint : 0
; COMPUTE_PGM_RSRC2:SCRATCH_EN: 0
; COMPUTE_PGM_RSRC2:USER_SGPR: 6
; COMPUTE_PGM_RSRC2:TRAP_HANDLER: 0
; COMPUTE_PGM_RSRC2:TGID_X_EN: 1
; COMPUTE_PGM_RSRC2:TGID_Y_EN: 0
; COMPUTE_PGM_RSRC2:TGID_Z_EN: 0
; COMPUTE_PGM_RSRC2:TIDIG_COMP_CNT: 0
; COMPUTE_PGM_RSRC3_GFX90A:ACCUM_OFFSET: 5
; COMPUTE_PGM_RSRC3_GFX90A:TG_SPLIT: 0
	.section	.text._ZN2at6native12_GLOBAL__N_125multi_tensor_apply_kernelINS1_18TensorListMetadataILi1EEENS1_21BinaryOpScalarFunctorIsLi1ELi1ELi0EEEJSt10multipliesIsEsEEEvT_T0_DpT1_,"axG",@progbits,_ZN2at6native12_GLOBAL__N_125multi_tensor_apply_kernelINS1_18TensorListMetadataILi1EEENS1_21BinaryOpScalarFunctorIsLi1ELi1ELi0EEEJSt10multipliesIsEsEEEvT_T0_DpT1_,comdat
	.globl	_ZN2at6native12_GLOBAL__N_125multi_tensor_apply_kernelINS1_18TensorListMetadataILi1EEENS1_21BinaryOpScalarFunctorIsLi1ELi1ELi0EEEJSt10multipliesIsEsEEEvT_T0_DpT1_ ; -- Begin function _ZN2at6native12_GLOBAL__N_125multi_tensor_apply_kernelINS1_18TensorListMetadataILi1EEENS1_21BinaryOpScalarFunctorIsLi1ELi1ELi0EEEJSt10multipliesIsEsEEEvT_T0_DpT1_
	.p2align	8
	.type	_ZN2at6native12_GLOBAL__N_125multi_tensor_apply_kernelINS1_18TensorListMetadataILi1EEENS1_21BinaryOpScalarFunctorIsLi1ELi1ELi0EEEJSt10multipliesIsEsEEEvT_T0_DpT1_,@function
_ZN2at6native12_GLOBAL__N_125multi_tensor_apply_kernelINS1_18TensorListMetadataILi1EEENS1_21BinaryOpScalarFunctorIsLi1ELi1ELi0EEEJSt10multipliesIsEsEEEvT_T0_DpT1_: ; @_ZN2at6native12_GLOBAL__N_125multi_tensor_apply_kernelINS1_18TensorListMetadataILi1EEENS1_21BinaryOpScalarFunctorIsLi1ELi1ELi0EEEJSt10multipliesIsEsEEEvT_T0_DpT1_
; %bb.0:
	v_mov_b32_e32 v1, s6
	global_load_ubyte v1, v1, s[4:5] offset:1760
	s_load_dword s0, s[4:5], 0xd28
	s_mul_i32 s2, s6, 3
	s_mul_hi_u32 s1, s6, 3
	s_mov_b32 s7, 0
	s_waitcnt lgkmcnt(0)
	s_lshr_b32 s22, s0, 16
	s_add_u32 s0, s4, s6
	s_addc_u32 s3, s5, 0
	s_add_u32 s0, s0, s2
	s_addc_u32 s1, s3, s1
	s_load_dword s0, s[0:1], 0x820
	s_waitcnt vmcnt(0)
	v_readfirstlane_b32 s2, v1
	s_lshl_b32 s1, s2, 3
	s_load_dwordx2 s[2:3], s[4:5], s1 offset:0x370
	s_load_dwordx2 s[12:13], s[4:5], s1 offset:0x0
	s_waitcnt lgkmcnt(0)
	s_ashr_i32 s1, s0, 31
	s_lshl_b64 s[14:15], s[0:1], 17
	s_lshl_b64 s[0:1], s[0:1], 16
	s_and_b32 s6, s12, 7
	s_sub_u32 s10, s2, s0
	s_subb_u32 s11, s3, s1
	s_and_b32 s0, s2, 3
	s_mov_b32 s1, s7
	s_or_b64 s[0:1], s[6:7], s[0:1]
	s_cmp_eq_u64 s[0:1], 0
	s_cbranch_scc1 .LBB28_21
; %bb.1:
	v_cmp_lt_i64_e64 s[0:1], s[10:11], 1
	s_and_b64 vcc, exec, s[0:1]
	s_cbranch_vccnz .LBB28_20
; %bb.2:
	s_load_dword s0, s[4:5], 0xd3c
	v_mov_b32_e32 v2, 0x10000
	v_mov_b32_e32 v3, 0
	v_cmp_lt_u64_e32 vcc, s[10:11], v[2:3]
	v_lshlrev_b32_e32 v1, 1, v0
	s_waitcnt lgkmcnt(0)
	s_and_b32 s2, s0, 0xffff
	s_and_b64 s[0:1], vcc, exec
	s_cselect_b32 s17, s11, 0
	s_cselect_b32 s16, s10, 0x10000
	s_lshl_b32 s3, s2, 1
	s_lshl_b32 s24, s2, 2
	s_add_u32 s6, s12, s14
	s_addc_u32 s7, s13, s15
	v_mov_b32_e32 v5, s7
	v_add_co_u32_e32 v4, vcc, s6, v1
	s_mul_i32 s0, s2, 3
	v_addc_co_u32_e32 v5, vcc, 0, v5, vcc
	v_add_co_u32_e32 v1, vcc, s0, v0
	v_addc_co_u32_e64 v10, s[0:1], 0, 0, vcc
	v_add_co_u32_e32 v11, vcc, s3, v0
	v_addc_co_u32_e64 v12, s[0:1], 0, 0, vcc
	v_add_co_u32_e32 v13, vcc, s2, v0
	v_lshlrev_b32_e32 v6, 1, v13
	s_mov_b32 s23, 0
	v_addc_co_u32_e64 v14, s[0:1], 0, 0, vcc
	v_mov_b32_e32 v7, s7
	v_add_co_u32_e32 v6, vcc, s6, v6
	s_lshl_b32 s25, s2, 3
	s_mul_i32 s26, s2, 6
	s_mov_b32 s27, s23
	v_addc_co_u32_e32 v7, vcc, 0, v7, vcc
	s_mov_b64 s[18:19], 0
	v_pk_mov_b32 v[8:9], s[10:11], s[10:11] op_sel:[0,1]
	v_mov_b32_e32 v15, s23
	s_branch .LBB28_4
.LBB28_3:                               ;   in Loop: Header=BB28_4 Depth=1
	s_or_b64 exec, exec, s[0:1]
	s_add_u32 s18, s18, s24
	s_addc_u32 s19, s19, 0
	v_cmp_lt_i64_e32 vcc, s[18:19], v[8:9]
	v_cmp_lt_u64_e64 s[0:1], s[18:19], v[2:3]
	s_and_b64 s[0:1], vcc, s[0:1]
	v_add_co_u32_e32 v4, vcc, s25, v4
	v_addc_co_u32_e32 v5, vcc, v5, v15, vcc
	v_add_co_u32_e32 v6, vcc, s25, v6
	v_addc_co_u32_e32 v7, vcc, v7, v15, vcc
	s_and_b64 vcc, exec, s[0:1]
	s_cbranch_vccz .LBB28_20
.LBB28_4:                               ; =>This Inner Loop Header: Depth=1
	s_waitcnt vmcnt(0)
	v_mov_b32_e32 v17, s19
	v_add_co_u32_e32 v16, vcc, s18, v0
	v_addc_co_u32_e32 v17, vcc, 0, v17, vcc
	v_cmp_gt_u64_e32 vcc, s[16:17], v[16:17]
	v_mov_b32_e32 v16, 0
	s_and_saveexec_b64 s[0:1], vcc
	s_cbranch_execz .LBB28_6
; %bb.5:                                ;   in Loop: Header=BB28_4 Depth=1
	global_load_ushort v16, v[4:5], off
.LBB28_6:                               ;   in Loop: Header=BB28_4 Depth=1
	s_or_b64 exec, exec, s[0:1]
	v_mov_b32_e32 v17, s19
	v_add_co_u32_e64 v18, s[0:1], s18, v13
	v_addc_co_u32_e64 v19, s[0:1], v14, v17, s[0:1]
	v_cmp_gt_u64_e64 s[0:1], s[16:17], v[18:19]
	v_mov_b32_e32 v18, 0
	s_and_saveexec_b64 s[2:3], s[0:1]
	s_cbranch_execz .LBB28_8
; %bb.7:                                ;   in Loop: Header=BB28_4 Depth=1
	global_load_ushort v18, v[6:7], off
.LBB28_8:                               ;   in Loop: Header=BB28_4 Depth=1
	s_or_b64 exec, exec, s[2:3]
	v_mov_b32_e32 v17, s19
	v_add_co_u32_e64 v20, s[2:3], s18, v11
	v_addc_co_u32_e64 v21, s[2:3], v12, v17, s[2:3]
	v_cmp_gt_u64_e64 s[2:3], s[16:17], v[20:21]
	v_mov_b32_e32 v17, 0
	v_mov_b32_e32 v19, 0
	s_and_saveexec_b64 s[8:9], s[2:3]
	s_cbranch_execz .LBB28_10
; %bb.9:                                ;   in Loop: Header=BB28_4 Depth=1
	v_mov_b32_e32 v19, s23
	v_add_co_u32_e64 v20, s[6:7], s24, v4
	v_addc_co_u32_e64 v21, s[6:7], v5, v19, s[6:7]
	global_load_ushort v19, v[20:21], off
.LBB28_10:                              ;   in Loop: Header=BB28_4 Depth=1
	s_or_b64 exec, exec, s[8:9]
	v_mov_b32_e32 v21, s19
	v_add_co_u32_e64 v20, s[6:7], s18, v1
	v_addc_co_u32_e64 v21, s[6:7], v10, v21, s[6:7]
	v_cmp_gt_u64_e64 s[6:7], s[16:17], v[20:21]
	s_and_saveexec_b64 s[20:21], s[6:7]
	s_cbranch_execnz .LBB28_15
; %bb.11:                               ;   in Loop: Header=BB28_4 Depth=1
	s_or_b64 exec, exec, s[20:21]
	s_and_saveexec_b64 s[8:9], vcc
	s_cbranch_execnz .LBB28_16
.LBB28_12:                              ;   in Loop: Header=BB28_4 Depth=1
	s_or_b64 exec, exec, s[8:9]
	s_and_saveexec_b64 s[8:9], s[0:1]
	s_cbranch_execnz .LBB28_17
.LBB28_13:                              ;   in Loop: Header=BB28_4 Depth=1
	s_or_b64 exec, exec, s[8:9]
	s_and_saveexec_b64 s[0:1], s[2:3]
	s_cbranch_execnz .LBB28_18
.LBB28_14:                              ;   in Loop: Header=BB28_4 Depth=1
	s_or_b64 exec, exec, s[0:1]
	s_and_saveexec_b64 s[0:1], s[6:7]
	s_cbranch_execz .LBB28_3
	s_branch .LBB28_19
.LBB28_15:                              ;   in Loop: Header=BB28_4 Depth=1
	v_mov_b32_e32 v17, s27
	v_add_co_u32_e64 v20, s[8:9], s26, v4
	v_addc_co_u32_e64 v21, s[8:9], v5, v17, s[8:9]
	global_load_ushort v17, v[20:21], off
	s_or_b64 exec, exec, s[20:21]
	s_and_saveexec_b64 s[8:9], vcc
	s_cbranch_execz .LBB28_12
.LBB28_16:                              ;   in Loop: Header=BB28_4 Depth=1
	s_waitcnt vmcnt(0)
	v_mul_lo_u16_e32 v16, s22, v16
	global_store_short v[4:5], v16, off
	s_or_b64 exec, exec, s[8:9]
	s_and_saveexec_b64 s[8:9], s[0:1]
	s_cbranch_execz .LBB28_13
.LBB28_17:                              ;   in Loop: Header=BB28_4 Depth=1
	s_waitcnt vmcnt(0)
	v_mul_lo_u16_e32 v16, s22, v18
	global_store_short v[6:7], v16, off
	s_or_b64 exec, exec, s[8:9]
	s_and_saveexec_b64 s[0:1], s[2:3]
	s_cbranch_execz .LBB28_14
.LBB28_18:                              ;   in Loop: Header=BB28_4 Depth=1
	s_waitcnt vmcnt(0)
	v_mul_lo_u16_e32 v16, s22, v19
	v_mov_b32_e32 v19, s23
	v_add_co_u32_e32 v18, vcc, s24, v4
	v_addc_co_u32_e32 v19, vcc, v5, v19, vcc
	global_store_short v[18:19], v16, off
	s_or_b64 exec, exec, s[0:1]
	s_and_saveexec_b64 s[0:1], s[6:7]
	s_cbranch_execz .LBB28_3
.LBB28_19:                              ;   in Loop: Header=BB28_4 Depth=1
	s_waitcnt vmcnt(0)
	v_mul_lo_u16_e32 v18, s22, v17
	v_mov_b32_e32 v17, s27
	v_add_co_u32_e32 v16, vcc, s26, v4
	v_addc_co_u32_e32 v17, vcc, v5, v17, vcc
	global_store_short v[16:17], v18, off
	s_branch .LBB28_3
.LBB28_20:
	s_cbranch_execz .LBB28_22
	s_branch .LBB28_25
.LBB28_21:
.LBB28_22:
	v_mov_b32_e32 v3, 0
	v_lshlrev_b32_e32 v2, 2, v0
	s_mov_b32 s0, 0
	v_cmp_gt_i64_e32 vcc, s[10:11], v[2:3]
	s_and_saveexec_b64 s[2:3], vcc
	s_cbranch_execz .LBB28_25
; %bb.23:
	s_load_dword s1, s[4:5], 0xd3c
	v_lshlrev_b32_e32 v1, 3, v0
	s_mov_b64 s[4:5], 0xffff
	s_waitcnt lgkmcnt(0)
	s_and_b32 s1, s1, 0xffff
	s_add_u32 s2, s12, s14
	s_addc_u32 s3, s13, s15
	v_mov_b32_e32 v2, s3
	v_add_co_u32_e32 v4, vcc, s2, v1
	v_addc_co_u32_e32 v5, vcc, 0, v2, vcc
	s_lshl_b32 s6, s1, 3
	v_add_lshl_u32 v2, v0, s1, 2
	s_lshl_b32 s7, s1, 2
	s_mov_b64 s[2:3], 0
	v_mov_b32_e32 v0, s0
	v_mov_b32_e32 v1, s0
.LBB28_24:                              ; =>This Inner Loop Header: Depth=1
	global_load_dwordx2 v[6:7], v[4:5], off
	v_cmp_le_i64_e32 vcc, s[10:11], v[2:3]
	v_cmp_lt_u64_e64 s[0:1], s[4:5], v[2:3]
	s_or_b64 s[0:1], vcc, s[0:1]
	s_and_b64 s[0:1], exec, s[0:1]
	s_or_b64 s[2:3], s[0:1], s[2:3]
	s_waitcnt vmcnt(0)
	v_mul_lo_u16_sdwa v8, v6, s22 dst_sel:WORD_1 dst_unused:UNUSED_PAD src0_sel:WORD_1 src1_sel:DWORD
	v_mul_lo_u16_sdwa v9, v7, s22 dst_sel:WORD_1 dst_unused:UNUSED_PAD src0_sel:WORD_1 src1_sel:DWORD
	v_mul_lo_u16_e32 v7, s22, v7
	v_mul_lo_u16_e32 v6, s22, v6
	v_or_b32_e32 v7, v9, v7
	v_or_b32_e32 v6, v8, v6
	global_store_dwordx2 v[4:5], v[6:7], off
	v_add_co_u32_e32 v4, vcc, s6, v4
	v_addc_co_u32_e32 v5, vcc, v5, v0, vcc
	v_add_co_u32_e32 v2, vcc, s7, v2
	v_addc_co_u32_e32 v3, vcc, v3, v1, vcc
	s_andn2_b64 exec, exec, s[2:3]
	s_cbranch_execnz .LBB28_24
.LBB28_25:
	s_endpgm
	.section	.rodata,"a",@progbits
	.p2align	6, 0x0
	.amdhsa_kernel _ZN2at6native12_GLOBAL__N_125multi_tensor_apply_kernelINS1_18TensorListMetadataILi1EEENS1_21BinaryOpScalarFunctorIsLi1ELi1ELi0EEEJSt10multipliesIsEsEEEvT_T0_DpT1_
		.amdhsa_group_segment_fixed_size 0
		.amdhsa_private_segment_fixed_size 0
		.amdhsa_kernarg_size 3632
		.amdhsa_user_sgpr_count 6
		.amdhsa_user_sgpr_private_segment_buffer 1
		.amdhsa_user_sgpr_dispatch_ptr 0
		.amdhsa_user_sgpr_queue_ptr 0
		.amdhsa_user_sgpr_kernarg_segment_ptr 1
		.amdhsa_user_sgpr_dispatch_id 0
		.amdhsa_user_sgpr_flat_scratch_init 0
		.amdhsa_user_sgpr_kernarg_preload_length 0
		.amdhsa_user_sgpr_kernarg_preload_offset 0
		.amdhsa_user_sgpr_private_segment_size 0
		.amdhsa_uses_dynamic_stack 0
		.amdhsa_system_sgpr_private_segment_wavefront_offset 0
		.amdhsa_system_sgpr_workgroup_id_x 1
		.amdhsa_system_sgpr_workgroup_id_y 0
		.amdhsa_system_sgpr_workgroup_id_z 0
		.amdhsa_system_sgpr_workgroup_info 0
		.amdhsa_system_vgpr_workitem_id 0
		.amdhsa_next_free_vgpr 22
		.amdhsa_next_free_sgpr 28
		.amdhsa_accum_offset 24
		.amdhsa_reserve_vcc 1
		.amdhsa_reserve_flat_scratch 0
		.amdhsa_float_round_mode_32 0
		.amdhsa_float_round_mode_16_64 0
		.amdhsa_float_denorm_mode_32 3
		.amdhsa_float_denorm_mode_16_64 3
		.amdhsa_dx10_clamp 1
		.amdhsa_ieee_mode 1
		.amdhsa_fp16_overflow 0
		.amdhsa_tg_split 0
		.amdhsa_exception_fp_ieee_invalid_op 0
		.amdhsa_exception_fp_denorm_src 0
		.amdhsa_exception_fp_ieee_div_zero 0
		.amdhsa_exception_fp_ieee_overflow 0
		.amdhsa_exception_fp_ieee_underflow 0
		.amdhsa_exception_fp_ieee_inexact 0
		.amdhsa_exception_int_div_zero 0
	.end_amdhsa_kernel
	.section	.text._ZN2at6native12_GLOBAL__N_125multi_tensor_apply_kernelINS1_18TensorListMetadataILi1EEENS1_21BinaryOpScalarFunctorIsLi1ELi1ELi0EEEJSt10multipliesIsEsEEEvT_T0_DpT1_,"axG",@progbits,_ZN2at6native12_GLOBAL__N_125multi_tensor_apply_kernelINS1_18TensorListMetadataILi1EEENS1_21BinaryOpScalarFunctorIsLi1ELi1ELi0EEEJSt10multipliesIsEsEEEvT_T0_DpT1_,comdat
.Lfunc_end28:
	.size	_ZN2at6native12_GLOBAL__N_125multi_tensor_apply_kernelINS1_18TensorListMetadataILi1EEENS1_21BinaryOpScalarFunctorIsLi1ELi1ELi0EEEJSt10multipliesIsEsEEEvT_T0_DpT1_, .Lfunc_end28-_ZN2at6native12_GLOBAL__N_125multi_tensor_apply_kernelINS1_18TensorListMetadataILi1EEENS1_21BinaryOpScalarFunctorIsLi1ELi1ELi0EEEJSt10multipliesIsEsEEEvT_T0_DpT1_
                                        ; -- End function
	.section	.AMDGPU.csdata,"",@progbits
; Kernel info:
; codeLenInByte = 1028
; NumSgprs: 32
; NumVgprs: 22
; NumAgprs: 0
; TotalNumVgprs: 22
; ScratchSize: 0
; MemoryBound: 0
; FloatMode: 240
; IeeeMode: 1
; LDSByteSize: 0 bytes/workgroup (compile time only)
; SGPRBlocks: 3
; VGPRBlocks: 2
; NumSGPRsForWavesPerEU: 32
; NumVGPRsForWavesPerEU: 22
; AccumOffset: 24
; Occupancy: 8
; WaveLimiterHint : 0
; COMPUTE_PGM_RSRC2:SCRATCH_EN: 0
; COMPUTE_PGM_RSRC2:USER_SGPR: 6
; COMPUTE_PGM_RSRC2:TRAP_HANDLER: 0
; COMPUTE_PGM_RSRC2:TGID_X_EN: 1
; COMPUTE_PGM_RSRC2:TGID_Y_EN: 0
; COMPUTE_PGM_RSRC2:TGID_Z_EN: 0
; COMPUTE_PGM_RSRC2:TIDIG_COMP_CNT: 0
; COMPUTE_PGM_RSRC3_GFX90A:ACCUM_OFFSET: 5
; COMPUTE_PGM_RSRC3_GFX90A:TG_SPLIT: 0
	.section	.text._ZN2at6native12_GLOBAL__N_125multi_tensor_apply_kernelINS1_18TensorListMetadataILi1EEENS1_21BinaryOpScalarFunctorIdLi1ELi1ELi0EEEJSt10multipliesIdEdEEEvT_T0_DpT1_,"axG",@progbits,_ZN2at6native12_GLOBAL__N_125multi_tensor_apply_kernelINS1_18TensorListMetadataILi1EEENS1_21BinaryOpScalarFunctorIdLi1ELi1ELi0EEEJSt10multipliesIdEdEEEvT_T0_DpT1_,comdat
	.globl	_ZN2at6native12_GLOBAL__N_125multi_tensor_apply_kernelINS1_18TensorListMetadataILi1EEENS1_21BinaryOpScalarFunctorIdLi1ELi1ELi0EEEJSt10multipliesIdEdEEEvT_T0_DpT1_ ; -- Begin function _ZN2at6native12_GLOBAL__N_125multi_tensor_apply_kernelINS1_18TensorListMetadataILi1EEENS1_21BinaryOpScalarFunctorIdLi1ELi1ELi0EEEJSt10multipliesIdEdEEEvT_T0_DpT1_
	.p2align	8
	.type	_ZN2at6native12_GLOBAL__N_125multi_tensor_apply_kernelINS1_18TensorListMetadataILi1EEENS1_21BinaryOpScalarFunctorIdLi1ELi1ELi0EEEJSt10multipliesIdEdEEEvT_T0_DpT1_,@function
_ZN2at6native12_GLOBAL__N_125multi_tensor_apply_kernelINS1_18TensorListMetadataILi1EEENS1_21BinaryOpScalarFunctorIdLi1ELi1ELi0EEEJSt10multipliesIdEdEEEvT_T0_DpT1_: ; @_ZN2at6native12_GLOBAL__N_125multi_tensor_apply_kernelINS1_18TensorListMetadataILi1EEENS1_21BinaryOpScalarFunctorIdLi1ELi1ELi0EEEJSt10multipliesIdEdEEEvT_T0_DpT1_
; %bb.0:
	v_mov_b32_e32 v1, s6
	global_load_ubyte v1, v1, s[4:5] offset:1760
	s_add_u32 s0, s4, s6
	s_mul_hi_u32 s1, s6, 3
	s_mul_i32 s6, s6, 3
	s_addc_u32 s2, s5, 0
	s_add_u32 s0, s0, s6
	s_addc_u32 s1, s2, s1
	s_load_dword s0, s[0:1], 0x820
	s_mov_b32 s7, 0
	s_waitcnt vmcnt(0)
	v_readfirstlane_b32 s1, v1
	s_lshl_b32 s1, s1, 3
	s_load_dwordx2 s[10:11], s[4:5], 0xd30
	s_load_dwordx2 s[2:3], s[4:5], s1 offset:0x370
	s_load_dwordx2 s[14:15], s[4:5], s1 offset:0x0
	s_waitcnt lgkmcnt(0)
	s_ashr_i32 s1, s0, 31
	s_lshl_b64 s[16:17], s[0:1], 19
	s_lshl_b64 s[0:1], s[0:1], 16
	s_and_b32 s6, s14, 31
	s_sub_u32 s12, s2, s0
	s_subb_u32 s13, s3, s1
	s_and_b32 s0, s2, 3
	s_mov_b32 s1, s7
	s_or_b64 s[0:1], s[6:7], s[0:1]
	s_cmp_eq_u64 s[0:1], 0
	s_cbranch_scc1 .LBB29_21
; %bb.1:
	v_cmp_lt_i64_e64 s[0:1], s[12:13], 1
	s_and_b64 vcc, exec, s[0:1]
	s_cbranch_vccnz .LBB29_20
; %bb.2:
	s_load_dword s0, s[4:5], 0xd44
	v_mov_b32_e32 v2, 0x10000
	v_mov_b32_e32 v3, 0
	v_cmp_lt_u64_e32 vcc, s[12:13], v[2:3]
	v_lshlrev_b32_e32 v1, 3, v0
	s_waitcnt lgkmcnt(0)
	s_and_b32 s3, s0, 0xffff
	s_and_b64 s[0:1], vcc, exec
	s_cselect_b32 s19, s13, 0
	s_cselect_b32 s18, s12, 0x10000
	s_lshl_b32 s6, s3, 1
	s_lshl_b32 s24, s3, 2
	s_add_u32 s7, s14, s16
	s_addc_u32 s8, s15, s17
	v_mov_b32_e32 v5, s8
	v_add_co_u32_e32 v4, vcc, s7, v1
	s_mul_i32 s0, s3, 3
	v_addc_co_u32_e32 v5, vcc, 0, v5, vcc
	v_add_co_u32_e32 v1, vcc, s0, v0
	v_addc_co_u32_e64 v18, s[0:1], 0, 0, vcc
	v_add_co_u32_e32 v19, vcc, s6, v0
	v_addc_co_u32_e64 v20, s[0:1], 0, 0, vcc
	v_add_co_u32_e32 v21, vcc, s3, v0
	v_lshlrev_b32_e32 v6, 3, v21
	s_mov_b32 s2, 0
	v_addc_co_u32_e64 v22, s[0:1], 0, 0, vcc
	v_mov_b32_e32 v7, s8
	v_add_co_u32_e32 v6, vcc, s7, v6
	s_lshl_b32 s25, s3, 5
	s_mul_i32 s26, s3, 24
	s_mov_b32 s27, s2
	s_lshl_b32 s28, s3, 4
	s_mov_b32 s29, s2
	v_addc_co_u32_e32 v7, vcc, 0, v7, vcc
	s_mov_b64 s[20:21], 0
	v_pk_mov_b32 v[8:9], s[12:13], s[12:13] op_sel:[0,1]
	v_mov_b32_e32 v23, s2
	s_branch .LBB29_4
.LBB29_3:                               ;   in Loop: Header=BB29_4 Depth=1
	s_or_b64 exec, exec, s[0:1]
	s_add_u32 s20, s20, s24
	s_addc_u32 s21, s21, 0
	v_cmp_lt_i64_e32 vcc, s[20:21], v[8:9]
	v_cmp_lt_u64_e64 s[0:1], s[20:21], v[2:3]
	s_and_b64 s[0:1], vcc, s[0:1]
	v_add_co_u32_e32 v4, vcc, s25, v4
	v_addc_co_u32_e32 v5, vcc, v5, v23, vcc
	v_add_co_u32_e32 v6, vcc, s25, v6
	v_addc_co_u32_e32 v7, vcc, v7, v23, vcc
	s_and_b64 vcc, exec, s[0:1]
	s_cbranch_vccz .LBB29_20
.LBB29_4:                               ; =>This Inner Loop Header: Depth=1
	s_waitcnt vmcnt(0)
	v_mov_b32_e32 v11, s21
	v_add_co_u32_e32 v10, vcc, s20, v0
	v_addc_co_u32_e32 v11, vcc, 0, v11, vcc
	v_cmp_gt_u64_e32 vcc, s[18:19], v[10:11]
	v_pk_mov_b32 v[10:11], 0, 0
	v_pk_mov_b32 v[12:13], v[10:11], v[10:11] op_sel:[0,1]
	s_and_saveexec_b64 s[0:1], vcc
	s_cbranch_execz .LBB29_6
; %bb.5:                                ;   in Loop: Header=BB29_4 Depth=1
	global_load_dwordx2 v[12:13], v[4:5], off
.LBB29_6:                               ;   in Loop: Header=BB29_4 Depth=1
	s_or_b64 exec, exec, s[0:1]
	v_mov_b32_e32 v15, s21
	v_add_co_u32_e64 v14, s[0:1], s20, v21
	v_addc_co_u32_e64 v15, s[0:1], v22, v15, s[0:1]
	v_cmp_gt_u64_e64 s[0:1], s[18:19], v[14:15]
	s_and_saveexec_b64 s[2:3], s[0:1]
	s_cbranch_execz .LBB29_8
; %bb.7:                                ;   in Loop: Header=BB29_4 Depth=1
	global_load_dwordx2 v[10:11], v[6:7], off
.LBB29_8:                               ;   in Loop: Header=BB29_4 Depth=1
	s_or_b64 exec, exec, s[2:3]
	v_mov_b32_e32 v15, s21
	v_add_co_u32_e64 v14, s[2:3], s20, v19
	v_addc_co_u32_e64 v15, s[2:3], v20, v15, s[2:3]
	v_cmp_gt_u64_e64 s[2:3], s[18:19], v[14:15]
	v_pk_mov_b32 v[14:15], 0, 0
	v_pk_mov_b32 v[16:17], v[14:15], v[14:15] op_sel:[0,1]
	s_and_saveexec_b64 s[8:9], s[2:3]
	s_cbranch_execz .LBB29_10
; %bb.9:                                ;   in Loop: Header=BB29_4 Depth=1
	v_mov_b32_e32 v17, s29
	v_add_co_u32_e64 v16, s[6:7], s28, v4
	v_addc_co_u32_e64 v17, s[6:7], v5, v17, s[6:7]
	global_load_dwordx2 v[16:17], v[16:17], off
.LBB29_10:                              ;   in Loop: Header=BB29_4 Depth=1
	s_or_b64 exec, exec, s[8:9]
	v_mov_b32_e32 v25, s21
	v_add_co_u32_e64 v24, s[6:7], s20, v1
	v_addc_co_u32_e64 v25, s[6:7], v18, v25, s[6:7]
	v_cmp_gt_u64_e64 s[6:7], s[18:19], v[24:25]
	s_and_saveexec_b64 s[22:23], s[6:7]
	s_cbranch_execnz .LBB29_15
; %bb.11:                               ;   in Loop: Header=BB29_4 Depth=1
	s_or_b64 exec, exec, s[22:23]
	s_and_saveexec_b64 s[8:9], vcc
	s_cbranch_execnz .LBB29_16
.LBB29_12:                              ;   in Loop: Header=BB29_4 Depth=1
	s_or_b64 exec, exec, s[8:9]
	s_and_saveexec_b64 s[8:9], s[0:1]
	s_cbranch_execnz .LBB29_17
.LBB29_13:                              ;   in Loop: Header=BB29_4 Depth=1
	s_or_b64 exec, exec, s[8:9]
	s_and_saveexec_b64 s[0:1], s[2:3]
	s_cbranch_execnz .LBB29_18
.LBB29_14:                              ;   in Loop: Header=BB29_4 Depth=1
	s_or_b64 exec, exec, s[0:1]
	s_and_saveexec_b64 s[0:1], s[6:7]
	s_cbranch_execz .LBB29_3
	s_branch .LBB29_19
.LBB29_15:                              ;   in Loop: Header=BB29_4 Depth=1
	v_mov_b32_e32 v15, s27
	v_add_co_u32_e64 v14, s[8:9], s26, v4
	v_addc_co_u32_e64 v15, s[8:9], v5, v15, s[8:9]
	global_load_dwordx2 v[14:15], v[14:15], off
	s_or_b64 exec, exec, s[22:23]
	s_and_saveexec_b64 s[8:9], vcc
	s_cbranch_execz .LBB29_12
.LBB29_16:                              ;   in Loop: Header=BB29_4 Depth=1
	s_waitcnt vmcnt(0)
	v_mul_f64 v[12:13], v[12:13], s[10:11]
	global_store_dwordx2 v[4:5], v[12:13], off
	s_or_b64 exec, exec, s[8:9]
	s_and_saveexec_b64 s[8:9], s[0:1]
	s_cbranch_execz .LBB29_13
.LBB29_17:                              ;   in Loop: Header=BB29_4 Depth=1
	s_waitcnt vmcnt(0)
	v_mul_f64 v[10:11], v[10:11], s[10:11]
	global_store_dwordx2 v[6:7], v[10:11], off
	s_or_b64 exec, exec, s[8:9]
	s_and_saveexec_b64 s[0:1], s[2:3]
	s_cbranch_execz .LBB29_14
.LBB29_18:                              ;   in Loop: Header=BB29_4 Depth=1
	s_waitcnt vmcnt(0)
	v_mov_b32_e32 v13, s29
	v_add_co_u32_e32 v12, vcc, s28, v4
	v_mul_f64 v[10:11], v[16:17], s[10:11]
	v_addc_co_u32_e32 v13, vcc, v5, v13, vcc
	global_store_dwordx2 v[12:13], v[10:11], off
	s_or_b64 exec, exec, s[0:1]
	s_and_saveexec_b64 s[0:1], s[6:7]
	s_cbranch_execz .LBB29_3
.LBB29_19:                              ;   in Loop: Header=BB29_4 Depth=1
	s_waitcnt vmcnt(0)
	v_mov_b32_e32 v13, s27
	v_add_co_u32_e32 v12, vcc, s26, v4
	v_mul_f64 v[10:11], v[14:15], s[10:11]
	v_addc_co_u32_e32 v13, vcc, v5, v13, vcc
	global_store_dwordx2 v[12:13], v[10:11], off
	s_branch .LBB29_3
.LBB29_20:
	s_cbranch_execz .LBB29_22
	s_branch .LBB29_25
.LBB29_21:
.LBB29_22:
	v_mov_b32_e32 v3, 0
	v_lshlrev_b32_e32 v2, 2, v0
	s_mov_b32 s0, 0
	v_cmp_gt_i64_e32 vcc, s[12:13], v[2:3]
	s_and_saveexec_b64 s[2:3], vcc
	s_cbranch_execz .LBB29_25
; %bb.23:
	s_load_dword s1, s[4:5], 0xd44
	v_lshlrev_b32_e32 v1, 5, v0
	s_mov_b64 s[4:5], 0
	s_mov_b64 s[6:7], 0xffff
	v_mov_b32_e32 v5, s0
	s_waitcnt lgkmcnt(0)
	s_and_b32 s1, s1, 0xffff
	s_lshl_b32 s8, s1, 2
	s_add_u32 s2, s14, s16
	s_addc_u32 s3, s15, s17
	v_add_lshl_u32 v2, v0, s1, 2
	v_mov_b32_e32 v0, s3
	v_add_co_u32_e32 v1, vcc, s2, v1
	v_addc_co_u32_e32 v4, vcc, 0, v0, vcc
	v_add_co_u32_e32 v0, vcc, 16, v1
	v_addc_co_u32_e32 v1, vcc, 0, v4, vcc
	s_lshl_b32 s9, s1, 5
	v_mov_b32_e32 v4, s0
.LBB29_24:                              ; =>This Inner Loop Header: Depth=1
	global_load_dwordx4 v[6:9], v[0:1], off offset:-16
	global_load_dwordx4 v[10:13], v[0:1], off
	v_cmp_le_i64_e32 vcc, s[12:13], v[2:3]
	v_cmp_lt_u64_e64 s[0:1], s[6:7], v[2:3]
	s_or_b64 s[0:1], vcc, s[0:1]
	v_add_co_u32_e64 v2, s[2:3], s8, v2
	s_and_b64 s[0:1], exec, s[0:1]
	v_addc_co_u32_e64 v3, s[2:3], v3, v4, s[2:3]
	s_or_b64 s[4:5], s[0:1], s[4:5]
	s_waitcnt vmcnt(1)
	v_mul_f64 v[6:7], v[6:7], s[10:11]
	v_mul_f64 v[8:9], v[8:9], s[10:11]
	s_waitcnt vmcnt(0)
	v_mul_f64 v[10:11], v[10:11], s[10:11]
	v_mul_f64 v[12:13], v[12:13], s[10:11]
	global_store_dwordx4 v[0:1], v[6:9], off offset:-16
	global_store_dwordx4 v[0:1], v[10:13], off
	v_add_co_u32_e32 v0, vcc, s9, v0
	v_addc_co_u32_e32 v1, vcc, v1, v5, vcc
	s_andn2_b64 exec, exec, s[4:5]
	s_cbranch_execnz .LBB29_24
.LBB29_25:
	s_endpgm
	.section	.rodata,"a",@progbits
	.p2align	6, 0x0
	.amdhsa_kernel _ZN2at6native12_GLOBAL__N_125multi_tensor_apply_kernelINS1_18TensorListMetadataILi1EEENS1_21BinaryOpScalarFunctorIdLi1ELi1ELi0EEEJSt10multipliesIdEdEEEvT_T0_DpT1_
		.amdhsa_group_segment_fixed_size 0
		.amdhsa_private_segment_fixed_size 0
		.amdhsa_kernarg_size 3640
		.amdhsa_user_sgpr_count 6
		.amdhsa_user_sgpr_private_segment_buffer 1
		.amdhsa_user_sgpr_dispatch_ptr 0
		.amdhsa_user_sgpr_queue_ptr 0
		.amdhsa_user_sgpr_kernarg_segment_ptr 1
		.amdhsa_user_sgpr_dispatch_id 0
		.amdhsa_user_sgpr_flat_scratch_init 0
		.amdhsa_user_sgpr_kernarg_preload_length 0
		.amdhsa_user_sgpr_kernarg_preload_offset 0
		.amdhsa_user_sgpr_private_segment_size 0
		.amdhsa_uses_dynamic_stack 0
		.amdhsa_system_sgpr_private_segment_wavefront_offset 0
		.amdhsa_system_sgpr_workgroup_id_x 1
		.amdhsa_system_sgpr_workgroup_id_y 0
		.amdhsa_system_sgpr_workgroup_id_z 0
		.amdhsa_system_sgpr_workgroup_info 0
		.amdhsa_system_vgpr_workitem_id 0
		.amdhsa_next_free_vgpr 26
		.amdhsa_next_free_sgpr 30
		.amdhsa_accum_offset 28
		.amdhsa_reserve_vcc 1
		.amdhsa_reserve_flat_scratch 0
		.amdhsa_float_round_mode_32 0
		.amdhsa_float_round_mode_16_64 0
		.amdhsa_float_denorm_mode_32 3
		.amdhsa_float_denorm_mode_16_64 3
		.amdhsa_dx10_clamp 1
		.amdhsa_ieee_mode 1
		.amdhsa_fp16_overflow 0
		.amdhsa_tg_split 0
		.amdhsa_exception_fp_ieee_invalid_op 0
		.amdhsa_exception_fp_denorm_src 0
		.amdhsa_exception_fp_ieee_div_zero 0
		.amdhsa_exception_fp_ieee_overflow 0
		.amdhsa_exception_fp_ieee_underflow 0
		.amdhsa_exception_fp_ieee_inexact 0
		.amdhsa_exception_int_div_zero 0
	.end_amdhsa_kernel
	.section	.text._ZN2at6native12_GLOBAL__N_125multi_tensor_apply_kernelINS1_18TensorListMetadataILi1EEENS1_21BinaryOpScalarFunctorIdLi1ELi1ELi0EEEJSt10multipliesIdEdEEEvT_T0_DpT1_,"axG",@progbits,_ZN2at6native12_GLOBAL__N_125multi_tensor_apply_kernelINS1_18TensorListMetadataILi1EEENS1_21BinaryOpScalarFunctorIdLi1ELi1ELi0EEEJSt10multipliesIdEdEEEvT_T0_DpT1_,comdat
.Lfunc_end29:
	.size	_ZN2at6native12_GLOBAL__N_125multi_tensor_apply_kernelINS1_18TensorListMetadataILi1EEENS1_21BinaryOpScalarFunctorIdLi1ELi1ELi0EEEJSt10multipliesIdEdEEEvT_T0_DpT1_, .Lfunc_end29-_ZN2at6native12_GLOBAL__N_125multi_tensor_apply_kernelINS1_18TensorListMetadataILi1EEENS1_21BinaryOpScalarFunctorIdLi1ELi1ELi0EEEJSt10multipliesIdEdEEEvT_T0_DpT1_
                                        ; -- End function
	.section	.AMDGPU.csdata,"",@progbits
; Kernel info:
; codeLenInByte = 1096
; NumSgprs: 34
; NumVgprs: 26
; NumAgprs: 0
; TotalNumVgprs: 26
; ScratchSize: 0
; MemoryBound: 0
; FloatMode: 240
; IeeeMode: 1
; LDSByteSize: 0 bytes/workgroup (compile time only)
; SGPRBlocks: 4
; VGPRBlocks: 3
; NumSGPRsForWavesPerEU: 34
; NumVGPRsForWavesPerEU: 26
; AccumOffset: 28
; Occupancy: 8
; WaveLimiterHint : 0
; COMPUTE_PGM_RSRC2:SCRATCH_EN: 0
; COMPUTE_PGM_RSRC2:USER_SGPR: 6
; COMPUTE_PGM_RSRC2:TRAP_HANDLER: 0
; COMPUTE_PGM_RSRC2:TGID_X_EN: 1
; COMPUTE_PGM_RSRC2:TGID_Y_EN: 0
; COMPUTE_PGM_RSRC2:TGID_Z_EN: 0
; COMPUTE_PGM_RSRC2:TIDIG_COMP_CNT: 0
; COMPUTE_PGM_RSRC3_GFX90A:ACCUM_OFFSET: 6
; COMPUTE_PGM_RSRC3_GFX90A:TG_SPLIT: 0
	.section	.text._ZN2at6native12_GLOBAL__N_125multi_tensor_apply_kernelINS1_18TensorListMetadataILi1EEENS1_21BinaryOpScalarFunctorIfLi1ELi1ELi0EEEJSt10multipliesIfEfEEEvT_T0_DpT1_,"axG",@progbits,_ZN2at6native12_GLOBAL__N_125multi_tensor_apply_kernelINS1_18TensorListMetadataILi1EEENS1_21BinaryOpScalarFunctorIfLi1ELi1ELi0EEEJSt10multipliesIfEfEEEvT_T0_DpT1_,comdat
	.globl	_ZN2at6native12_GLOBAL__N_125multi_tensor_apply_kernelINS1_18TensorListMetadataILi1EEENS1_21BinaryOpScalarFunctorIfLi1ELi1ELi0EEEJSt10multipliesIfEfEEEvT_T0_DpT1_ ; -- Begin function _ZN2at6native12_GLOBAL__N_125multi_tensor_apply_kernelINS1_18TensorListMetadataILi1EEENS1_21BinaryOpScalarFunctorIfLi1ELi1ELi0EEEJSt10multipliesIfEfEEEvT_T0_DpT1_
	.p2align	8
	.type	_ZN2at6native12_GLOBAL__N_125multi_tensor_apply_kernelINS1_18TensorListMetadataILi1EEENS1_21BinaryOpScalarFunctorIfLi1ELi1ELi0EEEJSt10multipliesIfEfEEEvT_T0_DpT1_,@function
_ZN2at6native12_GLOBAL__N_125multi_tensor_apply_kernelINS1_18TensorListMetadataILi1EEENS1_21BinaryOpScalarFunctorIfLi1ELi1ELi0EEEJSt10multipliesIfEfEEEvT_T0_DpT1_: ; @_ZN2at6native12_GLOBAL__N_125multi_tensor_apply_kernelINS1_18TensorListMetadataILi1EEENS1_21BinaryOpScalarFunctorIfLi1ELi1ELi0EEEJSt10multipliesIfEfEEEvT_T0_DpT1_
; %bb.0:
	v_mov_b32_e32 v1, s6
	global_load_ubyte v1, v1, s[4:5] offset:1760
	s_add_u32 s0, s4, s6
	s_mul_hi_u32 s1, s6, 3
	s_mul_i32 s6, s6, 3
	s_addc_u32 s2, s5, 0
	s_add_u32 s0, s0, s6
	s_addc_u32 s1, s2, s1
	s_load_dword s0, s[0:1], 0x820
	s_mov_b32 s7, 0
	s_waitcnt vmcnt(0)
	v_readfirstlane_b32 s1, v1
	s_lshl_b32 s1, s1, 3
	s_load_dword s10, s[4:5], 0xd2c
	s_load_dwordx2 s[2:3], s[4:5], s1 offset:0x370
	s_load_dwordx2 s[14:15], s[4:5], s1 offset:0x0
	s_waitcnt lgkmcnt(0)
	s_ashr_i32 s1, s0, 31
	s_lshl_b64 s[16:17], s[0:1], 18
	s_lshl_b64 s[0:1], s[0:1], 16
	s_and_b32 s6, s14, 15
	s_sub_u32 s12, s2, s0
	s_subb_u32 s13, s3, s1
	s_and_b32 s0, s2, 3
	s_mov_b32 s1, s7
	s_or_b64 s[0:1], s[6:7], s[0:1]
	s_cmp_eq_u64 s[0:1], 0
	s_cbranch_scc1 .LBB30_21
; %bb.1:
	v_cmp_lt_i64_e64 s[0:1], s[12:13], 1
	s_and_b64 vcc, exec, s[0:1]
	s_cbranch_vccnz .LBB30_20
; %bb.2:
	s_load_dword s0, s[4:5], 0xd3c
	v_mov_b32_e32 v2, 0x10000
	v_mov_b32_e32 v3, 0
	v_cmp_lt_u64_e32 vcc, s[12:13], v[2:3]
	v_lshlrev_b32_e32 v1, 2, v0
	s_waitcnt lgkmcnt(0)
	s_and_b32 s3, s0, 0xffff
	s_and_b64 s[0:1], vcc, exec
	s_cselect_b32 s19, s13, 0
	s_cselect_b32 s18, s12, 0x10000
	s_lshl_b32 s6, s3, 1
	s_lshl_b32 s11, s3, 2
	s_add_u32 s7, s14, s16
	s_addc_u32 s8, s15, s17
	v_mov_b32_e32 v5, s8
	v_add_co_u32_e32 v4, vcc, s7, v1
	s_mul_i32 s0, s3, 3
	v_addc_co_u32_e32 v5, vcc, 0, v5, vcc
	v_add_co_u32_e32 v1, vcc, s0, v0
	v_addc_co_u32_e64 v10, s[0:1], 0, 0, vcc
	v_add_co_u32_e32 v11, vcc, s6, v0
	v_addc_co_u32_e64 v12, s[0:1], 0, 0, vcc
	v_add_co_u32_e32 v13, vcc, s3, v0
	v_lshlrev_b32_e32 v6, 2, v13
	s_mov_b32 s2, 0
	v_addc_co_u32_e64 v14, s[0:1], 0, 0, vcc
	v_mov_b32_e32 v7, s8
	v_add_co_u32_e32 v6, vcc, s7, v6
	s_lshl_b32 s24, s3, 4
	s_mul_i32 s25, s3, 12
	s_mov_b32 s26, s2
	s_lshl_b32 s27, s3, 3
	s_mov_b32 s28, s2
	v_addc_co_u32_e32 v7, vcc, 0, v7, vcc
	s_mov_b64 s[20:21], 0
	v_pk_mov_b32 v[8:9], s[12:13], s[12:13] op_sel:[0,1]
	v_mov_b32_e32 v15, s2
	s_branch .LBB30_4
.LBB30_3:                               ;   in Loop: Header=BB30_4 Depth=1
	s_or_b64 exec, exec, s[0:1]
	s_add_u32 s20, s20, s11
	s_addc_u32 s21, s21, 0
	v_cmp_lt_i64_e32 vcc, s[20:21], v[8:9]
	v_cmp_lt_u64_e64 s[0:1], s[20:21], v[2:3]
	s_and_b64 s[0:1], vcc, s[0:1]
	v_add_co_u32_e32 v4, vcc, s24, v4
	v_addc_co_u32_e32 v5, vcc, v5, v15, vcc
	v_add_co_u32_e32 v6, vcc, s24, v6
	v_addc_co_u32_e32 v7, vcc, v7, v15, vcc
	s_and_b64 vcc, exec, s[0:1]
	s_cbranch_vccz .LBB30_20
.LBB30_4:                               ; =>This Inner Loop Header: Depth=1
	s_waitcnt vmcnt(0)
	v_mov_b32_e32 v17, s21
	v_add_co_u32_e32 v16, vcc, s20, v0
	v_addc_co_u32_e32 v17, vcc, 0, v17, vcc
	v_cmp_gt_u64_e32 vcc, s[18:19], v[16:17]
	v_mov_b32_e32 v16, 0
	s_and_saveexec_b64 s[0:1], vcc
	s_cbranch_execz .LBB30_6
; %bb.5:                                ;   in Loop: Header=BB30_4 Depth=1
	global_load_dword v16, v[4:5], off
.LBB30_6:                               ;   in Loop: Header=BB30_4 Depth=1
	s_or_b64 exec, exec, s[0:1]
	v_mov_b32_e32 v17, s21
	v_add_co_u32_e64 v18, s[0:1], s20, v13
	v_addc_co_u32_e64 v19, s[0:1], v14, v17, s[0:1]
	v_cmp_gt_u64_e64 s[0:1], s[18:19], v[18:19]
	v_mov_b32_e32 v18, 0
	s_and_saveexec_b64 s[2:3], s[0:1]
	s_cbranch_execz .LBB30_8
; %bb.7:                                ;   in Loop: Header=BB30_4 Depth=1
	global_load_dword v18, v[6:7], off
.LBB30_8:                               ;   in Loop: Header=BB30_4 Depth=1
	s_or_b64 exec, exec, s[2:3]
	v_mov_b32_e32 v17, s21
	v_add_co_u32_e64 v20, s[2:3], s20, v11
	v_addc_co_u32_e64 v21, s[2:3], v12, v17, s[2:3]
	v_cmp_gt_u64_e64 s[2:3], s[18:19], v[20:21]
	v_mov_b32_e32 v17, 0
	v_mov_b32_e32 v19, 0
	s_and_saveexec_b64 s[8:9], s[2:3]
	s_cbranch_execz .LBB30_10
; %bb.9:                                ;   in Loop: Header=BB30_4 Depth=1
	v_mov_b32_e32 v19, s28
	v_add_co_u32_e64 v20, s[6:7], s27, v4
	v_addc_co_u32_e64 v21, s[6:7], v5, v19, s[6:7]
	global_load_dword v19, v[20:21], off
.LBB30_10:                              ;   in Loop: Header=BB30_4 Depth=1
	s_or_b64 exec, exec, s[8:9]
	v_mov_b32_e32 v21, s21
	v_add_co_u32_e64 v20, s[6:7], s20, v1
	v_addc_co_u32_e64 v21, s[6:7], v10, v21, s[6:7]
	v_cmp_gt_u64_e64 s[6:7], s[18:19], v[20:21]
	s_and_saveexec_b64 s[22:23], s[6:7]
	s_cbranch_execnz .LBB30_15
; %bb.11:                               ;   in Loop: Header=BB30_4 Depth=1
	s_or_b64 exec, exec, s[22:23]
	s_and_saveexec_b64 s[8:9], vcc
	s_cbranch_execnz .LBB30_16
.LBB30_12:                              ;   in Loop: Header=BB30_4 Depth=1
	s_or_b64 exec, exec, s[8:9]
	s_and_saveexec_b64 s[8:9], s[0:1]
	s_cbranch_execnz .LBB30_17
.LBB30_13:                              ;   in Loop: Header=BB30_4 Depth=1
	s_or_b64 exec, exec, s[8:9]
	s_and_saveexec_b64 s[0:1], s[2:3]
	s_cbranch_execnz .LBB30_18
.LBB30_14:                              ;   in Loop: Header=BB30_4 Depth=1
	s_or_b64 exec, exec, s[0:1]
	s_and_saveexec_b64 s[0:1], s[6:7]
	s_cbranch_execz .LBB30_3
	s_branch .LBB30_19
.LBB30_15:                              ;   in Loop: Header=BB30_4 Depth=1
	v_mov_b32_e32 v17, s26
	v_add_co_u32_e64 v20, s[8:9], s25, v4
	v_addc_co_u32_e64 v21, s[8:9], v5, v17, s[8:9]
	global_load_dword v17, v[20:21], off
	s_or_b64 exec, exec, s[22:23]
	s_and_saveexec_b64 s[8:9], vcc
	s_cbranch_execz .LBB30_12
.LBB30_16:                              ;   in Loop: Header=BB30_4 Depth=1
	s_waitcnt vmcnt(0)
	v_mul_f32_e32 v16, s10, v16
	global_store_dword v[4:5], v16, off
	s_or_b64 exec, exec, s[8:9]
	s_and_saveexec_b64 s[8:9], s[0:1]
	s_cbranch_execz .LBB30_13
.LBB30_17:                              ;   in Loop: Header=BB30_4 Depth=1
	s_waitcnt vmcnt(0)
	v_mul_f32_e32 v16, s10, v18
	global_store_dword v[6:7], v16, off
	s_or_b64 exec, exec, s[8:9]
	s_and_saveexec_b64 s[0:1], s[2:3]
	s_cbranch_execz .LBB30_14
.LBB30_18:                              ;   in Loop: Header=BB30_4 Depth=1
	s_waitcnt vmcnt(0)
	v_mul_f32_e32 v16, s10, v19
	v_mov_b32_e32 v19, s28
	v_add_co_u32_e32 v18, vcc, s27, v4
	v_addc_co_u32_e32 v19, vcc, v5, v19, vcc
	global_store_dword v[18:19], v16, off
	s_or_b64 exec, exec, s[0:1]
	s_and_saveexec_b64 s[0:1], s[6:7]
	s_cbranch_execz .LBB30_3
.LBB30_19:                              ;   in Loop: Header=BB30_4 Depth=1
	s_waitcnt vmcnt(0)
	v_mul_f32_e32 v18, s10, v17
	v_mov_b32_e32 v17, s26
	v_add_co_u32_e32 v16, vcc, s25, v4
	v_addc_co_u32_e32 v17, vcc, v5, v17, vcc
	global_store_dword v[16:17], v18, off
	s_branch .LBB30_3
.LBB30_20:
	s_cbranch_execz .LBB30_22
	s_branch .LBB30_25
.LBB30_21:
.LBB30_22:
	v_mov_b32_e32 v3, 0
	v_lshlrev_b32_e32 v2, 2, v0
	s_mov_b32 s0, 0
	v_cmp_gt_i64_e32 vcc, s[12:13], v[2:3]
	s_and_saveexec_b64 s[2:3], vcc
	s_cbranch_execz .LBB30_25
; %bb.23:
	s_load_dword s1, s[4:5], 0xd3c
	v_lshlrev_b32_e32 v1, 4, v0
	s_mov_b32 s11, s10
	s_mov_b64 s[4:5], 0xffff
	s_waitcnt lgkmcnt(0)
	s_and_b32 s1, s1, 0xffff
	s_add_u32 s2, s14, s16
	s_addc_u32 s3, s15, s17
	v_mov_b32_e32 v2, s3
	v_add_co_u32_e32 v1, vcc, s2, v1
	v_addc_co_u32_e32 v2, vcc, 0, v2, vcc
	v_add_co_u32_e32 v4, vcc, 8, v1
	v_addc_co_u32_e32 v5, vcc, 0, v2, vcc
	s_lshl_b32 s6, s1, 4
	v_add_lshl_u32 v2, v0, s1, 2
	s_lshl_b32 s7, s1, 2
	s_mov_b64 s[2:3], 0
	v_mov_b32_e32 v0, s0
	v_mov_b32_e32 v1, s0
.LBB30_24:                              ; =>This Inner Loop Header: Depth=1
	global_load_dwordx4 v[6:9], v[4:5], off offset:-8
	v_cmp_le_i64_e32 vcc, s[12:13], v[2:3]
	v_cmp_lt_u64_e64 s[0:1], s[4:5], v[2:3]
	s_or_b64 s[0:1], vcc, s[0:1]
	s_and_b64 s[0:1], exec, s[0:1]
	s_or_b64 s[2:3], s[0:1], s[2:3]
	s_waitcnt vmcnt(0)
	v_pk_mul_f32 v[6:7], v[6:7], s[10:11]
	v_pk_mul_f32 v[8:9], v[8:9], s[10:11]
	global_store_dwordx4 v[4:5], v[6:9], off offset:-8
	v_add_co_u32_e32 v4, vcc, s6, v4
	v_addc_co_u32_e32 v5, vcc, v5, v0, vcc
	v_add_co_u32_e32 v2, vcc, s7, v2
	v_addc_co_u32_e32 v3, vcc, v3, v1, vcc
	s_andn2_b64 exec, exec, s[2:3]
	s_cbranch_execnz .LBB30_24
.LBB30_25:
	s_endpgm
	.section	.rodata,"a",@progbits
	.p2align	6, 0x0
	.amdhsa_kernel _ZN2at6native12_GLOBAL__N_125multi_tensor_apply_kernelINS1_18TensorListMetadataILi1EEENS1_21BinaryOpScalarFunctorIfLi1ELi1ELi0EEEJSt10multipliesIfEfEEEvT_T0_DpT1_
		.amdhsa_group_segment_fixed_size 0
		.amdhsa_private_segment_fixed_size 0
		.amdhsa_kernarg_size 3632
		.amdhsa_user_sgpr_count 6
		.amdhsa_user_sgpr_private_segment_buffer 1
		.amdhsa_user_sgpr_dispatch_ptr 0
		.amdhsa_user_sgpr_queue_ptr 0
		.amdhsa_user_sgpr_kernarg_segment_ptr 1
		.amdhsa_user_sgpr_dispatch_id 0
		.amdhsa_user_sgpr_flat_scratch_init 0
		.amdhsa_user_sgpr_kernarg_preload_length 0
		.amdhsa_user_sgpr_kernarg_preload_offset 0
		.amdhsa_user_sgpr_private_segment_size 0
		.amdhsa_uses_dynamic_stack 0
		.amdhsa_system_sgpr_private_segment_wavefront_offset 0
		.amdhsa_system_sgpr_workgroup_id_x 1
		.amdhsa_system_sgpr_workgroup_id_y 0
		.amdhsa_system_sgpr_workgroup_id_z 0
		.amdhsa_system_sgpr_workgroup_info 0
		.amdhsa_system_vgpr_workitem_id 0
		.amdhsa_next_free_vgpr 22
		.amdhsa_next_free_sgpr 29
		.amdhsa_accum_offset 24
		.amdhsa_reserve_vcc 1
		.amdhsa_reserve_flat_scratch 0
		.amdhsa_float_round_mode_32 0
		.amdhsa_float_round_mode_16_64 0
		.amdhsa_float_denorm_mode_32 3
		.amdhsa_float_denorm_mode_16_64 3
		.amdhsa_dx10_clamp 1
		.amdhsa_ieee_mode 1
		.amdhsa_fp16_overflow 0
		.amdhsa_tg_split 0
		.amdhsa_exception_fp_ieee_invalid_op 0
		.amdhsa_exception_fp_denorm_src 0
		.amdhsa_exception_fp_ieee_div_zero 0
		.amdhsa_exception_fp_ieee_overflow 0
		.amdhsa_exception_fp_ieee_underflow 0
		.amdhsa_exception_fp_ieee_inexact 0
		.amdhsa_exception_int_div_zero 0
	.end_amdhsa_kernel
	.section	.text._ZN2at6native12_GLOBAL__N_125multi_tensor_apply_kernelINS1_18TensorListMetadataILi1EEENS1_21BinaryOpScalarFunctorIfLi1ELi1ELi0EEEJSt10multipliesIfEfEEEvT_T0_DpT1_,"axG",@progbits,_ZN2at6native12_GLOBAL__N_125multi_tensor_apply_kernelINS1_18TensorListMetadataILi1EEENS1_21BinaryOpScalarFunctorIfLi1ELi1ELi0EEEJSt10multipliesIfEfEEEvT_T0_DpT1_,comdat
.Lfunc_end30:
	.size	_ZN2at6native12_GLOBAL__N_125multi_tensor_apply_kernelINS1_18TensorListMetadataILi1EEENS1_21BinaryOpScalarFunctorIfLi1ELi1ELi0EEEJSt10multipliesIfEfEEEvT_T0_DpT1_, .Lfunc_end30-_ZN2at6native12_GLOBAL__N_125multi_tensor_apply_kernelINS1_18TensorListMetadataILi1EEENS1_21BinaryOpScalarFunctorIfLi1ELi1ELi0EEEJSt10multipliesIfEfEEEvT_T0_DpT1_
                                        ; -- End function
	.section	.AMDGPU.csdata,"",@progbits
; Kernel info:
; codeLenInByte = 1024
; NumSgprs: 33
; NumVgprs: 22
; NumAgprs: 0
; TotalNumVgprs: 22
; ScratchSize: 0
; MemoryBound: 0
; FloatMode: 240
; IeeeMode: 1
; LDSByteSize: 0 bytes/workgroup (compile time only)
; SGPRBlocks: 4
; VGPRBlocks: 2
; NumSGPRsForWavesPerEU: 33
; NumVGPRsForWavesPerEU: 22
; AccumOffset: 24
; Occupancy: 8
; WaveLimiterHint : 0
; COMPUTE_PGM_RSRC2:SCRATCH_EN: 0
; COMPUTE_PGM_RSRC2:USER_SGPR: 6
; COMPUTE_PGM_RSRC2:TRAP_HANDLER: 0
; COMPUTE_PGM_RSRC2:TGID_X_EN: 1
; COMPUTE_PGM_RSRC2:TGID_Y_EN: 0
; COMPUTE_PGM_RSRC2:TGID_Z_EN: 0
; COMPUTE_PGM_RSRC2:TIDIG_COMP_CNT: 0
; COMPUTE_PGM_RSRC3_GFX90A:ACCUM_OFFSET: 5
; COMPUTE_PGM_RSRC3_GFX90A:TG_SPLIT: 0
	.section	.text._ZN2at6native12_GLOBAL__N_125multi_tensor_apply_kernelINS1_18TensorListMetadataILi1EEENS1_21BinaryOpScalarFunctorIN3c107complexIdEELi1ELi1ELi0EEEJSt10multipliesIS8_ES8_EEEvT_T0_DpT1_,"axG",@progbits,_ZN2at6native12_GLOBAL__N_125multi_tensor_apply_kernelINS1_18TensorListMetadataILi1EEENS1_21BinaryOpScalarFunctorIN3c107complexIdEELi1ELi1ELi0EEEJSt10multipliesIS8_ES8_EEEvT_T0_DpT1_,comdat
	.globl	_ZN2at6native12_GLOBAL__N_125multi_tensor_apply_kernelINS1_18TensorListMetadataILi1EEENS1_21BinaryOpScalarFunctorIN3c107complexIdEELi1ELi1ELi0EEEJSt10multipliesIS8_ES8_EEEvT_T0_DpT1_ ; -- Begin function _ZN2at6native12_GLOBAL__N_125multi_tensor_apply_kernelINS1_18TensorListMetadataILi1EEENS1_21BinaryOpScalarFunctorIN3c107complexIdEELi1ELi1ELi0EEEJSt10multipliesIS8_ES8_EEEvT_T0_DpT1_
	.p2align	8
	.type	_ZN2at6native12_GLOBAL__N_125multi_tensor_apply_kernelINS1_18TensorListMetadataILi1EEENS1_21BinaryOpScalarFunctorIN3c107complexIdEELi1ELi1ELi0EEEJSt10multipliesIS8_ES8_EEEvT_T0_DpT1_,@function
_ZN2at6native12_GLOBAL__N_125multi_tensor_apply_kernelINS1_18TensorListMetadataILi1EEENS1_21BinaryOpScalarFunctorIN3c107complexIdEELi1ELi1ELi0EEEJSt10multipliesIS8_ES8_EEEvT_T0_DpT1_: ; @_ZN2at6native12_GLOBAL__N_125multi_tensor_apply_kernelINS1_18TensorListMetadataILi1EEENS1_21BinaryOpScalarFunctorIN3c107complexIdEELi1ELi1ELi0EEEJSt10multipliesIS8_ES8_EEEvT_T0_DpT1_
; %bb.0:
	v_mov_b32_e32 v1, s6
	global_load_ubyte v1, v1, s[4:5] offset:1760
	s_add_u32 s0, s4, s6
	s_mul_hi_u32 s1, s6, 3
	s_mul_i32 s6, s6, 3
	s_addc_u32 s2, s5, 0
	s_add_u32 s0, s0, s6
	s_addc_u32 s1, s2, s1
	s_load_dword s0, s[0:1], 0x820
	s_mov_b32 s7, 0
	s_load_dwordx4 s[12:15], s[4:5], 0xd30
	s_waitcnt vmcnt(0)
	v_readfirstlane_b32 s1, v1
	s_lshl_b32 s1, s1, 3
	s_load_dwordx2 s[16:17], s[4:5], s1 offset:0x0
	s_load_dwordx2 s[2:3], s[4:5], s1 offset:0x370
	s_waitcnt lgkmcnt(0)
	s_ashr_i32 s1, s0, 31
	s_lshl_b64 s[18:19], s[0:1], 20
	s_add_u32 s26, s16, s18
	s_addc_u32 s27, s17, s19
	s_and_b32 s6, s26, 63
	s_lshl_b64 s[0:1], s[0:1], 16
	s_sub_u32 s10, s2, s0
	s_subb_u32 s11, s3, s1
	s_and_b32 s0, s2, 3
	s_mov_b32 s1, s7
	s_or_b64 s[0:1], s[6:7], s[0:1]
	s_cmp_eq_u64 s[0:1], 0
	s_cbranch_scc1 .LBB31_21
; %bb.1:
	v_cmp_lt_i64_e64 s[0:1], s[10:11], 1
	s_and_b64 vcc, exec, s[0:1]
	s_cbranch_vccnz .LBB31_20
; %bb.2:
	s_load_dword s0, s[4:5], 0xd4c
	v_mov_b32_e32 v2, 0x10000
	v_mov_b32_e32 v3, 0
	v_cmp_lt_u64_e32 vcc, s[10:11], v[2:3]
	v_mov_b32_e32 v19, 0
	s_waitcnt lgkmcnt(0)
	s_and_b32 s2, s0, 0xffff
	s_and_b64 s[0:1], vcc, exec
	s_mul_i32 s6, s2, 3
	v_lshlrev_b32_e32 v18, 4, v0
	v_add_co_u32_e32 v23, vcc, s2, v0
	v_addc_co_u32_e64 v25, s[0:1], 0, 0, vcc
	v_mad_u64_u32 v[20:21], s[0:1], s2, 48, v[18:19]
	v_add_co_u32_e32 v19, vcc, s6, v0
	v_addc_co_u32_e64 v26, s[0:1], 0, 0, vcc
	s_cselect_b32 s21, s11, 0
	s_cselect_b32 s20, s10, 0x10000
	s_lshl_b32 s0, s2, 5
	s_lshl_b32 s3, s2, 1
	v_add_co_u32_e32 v2, vcc, s0, v18
	v_addc_co_u32_e64 v1, s[0:1], 0, 0, vcc
	v_add_co_u32_e32 v27, vcc, s3, v0
	s_lshl_b32 s28, s2, 2
	s_lshl_b32 s29, s2, 6
	v_or_b32_e32 v20, 8, v20
	v_lshlrev_b32_e32 v22, 4, v23
	v_or_b32_e32 v24, 8, v2
	v_addc_co_u32_e64 v28, s[0:1], 0, 0, vcc
	s_mov_b64 s[22:23], 0
	s_branch .LBB31_4
.LBB31_3:                               ;   in Loop: Header=BB31_4 Depth=1
	s_or_b64 exec, exec, s[0:1]
	s_add_u32 s22, s22, s28
	s_addc_u32 s23, s23, 0
	s_waitcnt vmcnt(0)
	v_pk_mov_b32 v[2:3], s[10:11], s[10:11] op_sel:[0,1]
	v_cmp_lt_i64_e32 vcc, s[22:23], v[2:3]
	v_mov_b32_e32 v2, 0x10000
	v_mov_b32_e32 v3, 0
	v_cmp_lt_u64_e64 s[0:1], s[22:23], v[2:3]
	s_and_b64 s[0:1], vcc, s[0:1]
	s_add_u32 s26, s26, s29
	s_addc_u32 s27, s27, 0
	s_and_b64 vcc, exec, s[0:1]
	s_cbranch_vccz .LBB31_20
.LBB31_4:                               ; =>This Inner Loop Header: Depth=1
	v_mov_b32_e32 v3, s23
	v_add_co_u32_e32 v2, vcc, s22, v0
	v_addc_co_u32_e32 v3, vcc, 0, v3, vcc
	v_pk_mov_b32 v[4:5], 0, 0
	v_cmp_gt_u64_e32 vcc, s[20:21], v[2:3]
	v_pk_mov_b32 v[12:13], v[4:5], v[4:5] op_sel:[0,1]
	v_pk_mov_b32 v[10:11], v[4:5], v[4:5] op_sel:[0,1]
	s_and_saveexec_b64 s[2:3], vcc
	s_cbranch_execz .LBB31_6
; %bb.5:                                ;   in Loop: Header=BB31_4 Depth=1
	v_mov_b32_e32 v3, s27
	v_add_co_u32_e64 v2, s[0:1], s26, v18
	v_addc_co_u32_e64 v3, s[0:1], 0, v3, s[0:1]
	global_load_dwordx4 v[10:13], v[2:3], off
.LBB31_6:                               ;   in Loop: Header=BB31_4 Depth=1
	s_or_b64 exec, exec, s[2:3]
	v_mov_b32_e32 v3, s23
	v_add_co_u32_e64 v2, s[0:1], s22, v23
	v_addc_co_u32_e64 v3, s[0:1], v25, v3, s[0:1]
	v_cmp_gt_u64_e64 s[0:1], s[20:21], v[2:3]
	v_pk_mov_b32 v[2:3], v[4:5], v[4:5] op_sel:[0,1]
	s_and_saveexec_b64 s[6:7], s[0:1]
	s_cbranch_execz .LBB31_8
; %bb.7:                                ;   in Loop: Header=BB31_4 Depth=1
	v_mov_b32_e32 v3, s27
	v_add_co_u32_e64 v2, s[2:3], s26, v22
	v_addc_co_u32_e64 v3, s[2:3], 0, v3, s[2:3]
	global_load_dwordx4 v[2:5], v[2:3], off
.LBB31_8:                               ;   in Loop: Header=BB31_4 Depth=1
	s_or_b64 exec, exec, s[6:7]
	v_mov_b32_e32 v7, s23
	v_add_co_u32_e64 v6, s[2:3], s22, v27
	v_addc_co_u32_e64 v7, s[2:3], v28, v7, s[2:3]
	v_pk_mov_b32 v[8:9], 0, 0
	v_cmp_gt_u64_e64 s[2:3], s[20:21], v[6:7]
	v_pk_mov_b32 v[16:17], v[8:9], v[8:9] op_sel:[0,1]
	v_pk_mov_b32 v[14:15], v[8:9], v[8:9] op_sel:[0,1]
	s_and_saveexec_b64 s[8:9], s[2:3]
	s_cbranch_execz .LBB31_10
; %bb.9:                                ;   in Loop: Header=BB31_4 Depth=1
	v_mov_b32_e32 v7, s27
	v_add_co_u32_e64 v6, s[6:7], s26, v24
	v_addc_co_u32_e64 v7, s[6:7], v7, v1, s[6:7]
	global_load_dwordx4 v[14:17], v[6:7], off offset:-8
.LBB31_10:                              ;   in Loop: Header=BB31_4 Depth=1
	s_or_b64 exec, exec, s[8:9]
	v_mov_b32_e32 v7, s23
	v_add_co_u32_e64 v6, s[6:7], s22, v19
	v_addc_co_u32_e64 v7, s[6:7], v26, v7, s[6:7]
	v_cmp_gt_u64_e64 s[6:7], s[20:21], v[6:7]
	v_pk_mov_b32 v[6:7], v[8:9], v[8:9] op_sel:[0,1]
	s_and_saveexec_b64 s[24:25], s[6:7]
	s_cbranch_execnz .LBB31_15
; %bb.11:                               ;   in Loop: Header=BB31_4 Depth=1
	s_or_b64 exec, exec, s[24:25]
	s_and_saveexec_b64 s[8:9], vcc
	s_cbranch_execnz .LBB31_16
.LBB31_12:                              ;   in Loop: Header=BB31_4 Depth=1
	s_or_b64 exec, exec, s[8:9]
	s_and_saveexec_b64 s[8:9], s[0:1]
	s_cbranch_execnz .LBB31_17
.LBB31_13:                              ;   in Loop: Header=BB31_4 Depth=1
	s_or_b64 exec, exec, s[8:9]
	s_and_saveexec_b64 s[0:1], s[2:3]
	s_cbranch_execnz .LBB31_18
.LBB31_14:                              ;   in Loop: Header=BB31_4 Depth=1
	s_or_b64 exec, exec, s[0:1]
	s_and_saveexec_b64 s[0:1], s[6:7]
	s_cbranch_execz .LBB31_3
	s_branch .LBB31_19
.LBB31_15:                              ;   in Loop: Header=BB31_4 Depth=1
	v_mov_b32_e32 v7, s27
	v_add_co_u32_e64 v6, s[8:9], s26, v20
	v_addc_co_u32_e64 v7, s[8:9], v7, v21, s[8:9]
	global_load_dwordx4 v[6:9], v[6:7], off offset:-8
	s_or_b64 exec, exec, s[24:25]
	s_and_saveexec_b64 s[8:9], vcc
	s_cbranch_execz .LBB31_12
.LBB31_16:                              ;   in Loop: Header=BB31_4 Depth=1
	v_mov_b32_e32 v29, s27
	v_add_co_u32_e32 v34, vcc, s26, v18
	s_waitcnt vmcnt(0)
	v_mul_f64 v[30:31], s[14:15], v[12:13]
	v_mul_f64 v[32:33], s[14:15], v[10:11]
	v_addc_co_u32_e32 v35, vcc, 0, v29, vcc
	v_fma_f64 v[30:31], s[12:13], v[10:11], -v[30:31]
	v_fmac_f64_e32 v[32:33], s[12:13], v[12:13]
	global_store_dwordx4 v[34:35], v[30:33], off
	s_or_b64 exec, exec, s[8:9]
	s_and_saveexec_b64 s[8:9], s[0:1]
	s_cbranch_execz .LBB31_13
.LBB31_17:                              ;   in Loop: Header=BB31_4 Depth=1
	s_waitcnt vmcnt(0)
	v_mul_f64 v[10:11], s[14:15], v[4:5]
	v_fma_f64 v[10:11], s[12:13], v[2:3], -v[10:11]
	v_mul_f64 v[12:13], s[14:15], v[2:3]
	v_mov_b32_e32 v3, s27
	v_add_co_u32_e32 v2, vcc, s26, v22
	v_fmac_f64_e32 v[12:13], s[12:13], v[4:5]
	v_addc_co_u32_e32 v3, vcc, 0, v3, vcc
	global_store_dwordx4 v[2:3], v[10:13], off
	s_or_b64 exec, exec, s[8:9]
	s_and_saveexec_b64 s[0:1], s[2:3]
	s_cbranch_execz .LBB31_14
.LBB31_18:                              ;   in Loop: Header=BB31_4 Depth=1
	s_waitcnt vmcnt(0)
	v_mul_f64 v[2:3], s[14:15], v[16:17]
	v_mul_f64 v[4:5], s[14:15], v[14:15]
	v_mov_b32_e32 v11, s27
	v_add_co_u32_e32 v10, vcc, s26, v24
	v_fma_f64 v[2:3], s[12:13], v[14:15], -v[2:3]
	v_fmac_f64_e32 v[4:5], s[12:13], v[16:17]
	v_addc_co_u32_e32 v11, vcc, v11, v1, vcc
	global_store_dwordx4 v[10:11], v[2:5], off offset:-8
	s_or_b64 exec, exec, s[0:1]
	s_and_saveexec_b64 s[0:1], s[6:7]
	s_cbranch_execz .LBB31_3
.LBB31_19:                              ;   in Loop: Header=BB31_4 Depth=1
	s_waitcnt vmcnt(0)
	v_mul_f64 v[2:3], s[14:15], v[8:9]
	v_fma_f64 v[2:3], s[12:13], v[6:7], -v[2:3]
	v_mul_f64 v[4:5], s[14:15], v[6:7]
	v_mov_b32_e32 v7, s27
	v_add_co_u32_e32 v6, vcc, s26, v20
	v_fmac_f64_e32 v[4:5], s[12:13], v[8:9]
	v_addc_co_u32_e32 v7, vcc, v7, v21, vcc
	global_store_dwordx4 v[6:7], v[2:5], off offset:-8
	s_branch .LBB31_3
.LBB31_20:
	s_cbranch_execz .LBB31_22
	s_branch .LBB31_25
.LBB31_21:
.LBB31_22:
	v_mov_b32_e32 v3, 0
	v_lshlrev_b32_e32 v2, 2, v0
	s_mov_b32 s0, 0
	v_cmp_gt_i64_e32 vcc, s[10:11], v[2:3]
	s_and_saveexec_b64 s[2:3], vcc
	s_cbranch_execz .LBB31_25
; %bb.23:
	s_load_dword s1, s[4:5], 0xd4c
	v_lshlrev_b32_e32 v1, 6, v0
	s_mov_b64 s[4:5], 0
	s_mov_b64 s[6:7], 0xffff
	v_mov_b32_e32 v5, s0
	s_waitcnt lgkmcnt(0)
	s_and_b32 s1, s1, 0xffff
	s_lshl_b32 s8, s1, 2
	s_add_u32 s2, s16, s18
	s_addc_u32 s3, s17, s19
	v_add_lshl_u32 v2, v0, s1, 2
	v_mov_b32_e32 v4, s3
	v_add_co_u32_e32 v0, vcc, s2, v1
	v_addc_co_u32_e32 v1, vcc, 0, v4, vcc
	s_lshl_b32 s9, s1, 6
	v_mov_b32_e32 v4, s0
.LBB31_24:                              ; =>This Inner Loop Header: Depth=1
	global_load_dwordx4 v[6:9], v[0:1], off
	global_load_dwordx4 v[10:13], v[0:1], off offset:16
	global_load_dwordx4 v[14:17], v[0:1], off offset:32
	;; [unrolled: 1-line block ×3, first 2 shown]
	v_cmp_le_i64_e32 vcc, s[10:11], v[2:3]
	v_cmp_lt_u64_e64 s[0:1], s[6:7], v[2:3]
	s_or_b64 s[0:1], vcc, s[0:1]
	v_add_co_u32_e64 v2, s[2:3], s8, v2
	s_and_b64 s[0:1], exec, s[0:1]
	v_addc_co_u32_e64 v3, s[2:3], v3, v4, s[2:3]
	s_or_b64 s[4:5], s[0:1], s[4:5]
	s_waitcnt vmcnt(3)
	v_mul_f64 v[24:25], s[14:15], v[8:9]
	v_mul_f64 v[22:23], s[12:13], v[8:9]
	s_waitcnt vmcnt(2)
	v_mul_f64 v[26:27], s[14:15], v[12:13]
	v_mul_f64 v[8:9], s[12:13], v[12:13]
	;; [unrolled: 3-line block ×4, first 2 shown]
	v_fma_f64 v[20:21], s[12:13], v[6:7], -v[24:25]
	v_fmac_f64_e32 v[22:23], s[14:15], v[6:7]
	v_fma_f64 v[6:7], s[12:13], v[10:11], -v[26:27]
	v_fmac_f64_e32 v[8:9], s[14:15], v[10:11]
	;; [unrolled: 2-line block ×4, first 2 shown]
	global_store_dwordx4 v[0:1], v[20:23], off
	global_store_dwordx4 v[0:1], v[6:9], off offset:16
	global_store_dwordx4 v[0:1], v[10:13], off offset:32
	;; [unrolled: 1-line block ×3, first 2 shown]
	v_add_co_u32_e32 v0, vcc, s9, v0
	v_addc_co_u32_e32 v1, vcc, v1, v5, vcc
	s_andn2_b64 exec, exec, s[4:5]
	s_cbranch_execnz .LBB31_24
.LBB31_25:
	s_endpgm
	.section	.rodata,"a",@progbits
	.p2align	6, 0x0
	.amdhsa_kernel _ZN2at6native12_GLOBAL__N_125multi_tensor_apply_kernelINS1_18TensorListMetadataILi1EEENS1_21BinaryOpScalarFunctorIN3c107complexIdEELi1ELi1ELi0EEEJSt10multipliesIS8_ES8_EEEvT_T0_DpT1_
		.amdhsa_group_segment_fixed_size 0
		.amdhsa_private_segment_fixed_size 0
		.amdhsa_kernarg_size 3648
		.amdhsa_user_sgpr_count 6
		.amdhsa_user_sgpr_private_segment_buffer 1
		.amdhsa_user_sgpr_dispatch_ptr 0
		.amdhsa_user_sgpr_queue_ptr 0
		.amdhsa_user_sgpr_kernarg_segment_ptr 1
		.amdhsa_user_sgpr_dispatch_id 0
		.amdhsa_user_sgpr_flat_scratch_init 0
		.amdhsa_user_sgpr_kernarg_preload_length 0
		.amdhsa_user_sgpr_kernarg_preload_offset 0
		.amdhsa_user_sgpr_private_segment_size 0
		.amdhsa_uses_dynamic_stack 0
		.amdhsa_system_sgpr_private_segment_wavefront_offset 0
		.amdhsa_system_sgpr_workgroup_id_x 1
		.amdhsa_system_sgpr_workgroup_id_y 0
		.amdhsa_system_sgpr_workgroup_id_z 0
		.amdhsa_system_sgpr_workgroup_info 0
		.amdhsa_system_vgpr_workitem_id 0
		.amdhsa_next_free_vgpr 36
		.amdhsa_next_free_sgpr 30
		.amdhsa_accum_offset 36
		.amdhsa_reserve_vcc 1
		.amdhsa_reserve_flat_scratch 0
		.amdhsa_float_round_mode_32 0
		.amdhsa_float_round_mode_16_64 0
		.amdhsa_float_denorm_mode_32 3
		.amdhsa_float_denorm_mode_16_64 3
		.amdhsa_dx10_clamp 1
		.amdhsa_ieee_mode 1
		.amdhsa_fp16_overflow 0
		.amdhsa_tg_split 0
		.amdhsa_exception_fp_ieee_invalid_op 0
		.amdhsa_exception_fp_denorm_src 0
		.amdhsa_exception_fp_ieee_div_zero 0
		.amdhsa_exception_fp_ieee_overflow 0
		.amdhsa_exception_fp_ieee_underflow 0
		.amdhsa_exception_fp_ieee_inexact 0
		.amdhsa_exception_int_div_zero 0
	.end_amdhsa_kernel
	.section	.text._ZN2at6native12_GLOBAL__N_125multi_tensor_apply_kernelINS1_18TensorListMetadataILi1EEENS1_21BinaryOpScalarFunctorIN3c107complexIdEELi1ELi1ELi0EEEJSt10multipliesIS8_ES8_EEEvT_T0_DpT1_,"axG",@progbits,_ZN2at6native12_GLOBAL__N_125multi_tensor_apply_kernelINS1_18TensorListMetadataILi1EEENS1_21BinaryOpScalarFunctorIN3c107complexIdEELi1ELi1ELi0EEEJSt10multipliesIS8_ES8_EEEvT_T0_DpT1_,comdat
.Lfunc_end31:
	.size	_ZN2at6native12_GLOBAL__N_125multi_tensor_apply_kernelINS1_18TensorListMetadataILi1EEENS1_21BinaryOpScalarFunctorIN3c107complexIdEELi1ELi1ELi0EEEJSt10multipliesIS8_ES8_EEEvT_T0_DpT1_, .Lfunc_end31-_ZN2at6native12_GLOBAL__N_125multi_tensor_apply_kernelINS1_18TensorListMetadataILi1EEENS1_21BinaryOpScalarFunctorIN3c107complexIdEELi1ELi1ELi0EEEJSt10multipliesIS8_ES8_EEEvT_T0_DpT1_
                                        ; -- End function
	.section	.AMDGPU.csdata,"",@progbits
; Kernel info:
; codeLenInByte = 1376
; NumSgprs: 34
; NumVgprs: 36
; NumAgprs: 0
; TotalNumVgprs: 36
; ScratchSize: 0
; MemoryBound: 1
; FloatMode: 240
; IeeeMode: 1
; LDSByteSize: 0 bytes/workgroup (compile time only)
; SGPRBlocks: 4
; VGPRBlocks: 4
; NumSGPRsForWavesPerEU: 34
; NumVGPRsForWavesPerEU: 36
; AccumOffset: 36
; Occupancy: 8
; WaveLimiterHint : 0
; COMPUTE_PGM_RSRC2:SCRATCH_EN: 0
; COMPUTE_PGM_RSRC2:USER_SGPR: 6
; COMPUTE_PGM_RSRC2:TRAP_HANDLER: 0
; COMPUTE_PGM_RSRC2:TGID_X_EN: 1
; COMPUTE_PGM_RSRC2:TGID_Y_EN: 0
; COMPUTE_PGM_RSRC2:TGID_Z_EN: 0
; COMPUTE_PGM_RSRC2:TIDIG_COMP_CNT: 0
; COMPUTE_PGM_RSRC3_GFX90A:ACCUM_OFFSET: 8
; COMPUTE_PGM_RSRC3_GFX90A:TG_SPLIT: 0
	.section	.text._ZN2at6native12_GLOBAL__N_125multi_tensor_apply_kernelINS1_18TensorListMetadataILi1EEENS1_21BinaryOpScalarFunctorIN3c107complexIfEELi1ELi1ELi0EEEJSt10multipliesIS8_ES8_EEEvT_T0_DpT1_,"axG",@progbits,_ZN2at6native12_GLOBAL__N_125multi_tensor_apply_kernelINS1_18TensorListMetadataILi1EEENS1_21BinaryOpScalarFunctorIN3c107complexIfEELi1ELi1ELi0EEEJSt10multipliesIS8_ES8_EEEvT_T0_DpT1_,comdat
	.globl	_ZN2at6native12_GLOBAL__N_125multi_tensor_apply_kernelINS1_18TensorListMetadataILi1EEENS1_21BinaryOpScalarFunctorIN3c107complexIfEELi1ELi1ELi0EEEJSt10multipliesIS8_ES8_EEEvT_T0_DpT1_ ; -- Begin function _ZN2at6native12_GLOBAL__N_125multi_tensor_apply_kernelINS1_18TensorListMetadataILi1EEENS1_21BinaryOpScalarFunctorIN3c107complexIfEELi1ELi1ELi0EEEJSt10multipliesIS8_ES8_EEEvT_T0_DpT1_
	.p2align	8
	.type	_ZN2at6native12_GLOBAL__N_125multi_tensor_apply_kernelINS1_18TensorListMetadataILi1EEENS1_21BinaryOpScalarFunctorIN3c107complexIfEELi1ELi1ELi0EEEJSt10multipliesIS8_ES8_EEEvT_T0_DpT1_,@function
_ZN2at6native12_GLOBAL__N_125multi_tensor_apply_kernelINS1_18TensorListMetadataILi1EEENS1_21BinaryOpScalarFunctorIN3c107complexIfEELi1ELi1ELi0EEEJSt10multipliesIS8_ES8_EEEvT_T0_DpT1_: ; @_ZN2at6native12_GLOBAL__N_125multi_tensor_apply_kernelINS1_18TensorListMetadataILi1EEENS1_21BinaryOpScalarFunctorIN3c107complexIfEELi1ELi1ELi0EEEJSt10multipliesIS8_ES8_EEEvT_T0_DpT1_
; %bb.0:
	v_mov_b32_e32 v1, s8
	global_load_ubyte v1, v1, s[6:7] offset:1760
	s_load_dwordx2 s[2:3], s[4:5], 0x4
	s_mul_i32 s4, s8, 3
	s_mul_hi_u32 s0, s8, 3
	v_and_b32_e32 v2, 0x3ff, v0
	v_bfe_u32 v3, v0, 10, 10
	s_waitcnt lgkmcnt(0)
	s_lshr_b32 s2, s2, 16
	s_mul_i32 s10, s2, s3
	s_add_u32 s2, s6, s8
	s_addc_u32 s5, s7, 0
	s_add_u32 s4, s2, s4
	s_addc_u32 s5, s5, s0
	s_load_dword s2, s[4:5], 0x820
	s_mov_b32 s1, 0
	v_bfe_u32 v0, v0, 20, 10
	s_waitcnt vmcnt(0)
	v_readfirstlane_b32 s0, v1
	s_lshl_b32 s0, s0, 3
	s_load_dwordx2 s[8:9], s[6:7], 0xd30
	s_load_dwordx2 s[4:5], s[6:7], s0 offset:0x370
	s_load_dwordx2 s[12:13], s[6:7], s0 offset:0x0
	v_mul_lo_u32 v1, s10, v2
	v_mad_u32_u24 v1, v3, s3, v1
	s_waitcnt lgkmcnt(0)
	s_ashr_i32 s3, s2, 31
	s_lshl_b64 s[14:15], s[2:3], 19
	s_add_u32 s19, s12, s14
	s_addc_u32 s24, s13, s15
	s_and_b32 s0, s19, 31
	s_lshl_b64 s[2:3], s[2:3], 16
	s_sub_u32 s10, s4, s2
	s_subb_u32 s11, s5, s3
	s_and_b32 s2, s4, 3
	s_mov_b32 s3, s1
	s_or_b64 s[0:1], s[0:1], s[2:3]
	s_cmp_eq_u64 s[0:1], 0
	v_add_lshl_u32 v4, v1, v0, 3
	s_cbranch_scc1 .LBB32_20
; %bb.1:
	v_cmp_lt_i64_e64 s[0:1], s[10:11], 1
	s_and_b64 vcc, exec, s[0:1]
	s_cbranch_vccnz .LBB32_18
; %bb.2:
	s_load_dword s0, s[6:7], 0xd44
	v_mov_b32_e32 v6, 0x10000
	v_mov_b32_e32 v7, 0
	v_cmp_lt_u64_e32 vcc, s[10:11], v[6:7]
	v_mov_b32_e32 v1, 0
	s_waitcnt lgkmcnt(0)
	s_and_b32 s2, s0, 0xffff
	s_and_b64 s[0:1], vcc, exec
	s_mul_i32 s4, s2, 3
	s_mov_b64 s[0:1], src_shared_base
	v_lshlrev_b32_e32 v0, 3, v2
	v_add_co_u32_e32 v5, vcc, s4, v2
	v_mov_b32_e32 v3, s1
	v_mad_u64_u32 v[6:7], s[0:1], s2, 24, v[0:1]
	v_addc_co_u32_e64 v9, s[0:1], 0, 0, vcc
	s_cselect_b32 s17, s11, 0
	s_cselect_b32 s16, s10, 0x10000
	s_lshl_b32 s0, s2, 4
	s_lshl_b32 s3, s2, 1
	v_add_co_u32_e32 v22, vcc, s0, v0
	v_addc_co_u32_e64 v23, s[0:1], 0, 0, vcc
	v_add_co_u32_e32 v24, vcc, s3, v2
	v_addc_co_u32_e64 v25, s[0:1], 0, 0, vcc
	v_add_co_u32_e32 v26, vcc, s2, v2
	s_lshl_b32 s25, s2, 2
	s_mov_b32 s18, s9
	s_lshl_b32 s26, s2, 5
	v_addc_co_u32_e64 v27, s[0:1], 0, 0, vcc
	v_lshlrev_b32_e32 v8, 3, v26
	s_mov_b64 s[20:21], 0
	v_mov_b32_e32 v10, v1
	v_mov_b32_e32 v11, v1
	s_branch .LBB32_4
.LBB32_3:                               ;   in Loop: Header=BB32_4 Depth=1
	s_or_b64 exec, exec, s[0:1]
	s_add_u32 s20, s20, s25
	s_addc_u32 s21, s21, 0
	v_pk_mov_b32 v[12:13], s[10:11], s[10:11] op_sel:[0,1]
	v_cmp_ge_i64_e32 vcc, s[20:21], v[12:13]
	v_mov_b32_e32 v12, 0xffff
	v_mov_b32_e32 v13, 0
	v_cmp_gt_u64_e64 s[0:1], s[20:21], v[12:13]
	s_or_b64 s[0:1], vcc, s[0:1]
	s_add_u32 s19, s19, s26
	s_addc_u32 s24, s24, 0
	s_and_b64 vcc, exec, s[0:1]
	s_cbranch_vccnz .LBB32_18
.LBB32_4:                               ; =>This Inner Loop Header: Depth=1
	v_mov_b32_e32 v1, s21
	v_add_co_u32_e32 v12, vcc, s20, v2
	v_addc_co_u32_e32 v13, vcc, 0, v1, vcc
	v_cmp_gt_u64_e32 vcc, s[16:17], v[12:13]
	v_mov_b32_e32 v14, 0
	v_mov_b32_e32 v15, 0
	s_and_saveexec_b64 s[2:3], vcc
	s_cbranch_execz .LBB32_6
; %bb.5:                                ;   in Loop: Header=BB32_4 Depth=1
	v_mov_b32_e32 v1, s24
	v_add_co_u32_e64 v12, s[0:1], s19, v0
	v_addc_co_u32_e64 v13, s[0:1], 0, v1, s[0:1]
	global_load_dwordx2 v[14:15], v[12:13], off
.LBB32_6:                               ;   in Loop: Header=BB32_4 Depth=1
	s_or_b64 exec, exec, s[2:3]
	v_mov_b32_e32 v1, s21
	v_add_co_u32_e64 v12, s[0:1], s20, v26
	v_addc_co_u32_e64 v13, s[0:1], v27, v1, s[0:1]
	v_cmp_gt_u64_e64 s[0:1], s[16:17], v[12:13]
	v_mov_b32_e32 v12, 0
	v_mov_b32_e32 v16, 0
	v_mov_b32_e32 v17, 0
	s_and_saveexec_b64 s[4:5], s[0:1]
	s_cbranch_execz .LBB32_8
; %bb.7:                                ;   in Loop: Header=BB32_4 Depth=1
	v_mov_b32_e32 v1, s24
	v_add_co_u32_e64 v16, s[2:3], s19, v8
	v_addc_co_u32_e64 v17, s[2:3], 0, v1, s[2:3]
	global_load_dwordx2 v[16:17], v[16:17], off
.LBB32_8:                               ;   in Loop: Header=BB32_4 Depth=1
	s_or_b64 exec, exec, s[4:5]
	v_mov_b32_e32 v1, s21
	v_add_co_u32_e64 v18, s[2:3], s20, v24
	v_addc_co_u32_e64 v19, s[2:3], v25, v1, s[2:3]
	v_cmp_gt_u64_e64 s[2:3], s[16:17], v[18:19]
	v_mov_b32_e32 v13, 0
	s_and_saveexec_b64 s[22:23], s[2:3]
	s_cbranch_execz .LBB32_10
; %bb.9:                                ;   in Loop: Header=BB32_4 Depth=1
	v_mov_b32_e32 v1, s24
	v_add_co_u32_e64 v12, s[4:5], s19, v22
	v_addc_co_u32_e64 v13, s[4:5], v1, v23, s[4:5]
	global_load_dwordx2 v[12:13], v[12:13], off
.LBB32_10:                              ;   in Loop: Header=BB32_4 Depth=1
	s_or_b64 exec, exec, s[22:23]
	v_mov_b32_e32 v1, s21
	v_add_co_u32_e64 v20, s[4:5], s20, v5
	v_addc_co_u32_e64 v21, s[4:5], v9, v1, s[4:5]
	v_mov_b32_e32 v1, s24
	v_add_co_u32_e64 v18, s[4:5], s19, v6
	v_addc_co_u32_e64 v19, s[4:5], v1, v7, s[4:5]
	v_cmp_gt_u64_e64 s[4:5], s[16:17], v[20:21]
	ds_write_b64 v4, v[10:11]
	v_cndmask_b32_e64 v21, v3, v19, s[4:5]
	v_cndmask_b32_e64 v20, v4, v18, s[4:5]
	flat_load_dwordx2 v[28:29], v[20:21]
	s_waitcnt vmcnt(0) lgkmcnt(0)
	v_pk_mul_f32 v[30:31], v[28:29], s[8:9] op_sel:[1,0]
	v_pk_fma_f32 v[20:21], v[28:29], s[8:9], v[30:31] op_sel:[0,0,1] op_sel_hi:[1,1,0] neg_lo:[0,0,1] neg_hi:[0,0,1]
	v_pk_fma_f32 v[28:29], v[28:29], s[8:9], v[30:31] op_sel:[0,0,1] op_sel_hi:[0,1,0]
	v_mov_b32_e32 v21, v29
	ds_write_b64 v4, v[20:21]
	s_and_saveexec_b64 s[22:23], vcc
	s_cbranch_execnz .LBB32_14
; %bb.11:                               ;   in Loop: Header=BB32_4 Depth=1
	s_or_b64 exec, exec, s[22:23]
	s_and_saveexec_b64 s[22:23], s[0:1]
	s_cbranch_execnz .LBB32_15
.LBB32_12:                              ;   in Loop: Header=BB32_4 Depth=1
	s_or_b64 exec, exec, s[22:23]
	s_and_saveexec_b64 s[0:1], s[2:3]
	s_cbranch_execnz .LBB32_16
.LBB32_13:                              ;   in Loop: Header=BB32_4 Depth=1
	s_or_b64 exec, exec, s[0:1]
	s_and_saveexec_b64 s[0:1], s[4:5]
	s_cbranch_execz .LBB32_3
	s_branch .LBB32_17
.LBB32_14:                              ;   in Loop: Header=BB32_4 Depth=1
	v_pk_mul_f32 v[30:31], v[14:15], s[8:9]
	v_mov_b32_e32 v30, v31
	v_pk_fma_f32 v[30:31], v[14:15], s[8:9], v[30:31] neg_lo:[0,0,1] neg_hi:[0,0,1]
	v_pk_mul_f32 v[32:33], v[14:15], s[18:19]
	v_mov_b32_e32 v14, v15
	v_mov_b32_e32 v1, s24
	v_add_co_u32_e32 v28, vcc, s19, v0
	v_pk_fma_f32 v[14:15], v[14:15], s[8:9], v[32:33]
	v_addc_co_u32_e32 v29, vcc, 0, v1, vcc
	v_mov_b32_e32 v31, v14
	global_store_dwordx2 v[28:29], v[30:31], off
	s_or_b64 exec, exec, s[22:23]
	s_and_saveexec_b64 s[22:23], s[0:1]
	s_cbranch_execz .LBB32_12
.LBB32_15:                              ;   in Loop: Header=BB32_4 Depth=1
	v_pk_mul_f32 v[14:15], v[16:17], s[8:9]
	v_mov_b32_e32 v14, v15
	v_pk_fma_f32 v[14:15], v[16:17], s[8:9], v[14:15] neg_lo:[0,0,1] neg_hi:[0,0,1]
	v_pk_mul_f32 v[28:29], v[16:17], s[18:19]
	v_mov_b32_e32 v16, v17
	v_pk_fma_f32 v[16:17], v[16:17], s[8:9], v[28:29]
	v_mov_b32_e32 v1, s24
	v_add_co_u32_e32 v28, vcc, s19, v8
	v_addc_co_u32_e32 v29, vcc, 0, v1, vcc
	v_mov_b32_e32 v15, v16
	global_store_dwordx2 v[28:29], v[14:15], off
	s_or_b64 exec, exec, s[22:23]
	s_and_saveexec_b64 s[0:1], s[2:3]
	s_cbranch_execz .LBB32_13
.LBB32_16:                              ;   in Loop: Header=BB32_4 Depth=1
	v_pk_mul_f32 v[14:15], v[12:13], s[8:9]
	v_mov_b32_e32 v14, v15
	v_pk_fma_f32 v[14:15], v[12:13], s[8:9], v[14:15] neg_lo:[0,0,1] neg_hi:[0,0,1]
	v_pk_mul_f32 v[16:17], v[12:13], s[18:19]
	v_mov_b32_e32 v12, v13
	v_pk_fma_f32 v[12:13], v[12:13], s[8:9], v[16:17]
	v_mov_b32_e32 v1, s24
	v_add_co_u32_e32 v16, vcc, s19, v22
	v_addc_co_u32_e32 v17, vcc, v1, v23, vcc
	v_mov_b32_e32 v15, v12
	global_store_dwordx2 v[16:17], v[14:15], off
	s_or_b64 exec, exec, s[0:1]
	s_and_saveexec_b64 s[0:1], s[4:5]
	s_cbranch_execz .LBB32_3
.LBB32_17:                              ;   in Loop: Header=BB32_4 Depth=1
	global_store_dwordx2 v[18:19], v[20:21], off
	s_branch .LBB32_3
.LBB32_18:
	s_cbranch_execz .LBB32_21
.LBB32_19:
	s_endpgm
.LBB32_20:
.LBB32_21:
	v_mov_b32_e32 v7, 0
	v_lshlrev_b32_e32 v6, 2, v2
	s_mov_b32 s0, 0
	v_cmp_gt_i64_e32 vcc, s[10:11], v[6:7]
	s_and_saveexec_b64 s[2:3], vcc
	s_cbranch_execz .LBB32_19
; %bb.22:
	s_load_dword s1, s[6:7], 0xd44
	v_lshlrev_b32_e32 v0, 5, v2
	s_mov_b64 s[4:5], 0
	s_mov_b64 s[6:7], 0xffff
	v_mov_b32_e32 v5, s0
	s_waitcnt lgkmcnt(0)
	s_and_b32 s1, s1, 0xffff
	s_lshl_b32 s16, s1, 2
	s_add_u32 s2, s12, s14
	s_addc_u32 s3, s13, s15
	v_mov_b32_e32 v1, s3
	v_add_co_u32_e32 v8, vcc, s2, v0
	v_add_lshl_u32 v6, v2, s1, 2
	v_addc_co_u32_e32 v9, vcc, 0, v1, vcc
	s_lshl_b32 s12, s1, 5
	v_mov_b32_e32 v10, s0
.LBB32_23:                              ; =>This Inner Loop Header: Depth=1
	global_load_dwordx4 v[0:3], v[8:9], off
	global_load_dwordx4 v[12:15], v[8:9], off offset:16
	v_cmp_le_i64_e32 vcc, s[10:11], v[6:7]
	v_cmp_lt_u64_e64 s[0:1], s[6:7], v[6:7]
	s_or_b64 s[0:1], vcc, s[0:1]
	v_add_co_u32_e64 v6, s[2:3], s16, v6
	s_and_b64 s[0:1], exec, s[0:1]
	v_addc_co_u32_e64 v7, s[2:3], v7, v5, s[2:3]
	s_or_b64 s[4:5], s[0:1], s[4:5]
	s_waitcnt vmcnt(1)
	v_mul_f32_e32 v11, s9, v1
	v_mul_f32_e32 v17, s8, v1
	;; [unrolled: 1-line block ×4, first 2 shown]
	s_waitcnt vmcnt(0)
	v_mul_f32_e32 v3, s9, v13
	v_mul_f32_e32 v1, s8, v13
	v_pk_mul_f32 v[20:21], v[14:15], s[8:9] op_sel:[1,0]
	v_fma_f32 v16, v0, s8, -v11
	v_fmac_f32_e32 v17, s9, v0
	v_fma_f32 v18, v2, s8, -v18
	v_fmac_f32_e32 v19, s9, v2
	v_fma_f32 v0, v12, s8, -v3
	v_fmac_f32_e32 v1, s9, v12
	v_pk_fma_f32 v[2:3], v[14:15], s[8:9], v[20:21] op_sel:[0,0,1] op_sel_hi:[1,1,0] neg_lo:[0,0,1] neg_hi:[0,0,1]
	v_pk_fma_f32 v[12:13], v[14:15], s[8:9], v[20:21] op_sel:[0,0,1] op_sel_hi:[0,1,0]
	v_mov_b32_e32 v3, v13
	global_store_dwordx4 v[8:9], v[16:19], off
	global_store_dwordx4 v[8:9], v[0:3], off offset:16
	v_add_co_u32_e32 v8, vcc, s12, v8
	v_addc_co_u32_e32 v9, vcc, v9, v10, vcc
	s_andn2_b64 exec, exec, s[4:5]
	s_cbranch_execnz .LBB32_23
; %bb.24:
	s_or_b64 exec, exec, s[4:5]
	ds_write_b64 v4, v[2:3]
	s_endpgm
	.section	.rodata,"a",@progbits
	.p2align	6, 0x0
	.amdhsa_kernel _ZN2at6native12_GLOBAL__N_125multi_tensor_apply_kernelINS1_18TensorListMetadataILi1EEENS1_21BinaryOpScalarFunctorIN3c107complexIfEELi1ELi1ELi0EEEJSt10multipliesIS8_ES8_EEEvT_T0_DpT1_
		.amdhsa_group_segment_fixed_size 4096
		.amdhsa_private_segment_fixed_size 0
		.amdhsa_kernarg_size 3640
		.amdhsa_user_sgpr_count 8
		.amdhsa_user_sgpr_private_segment_buffer 1
		.amdhsa_user_sgpr_dispatch_ptr 1
		.amdhsa_user_sgpr_queue_ptr 0
		.amdhsa_user_sgpr_kernarg_segment_ptr 1
		.amdhsa_user_sgpr_dispatch_id 0
		.amdhsa_user_sgpr_flat_scratch_init 0
		.amdhsa_user_sgpr_kernarg_preload_length 0
		.amdhsa_user_sgpr_kernarg_preload_offset 0
		.amdhsa_user_sgpr_private_segment_size 0
		.amdhsa_uses_dynamic_stack 0
		.amdhsa_system_sgpr_private_segment_wavefront_offset 0
		.amdhsa_system_sgpr_workgroup_id_x 1
		.amdhsa_system_sgpr_workgroup_id_y 0
		.amdhsa_system_sgpr_workgroup_id_z 0
		.amdhsa_system_sgpr_workgroup_info 0
		.amdhsa_system_vgpr_workitem_id 2
		.amdhsa_next_free_vgpr 34
		.amdhsa_next_free_sgpr 27
		.amdhsa_accum_offset 36
		.amdhsa_reserve_vcc 1
		.amdhsa_reserve_flat_scratch 0
		.amdhsa_float_round_mode_32 0
		.amdhsa_float_round_mode_16_64 0
		.amdhsa_float_denorm_mode_32 3
		.amdhsa_float_denorm_mode_16_64 3
		.amdhsa_dx10_clamp 1
		.amdhsa_ieee_mode 1
		.amdhsa_fp16_overflow 0
		.amdhsa_tg_split 0
		.amdhsa_exception_fp_ieee_invalid_op 0
		.amdhsa_exception_fp_denorm_src 0
		.amdhsa_exception_fp_ieee_div_zero 0
		.amdhsa_exception_fp_ieee_overflow 0
		.amdhsa_exception_fp_ieee_underflow 0
		.amdhsa_exception_fp_ieee_inexact 0
		.amdhsa_exception_int_div_zero 0
	.end_amdhsa_kernel
	.section	.text._ZN2at6native12_GLOBAL__N_125multi_tensor_apply_kernelINS1_18TensorListMetadataILi1EEENS1_21BinaryOpScalarFunctorIN3c107complexIfEELi1ELi1ELi0EEEJSt10multipliesIS8_ES8_EEEvT_T0_DpT1_,"axG",@progbits,_ZN2at6native12_GLOBAL__N_125multi_tensor_apply_kernelINS1_18TensorListMetadataILi1EEENS1_21BinaryOpScalarFunctorIN3c107complexIfEELi1ELi1ELi0EEEJSt10multipliesIS8_ES8_EEEvT_T0_DpT1_,comdat
.Lfunc_end32:
	.size	_ZN2at6native12_GLOBAL__N_125multi_tensor_apply_kernelINS1_18TensorListMetadataILi1EEENS1_21BinaryOpScalarFunctorIN3c107complexIfEELi1ELi1ELi0EEEJSt10multipliesIS8_ES8_EEEvT_T0_DpT1_, .Lfunc_end32-_ZN2at6native12_GLOBAL__N_125multi_tensor_apply_kernelINS1_18TensorListMetadataILi1EEENS1_21BinaryOpScalarFunctorIN3c107complexIfEELi1ELi1ELi0EEEJSt10multipliesIS8_ES8_EEEvT_T0_DpT1_
                                        ; -- End function
	.section	.AMDGPU.csdata,"",@progbits
; Kernel info:
; codeLenInByte = 1392
; NumSgprs: 31
; NumVgprs: 34
; NumAgprs: 0
; TotalNumVgprs: 34
; ScratchSize: 0
; MemoryBound: 0
; FloatMode: 240
; IeeeMode: 1
; LDSByteSize: 4096 bytes/workgroup (compile time only)
; SGPRBlocks: 3
; VGPRBlocks: 4
; NumSGPRsForWavesPerEU: 31
; NumVGPRsForWavesPerEU: 34
; AccumOffset: 36
; Occupancy: 8
; WaveLimiterHint : 0
; COMPUTE_PGM_RSRC2:SCRATCH_EN: 0
; COMPUTE_PGM_RSRC2:USER_SGPR: 8
; COMPUTE_PGM_RSRC2:TRAP_HANDLER: 0
; COMPUTE_PGM_RSRC2:TGID_X_EN: 1
; COMPUTE_PGM_RSRC2:TGID_Y_EN: 0
; COMPUTE_PGM_RSRC2:TGID_Z_EN: 0
; COMPUTE_PGM_RSRC2:TIDIG_COMP_CNT: 2
; COMPUTE_PGM_RSRC3_GFX90A:ACCUM_OFFSET: 8
; COMPUTE_PGM_RSRC3_GFX90A:TG_SPLIT: 0
	.section	.text._ZN2at6native12_GLOBAL__N_125multi_tensor_apply_kernelINS1_18TensorListMetadataILi1EEENS1_21BinaryOpScalarFunctorIbLi1ELi1ELi0EEEJSt10multipliesIbEbEEEvT_T0_DpT1_,"axG",@progbits,_ZN2at6native12_GLOBAL__N_125multi_tensor_apply_kernelINS1_18TensorListMetadataILi1EEENS1_21BinaryOpScalarFunctorIbLi1ELi1ELi0EEEJSt10multipliesIbEbEEEvT_T0_DpT1_,comdat
	.globl	_ZN2at6native12_GLOBAL__N_125multi_tensor_apply_kernelINS1_18TensorListMetadataILi1EEENS1_21BinaryOpScalarFunctorIbLi1ELi1ELi0EEEJSt10multipliesIbEbEEEvT_T0_DpT1_ ; -- Begin function _ZN2at6native12_GLOBAL__N_125multi_tensor_apply_kernelINS1_18TensorListMetadataILi1EEENS1_21BinaryOpScalarFunctorIbLi1ELi1ELi0EEEJSt10multipliesIbEbEEEvT_T0_DpT1_
	.p2align	8
	.type	_ZN2at6native12_GLOBAL__N_125multi_tensor_apply_kernelINS1_18TensorListMetadataILi1EEENS1_21BinaryOpScalarFunctorIbLi1ELi1ELi0EEEJSt10multipliesIbEbEEEvT_T0_DpT1_,@function
_ZN2at6native12_GLOBAL__N_125multi_tensor_apply_kernelINS1_18TensorListMetadataILi1EEENS1_21BinaryOpScalarFunctorIbLi1ELi1ELi0EEEJSt10multipliesIbEbEEEvT_T0_DpT1_: ; @_ZN2at6native12_GLOBAL__N_125multi_tensor_apply_kernelINS1_18TensorListMetadataILi1EEENS1_21BinaryOpScalarFunctorIbLi1ELi1ELi0EEEJSt10multipliesIbEbEEEvT_T0_DpT1_
; %bb.0:
	v_mov_b32_e32 v1, s6
	global_load_ubyte v1, v1, s[4:5] offset:1760
	s_load_dword s0, s[4:5], 0xd28
	s_mul_i32 s2, s6, 3
	s_mul_hi_u32 s1, s6, 3
	s_waitcnt lgkmcnt(0)
	s_bitcmp1_b32 s0, 16
	s_cselect_b64 s[10:11], -1, 0
	s_add_u32 s0, s4, s6
	s_addc_u32 s3, s5, 0
	s_add_u32 s0, s0, s2
	s_addc_u32 s1, s3, s1
	s_load_dword s2, s[0:1], 0x820
	s_waitcnt vmcnt(0)
	v_readfirstlane_b32 s0, v1
	s_lshl_b32 s3, s0, 3
	s_load_dwordx2 s[0:1], s[4:5], s3 offset:0x0
	s_load_dwordx2 s[6:7], s[4:5], s3 offset:0x370
	s_waitcnt lgkmcnt(0)
	s_ashr_i32 s3, s2, 31
	s_lshl_b64 s[2:3], s[2:3], 16
	s_add_u32 s20, s0, s2
	s_addc_u32 s21, s1, s3
	s_sub_u32 s12, s6, s2
	s_subb_u32 s13, s7, s3
	s_or_b32 s6, s6, s20
	s_and_b32 s6, s6, 3
	s_cmp_eq_u32 s6, 0
	s_cbranch_scc1 .LBB33_21
; %bb.1:
	v_cmp_lt_i64_e64 s[6:7], s[12:13], 1
	s_and_b64 vcc, exec, s[6:7]
	s_cbranch_vccnz .LBB33_20
; %bb.2:
	s_load_dword s6, s[4:5], 0xd3c
	v_mov_b32_e32 v2, 0x10000
	v_mov_b32_e32 v3, 0
	v_cmp_lt_u64_e32 vcc, s[12:13], v[2:3]
	v_mov_b32_e32 v4, s3
	s_waitcnt lgkmcnt(0)
	s_and_b32 s8, s6, 0xffff
	s_and_b64 s[6:7], vcc, exec
	s_cselect_b32 s15, s13, 0
	s_cselect_b32 s14, s12, 0x10000
	s_lshl_b32 s9, s8, 1
	s_mul_i32 s6, s8, 3
	s_lshl_b32 s22, s8, 2
	s_add_u32 s7, s2, s6
	v_add_co_u32_e32 v5, vcc, s2, v0
	s_addc_u32 s16, s3, 0
	v_addc_co_u32_e32 v4, vcc, 0, v4, vcc
	s_add_u32 s7, s0, s7
	v_mov_b32_e32 v7, s1
	v_add_co_u32_e32 v6, vcc, s0, v5
	s_addc_u32 s16, s1, s16
	v_addc_co_u32_e32 v7, vcc, v7, v4, vcc
	s_add_u32 s2, s2, s9
	v_mov_b32_e32 v9, s16
	v_add_co_u32_e32 v8, vcc, s7, v0
	s_addc_u32 s3, s3, 0
	v_addc_co_u32_e32 v9, vcc, 0, v9, vcc
	s_add_u32 s2, s0, s2
	v_add_co_u32_e32 v10, vcc, s6, v0
	s_addc_u32 s3, s1, s3
	v_addc_co_u32_e64 v11, s[6:7], 0, 0, vcc
	v_mov_b32_e32 v13, s3
	v_add_co_u32_e32 v12, vcc, s2, v0
	v_addc_co_u32_e32 v13, vcc, 0, v13, vcc
	s_add_u32 s0, s0, s8
	v_add_co_u32_e32 v14, vcc, s9, v0
	s_addc_u32 s1, s1, 0
	v_addc_co_u32_e64 v15, s[2:3], 0, 0, vcc
	v_mov_b32_e32 v17, s1
	v_add_co_u32_e32 v16, vcc, s0, v5
	v_addc_co_u32_e32 v17, vcc, v17, v4, vcc
	v_add_co_u32_e32 v18, vcc, s8, v0
	v_mov_b32_e32 v1, 0
	v_addc_co_u32_e64 v19, s[0:1], 0, 0, vcc
	s_mov_b64 s[16:17], 0
	v_pk_mov_b32 v[4:5], s[12:13], s[12:13] op_sel:[0,1]
	s_branch .LBB33_4
.LBB33_3:                               ;   in Loop: Header=BB33_4 Depth=1
	s_or_b64 exec, exec, s[0:1]
	s_add_u32 s16, s16, s22
	s_addc_u32 s17, s17, 0
	v_cmp_lt_i64_e32 vcc, s[16:17], v[4:5]
	v_cmp_lt_u64_e64 s[0:1], s[16:17], v[2:3]
	s_and_b64 s[0:1], vcc, s[0:1]
	s_and_b64 vcc, exec, s[0:1]
	s_cbranch_vccz .LBB33_20
.LBB33_4:                               ; =>This Inner Loop Header: Depth=1
	s_waitcnt vmcnt(0)
	v_mov_b32_e32 v21, s17
	v_add_co_u32_e32 v20, vcc, s16, v0
	v_addc_co_u32_e32 v21, vcc, 0, v21, vcc
	v_cmp_gt_u64_e32 vcc, s[14:15], v[20:21]
	v_mov_b32_e32 v21, 0
	s_and_saveexec_b64 s[2:3], vcc
	s_cbranch_execz .LBB33_6
; %bb.5:                                ;   in Loop: Header=BB33_4 Depth=1
	v_mov_b32_e32 v21, s17
	v_add_co_u32_e64 v20, s[0:1], s16, v6
	v_addc_co_u32_e64 v21, s[0:1], v7, v21, s[0:1]
	global_load_ubyte v21, v[20:21], off
.LBB33_6:                               ;   in Loop: Header=BB33_4 Depth=1
	s_or_b64 exec, exec, s[2:3]
	v_mov_b32_e32 v20, s17
	v_add_co_u32_e64 v22, s[0:1], s16, v18
	v_addc_co_u32_e64 v23, s[0:1], v19, v20, s[0:1]
	v_cmp_gt_u64_e64 s[0:1], s[14:15], v[22:23]
	v_mov_b32_e32 v22, 0
	s_and_saveexec_b64 s[6:7], s[0:1]
	s_cbranch_execz .LBB33_8
; %bb.7:                                ;   in Loop: Header=BB33_4 Depth=1
	v_mov_b32_e32 v20, s17
	v_add_co_u32_e64 v22, s[2:3], s16, v16
	v_addc_co_u32_e64 v23, s[2:3], v17, v20, s[2:3]
	global_load_ubyte v22, v[22:23], off
.LBB33_8:                               ;   in Loop: Header=BB33_4 Depth=1
	s_or_b64 exec, exec, s[6:7]
	v_mov_b32_e32 v20, s17
	v_add_co_u32_e64 v24, s[2:3], s16, v14
	v_addc_co_u32_e64 v25, s[2:3], v15, v20, s[2:3]
	v_cmp_gt_u64_e64 s[2:3], s[14:15], v[24:25]
	v_mov_b32_e32 v20, 0
	v_mov_b32_e32 v23, 0
	s_and_saveexec_b64 s[8:9], s[2:3]
	s_cbranch_execz .LBB33_10
; %bb.9:                                ;   in Loop: Header=BB33_4 Depth=1
	v_mov_b32_e32 v23, s17
	v_add_co_u32_e64 v24, s[6:7], s16, v12
	v_addc_co_u32_e64 v25, s[6:7], v13, v23, s[6:7]
	global_load_ubyte v23, v[24:25], off
.LBB33_10:                              ;   in Loop: Header=BB33_4 Depth=1
	s_or_b64 exec, exec, s[8:9]
	v_mov_b32_e32 v25, s17
	v_add_co_u32_e64 v24, s[6:7], s16, v10
	v_addc_co_u32_e64 v25, s[6:7], v11, v25, s[6:7]
	v_cmp_gt_u64_e64 s[6:7], s[14:15], v[24:25]
	s_and_saveexec_b64 s[18:19], s[6:7]
	s_cbranch_execnz .LBB33_15
; %bb.11:                               ;   in Loop: Header=BB33_4 Depth=1
	s_or_b64 exec, exec, s[18:19]
	s_and_saveexec_b64 s[8:9], vcc
	s_cbranch_execnz .LBB33_16
.LBB33_12:                              ;   in Loop: Header=BB33_4 Depth=1
	s_or_b64 exec, exec, s[8:9]
	s_and_saveexec_b64 s[8:9], s[0:1]
	s_cbranch_execnz .LBB33_17
.LBB33_13:                              ;   in Loop: Header=BB33_4 Depth=1
	s_or_b64 exec, exec, s[8:9]
	s_and_saveexec_b64 s[0:1], s[2:3]
	s_cbranch_execnz .LBB33_18
.LBB33_14:                              ;   in Loop: Header=BB33_4 Depth=1
	s_or_b64 exec, exec, s[0:1]
	s_and_saveexec_b64 s[0:1], s[6:7]
	s_cbranch_execz .LBB33_3
	s_branch .LBB33_19
.LBB33_15:                              ;   in Loop: Header=BB33_4 Depth=1
	v_mov_b32_e32 v20, s17
	v_add_co_u32_e64 v24, s[8:9], s16, v8
	v_addc_co_u32_e64 v25, s[8:9], v9, v20, s[8:9]
	global_load_ubyte v20, v[24:25], off
	s_or_b64 exec, exec, s[18:19]
	s_and_saveexec_b64 s[8:9], vcc
	s_cbranch_execz .LBB33_12
.LBB33_16:                              ;   in Loop: Header=BB33_4 Depth=1
	s_waitcnt vmcnt(0)
	v_cmp_ne_u16_sdwa s[18:19], v21, v1 src0_sel:BYTE_0 src1_sel:DWORD
	s_and_b64 s[18:19], s[18:19], s[10:11]
	v_mov_b32_e32 v25, s17
	v_add_co_u32_e32 v24, vcc, s16, v6
	v_cndmask_b32_e64 v21, 0, 1, s[18:19]
	v_addc_co_u32_e32 v25, vcc, v7, v25, vcc
	global_store_byte v[24:25], v21, off
	s_or_b64 exec, exec, s[8:9]
	s_and_saveexec_b64 s[8:9], s[0:1]
	s_cbranch_execz .LBB33_13
.LBB33_17:                              ;   in Loop: Header=BB33_4 Depth=1
	s_waitcnt vmcnt(0)
	v_cmp_ne_u16_sdwa s[0:1], v22, v1 src0_sel:BYTE_0 src1_sel:DWORD
	s_and_b64 s[0:1], s[0:1], s[10:11]
	v_mov_b32_e32 v22, s17
	v_add_co_u32_e32 v24, vcc, s16, v16
	v_cndmask_b32_e64 v21, 0, 1, s[0:1]
	v_addc_co_u32_e32 v25, vcc, v17, v22, vcc
	global_store_byte v[24:25], v21, off
	s_or_b64 exec, exec, s[8:9]
	s_and_saveexec_b64 s[0:1], s[2:3]
	s_cbranch_execz .LBB33_14
.LBB33_18:                              ;   in Loop: Header=BB33_4 Depth=1
	s_waitcnt vmcnt(0)
	v_cmp_ne_u16_sdwa s[2:3], v23, v1 src0_sel:BYTE_0 src1_sel:DWORD
	s_and_b64 s[2:3], s[2:3], s[10:11]
	v_mov_b32_e32 v23, s17
	v_add_co_u32_e32 v22, vcc, s16, v12
	v_cndmask_b32_e64 v21, 0, 1, s[2:3]
	v_addc_co_u32_e32 v23, vcc, v13, v23, vcc
	global_store_byte v[22:23], v21, off
	s_or_b64 exec, exec, s[0:1]
	s_and_saveexec_b64 s[0:1], s[6:7]
	s_cbranch_execz .LBB33_3
.LBB33_19:                              ;   in Loop: Header=BB33_4 Depth=1
	s_waitcnt vmcnt(0)
	v_cmp_ne_u16_sdwa s[2:3], v20, v1 src0_sel:BYTE_0 src1_sel:DWORD
	s_and_b64 s[2:3], s[2:3], s[10:11]
	v_mov_b32_e32 v21, s17
	v_add_co_u32_e32 v20, vcc, s16, v8
	v_cndmask_b32_e64 v22, 0, 1, s[2:3]
	v_addc_co_u32_e32 v21, vcc, v9, v21, vcc
	global_store_byte v[20:21], v22, off
	s_branch .LBB33_3
.LBB33_20:
	s_cbranch_execz .LBB33_22
	s_branch .LBB33_25
.LBB33_21:
.LBB33_22:
	v_lshlrev_b32_e32 v0, 2, v0
	v_mov_b32_e32 v1, 0
	v_cmp_gt_i64_e32 vcc, s[12:13], v[0:1]
	s_and_saveexec_b64 s[0:1], vcc
	s_cbranch_execz .LBB33_25
; %bb.23:
	s_load_dword s0, s[4:5], 0xd3c
	s_mov_b32 s1, 0
	s_mov_b64 s[4:5], 0
	v_mov_b32_e32 v4, s21
	s_mov_b32 s8, 0xffffff
	s_waitcnt lgkmcnt(0)
	s_and_b32 s0, s0, 0xffff
	s_lshl_b32 s9, s0, 2
	v_mov_b32_e32 v5, 0x1000000
	v_mov_b32_e32 v6, 0x10000
	v_mov_b32_e32 v7, 0x100
	v_mov_b32_e32 v8, s1
	s_mov_b64 s[6:7], 0xffff
	v_pk_mov_b32 v[2:3], v[0:1], v[0:1] op_sel:[0,1]
.LBB33_24:                              ; =>This Inner Loop Header: Depth=1
	v_add_co_u32_e32 v10, vcc, s20, v2
	v_addc_co_u32_e32 v11, vcc, v4, v3, vcc
	global_load_dword v0, v[10:11], off
	v_add_co_u32_e32 v2, vcc, s9, v2
	v_addc_co_u32_e32 v3, vcc, v8, v3, vcc
	v_cmp_le_i64_e32 vcc, s[12:13], v[2:3]
	v_cmp_lt_u64_e64 s[0:1], s[6:7], v[2:3]
	s_or_b64 s[14:15], vcc, s[0:1]
	s_waitcnt vmcnt(0)
	v_and_b32_e32 v12, 0xff0000, v0
	v_cmp_lt_u32_e32 vcc, s8, v0
	v_and_b32_e32 v9, 0xff00, v0
	v_cmp_ne_u32_e64 s[2:3], 0, v12
	s_and_b64 vcc, vcc, s[10:11]
	v_cmp_ne_u32_sdwa s[16:17], v0, v1 src0_sel:BYTE_0 src1_sel:DWORD
	v_cmp_ne_u32_e64 s[0:1], 0, v9
	v_cndmask_b32_e32 v0, 0, v5, vcc
	s_and_b64 vcc, s[2:3], s[10:11]
	s_and_b64 s[16:17], s[16:17], s[10:11]
	v_cndmask_b32_e32 v12, 0, v6, vcc
	s_and_b64 vcc, s[0:1], s[10:11]
	v_cndmask_b32_e64 v9, 0, 1, s[16:17]
	v_cndmask_b32_e32 v13, 0, v7, vcc
	v_or_b32_e32 v0, v12, v0
	s_and_b64 s[0:1], exec, s[14:15]
	v_or3_b32 v0, v0, v13, v9
	s_or_b64 s[4:5], s[0:1], s[4:5]
	global_store_dword v[10:11], v0, off
	s_andn2_b64 exec, exec, s[4:5]
	s_cbranch_execnz .LBB33_24
.LBB33_25:
	s_endpgm
	.section	.rodata,"a",@progbits
	.p2align	6, 0x0
	.amdhsa_kernel _ZN2at6native12_GLOBAL__N_125multi_tensor_apply_kernelINS1_18TensorListMetadataILi1EEENS1_21BinaryOpScalarFunctorIbLi1ELi1ELi0EEEJSt10multipliesIbEbEEEvT_T0_DpT1_
		.amdhsa_group_segment_fixed_size 0
		.amdhsa_private_segment_fixed_size 0
		.amdhsa_kernarg_size 3632
		.amdhsa_user_sgpr_count 6
		.amdhsa_user_sgpr_private_segment_buffer 1
		.amdhsa_user_sgpr_dispatch_ptr 0
		.amdhsa_user_sgpr_queue_ptr 0
		.amdhsa_user_sgpr_kernarg_segment_ptr 1
		.amdhsa_user_sgpr_dispatch_id 0
		.amdhsa_user_sgpr_flat_scratch_init 0
		.amdhsa_user_sgpr_kernarg_preload_length 0
		.amdhsa_user_sgpr_kernarg_preload_offset 0
		.amdhsa_user_sgpr_private_segment_size 0
		.amdhsa_uses_dynamic_stack 0
		.amdhsa_system_sgpr_private_segment_wavefront_offset 0
		.amdhsa_system_sgpr_workgroup_id_x 1
		.amdhsa_system_sgpr_workgroup_id_y 0
		.amdhsa_system_sgpr_workgroup_id_z 0
		.amdhsa_system_sgpr_workgroup_info 0
		.amdhsa_system_vgpr_workitem_id 0
		.amdhsa_next_free_vgpr 26
		.amdhsa_next_free_sgpr 23
		.amdhsa_accum_offset 28
		.amdhsa_reserve_vcc 1
		.amdhsa_reserve_flat_scratch 0
		.amdhsa_float_round_mode_32 0
		.amdhsa_float_round_mode_16_64 0
		.amdhsa_float_denorm_mode_32 3
		.amdhsa_float_denorm_mode_16_64 3
		.amdhsa_dx10_clamp 1
		.amdhsa_ieee_mode 1
		.amdhsa_fp16_overflow 0
		.amdhsa_tg_split 0
		.amdhsa_exception_fp_ieee_invalid_op 0
		.amdhsa_exception_fp_denorm_src 0
		.amdhsa_exception_fp_ieee_div_zero 0
		.amdhsa_exception_fp_ieee_overflow 0
		.amdhsa_exception_fp_ieee_underflow 0
		.amdhsa_exception_fp_ieee_inexact 0
		.amdhsa_exception_int_div_zero 0
	.end_amdhsa_kernel
	.section	.text._ZN2at6native12_GLOBAL__N_125multi_tensor_apply_kernelINS1_18TensorListMetadataILi1EEENS1_21BinaryOpScalarFunctorIbLi1ELi1ELi0EEEJSt10multipliesIbEbEEEvT_T0_DpT1_,"axG",@progbits,_ZN2at6native12_GLOBAL__N_125multi_tensor_apply_kernelINS1_18TensorListMetadataILi1EEENS1_21BinaryOpScalarFunctorIbLi1ELi1ELi0EEEJSt10multipliesIbEbEEEvT_T0_DpT1_,comdat
.Lfunc_end33:
	.size	_ZN2at6native12_GLOBAL__N_125multi_tensor_apply_kernelINS1_18TensorListMetadataILi1EEENS1_21BinaryOpScalarFunctorIbLi1ELi1ELi0EEEJSt10multipliesIbEbEEEvT_T0_DpT1_, .Lfunc_end33-_ZN2at6native12_GLOBAL__N_125multi_tensor_apply_kernelINS1_18TensorListMetadataILi1EEENS1_21BinaryOpScalarFunctorIbLi1ELi1ELi0EEEJSt10multipliesIbEbEEEvT_T0_DpT1_
                                        ; -- End function
	.section	.AMDGPU.csdata,"",@progbits
; Kernel info:
; codeLenInByte = 1244
; NumSgprs: 27
; NumVgprs: 26
; NumAgprs: 0
; TotalNumVgprs: 26
; ScratchSize: 0
; MemoryBound: 0
; FloatMode: 240
; IeeeMode: 1
; LDSByteSize: 0 bytes/workgroup (compile time only)
; SGPRBlocks: 3
; VGPRBlocks: 3
; NumSGPRsForWavesPerEU: 27
; NumVGPRsForWavesPerEU: 26
; AccumOffset: 28
; Occupancy: 8
; WaveLimiterHint : 0
; COMPUTE_PGM_RSRC2:SCRATCH_EN: 0
; COMPUTE_PGM_RSRC2:USER_SGPR: 6
; COMPUTE_PGM_RSRC2:TRAP_HANDLER: 0
; COMPUTE_PGM_RSRC2:TGID_X_EN: 1
; COMPUTE_PGM_RSRC2:TGID_Y_EN: 0
; COMPUTE_PGM_RSRC2:TGID_Z_EN: 0
; COMPUTE_PGM_RSRC2:TIDIG_COMP_CNT: 0
; COMPUTE_PGM_RSRC3_GFX90A:ACCUM_OFFSET: 6
; COMPUTE_PGM_RSRC3_GFX90A:TG_SPLIT: 0
	.section	.text._ZN2at6native12_GLOBAL__N_125multi_tensor_apply_kernelINS1_18TensorListMetadataILi1EEENS1_21BinaryOpScalarFunctorIN3c104HalfELi1ELi1ELi0EEEJSt10multipliesIfEfEEEvT_T0_DpT1_,"axG",@progbits,_ZN2at6native12_GLOBAL__N_125multi_tensor_apply_kernelINS1_18TensorListMetadataILi1EEENS1_21BinaryOpScalarFunctorIN3c104HalfELi1ELi1ELi0EEEJSt10multipliesIfEfEEEvT_T0_DpT1_,comdat
	.globl	_ZN2at6native12_GLOBAL__N_125multi_tensor_apply_kernelINS1_18TensorListMetadataILi1EEENS1_21BinaryOpScalarFunctorIN3c104HalfELi1ELi1ELi0EEEJSt10multipliesIfEfEEEvT_T0_DpT1_ ; -- Begin function _ZN2at6native12_GLOBAL__N_125multi_tensor_apply_kernelINS1_18TensorListMetadataILi1EEENS1_21BinaryOpScalarFunctorIN3c104HalfELi1ELi1ELi0EEEJSt10multipliesIfEfEEEvT_T0_DpT1_
	.p2align	8
	.type	_ZN2at6native12_GLOBAL__N_125multi_tensor_apply_kernelINS1_18TensorListMetadataILi1EEENS1_21BinaryOpScalarFunctorIN3c104HalfELi1ELi1ELi0EEEJSt10multipliesIfEfEEEvT_T0_DpT1_,@function
_ZN2at6native12_GLOBAL__N_125multi_tensor_apply_kernelINS1_18TensorListMetadataILi1EEENS1_21BinaryOpScalarFunctorIN3c104HalfELi1ELi1ELi0EEEJSt10multipliesIfEfEEEvT_T0_DpT1_: ; @_ZN2at6native12_GLOBAL__N_125multi_tensor_apply_kernelINS1_18TensorListMetadataILi1EEENS1_21BinaryOpScalarFunctorIN3c104HalfELi1ELi1ELi0EEEJSt10multipliesIfEfEEEvT_T0_DpT1_
; %bb.0:
	v_mov_b32_e32 v1, s6
	global_load_ubyte v1, v1, s[4:5] offset:1760
	s_add_u32 s0, s4, s6
	s_mul_hi_u32 s1, s6, 3
	s_mul_i32 s6, s6, 3
	s_addc_u32 s2, s5, 0
	s_add_u32 s0, s0, s6
	s_addc_u32 s1, s2, s1
	s_load_dword s0, s[0:1], 0x820
	s_mov_b32 s7, 0
	s_waitcnt vmcnt(0)
	v_readfirstlane_b32 s1, v1
	s_lshl_b32 s1, s1, 3
	s_load_dword s10, s[4:5], 0xd2c
	s_load_dwordx2 s[2:3], s[4:5], s1 offset:0x370
	s_load_dwordx2 s[14:15], s[4:5], s1 offset:0x0
	s_waitcnt lgkmcnt(0)
	s_ashr_i32 s1, s0, 31
	s_lshl_b64 s[16:17], s[0:1], 17
	s_lshl_b64 s[0:1], s[0:1], 16
	s_and_b32 s6, s14, 7
	s_sub_u32 s12, s2, s0
	s_subb_u32 s13, s3, s1
	s_and_b32 s0, s2, 3
	s_mov_b32 s1, s7
	s_or_b64 s[0:1], s[6:7], s[0:1]
	s_cmp_eq_u64 s[0:1], 0
	s_cbranch_scc1 .LBB34_21
; %bb.1:
	v_cmp_lt_i64_e64 s[0:1], s[12:13], 1
	s_and_b64 vcc, exec, s[0:1]
	s_cbranch_vccnz .LBB34_20
; %bb.2:
	s_load_dword s0, s[4:5], 0xd3c
	v_mov_b32_e32 v2, 0x10000
	v_mov_b32_e32 v3, 0
	v_cmp_lt_u64_e32 vcc, s[12:13], v[2:3]
	v_lshlrev_b32_e32 v1, 1, v0
	s_waitcnt lgkmcnt(0)
	s_and_b32 s2, s0, 0xffff
	s_and_b64 s[0:1], vcc, exec
	s_cselect_b32 s19, s13, 0
	s_cselect_b32 s18, s12, 0x10000
	s_lshl_b32 s3, s2, 1
	s_lshl_b32 s24, s2, 2
	s_add_u32 s6, s14, s16
	s_addc_u32 s7, s15, s17
	v_mov_b32_e32 v5, s7
	v_add_co_u32_e32 v4, vcc, s6, v1
	s_mul_i32 s0, s2, 3
	v_addc_co_u32_e32 v5, vcc, 0, v5, vcc
	v_add_co_u32_e32 v1, vcc, s0, v0
	v_addc_co_u32_e64 v10, s[0:1], 0, 0, vcc
	v_add_co_u32_e32 v11, vcc, s3, v0
	v_addc_co_u32_e64 v12, s[0:1], 0, 0, vcc
	v_add_co_u32_e32 v13, vcc, s2, v0
	v_lshlrev_b32_e32 v6, 1, v13
	s_mov_b32 s11, 0
	v_addc_co_u32_e64 v14, s[0:1], 0, 0, vcc
	v_mov_b32_e32 v7, s7
	v_add_co_u32_e32 v6, vcc, s6, v6
	s_lshl_b32 s25, s2, 3
	s_mul_i32 s26, s2, 6
	s_mov_b32 s27, s11
	v_addc_co_u32_e32 v7, vcc, 0, v7, vcc
	s_mov_b64 s[20:21], 0
	v_pk_mov_b32 v[8:9], s[12:13], s[12:13] op_sel:[0,1]
	v_mov_b32_e32 v15, s11
	s_branch .LBB34_4
.LBB34_3:                               ;   in Loop: Header=BB34_4 Depth=1
	s_or_b64 exec, exec, s[0:1]
	s_add_u32 s20, s20, s24
	s_addc_u32 s21, s21, 0
	v_cmp_lt_i64_e32 vcc, s[20:21], v[8:9]
	v_cmp_lt_u64_e64 s[0:1], s[20:21], v[2:3]
	s_and_b64 s[0:1], vcc, s[0:1]
	v_add_co_u32_e32 v4, vcc, s25, v4
	v_addc_co_u32_e32 v5, vcc, v5, v15, vcc
	v_add_co_u32_e32 v6, vcc, s25, v6
	v_addc_co_u32_e32 v7, vcc, v7, v15, vcc
	s_and_b64 vcc, exec, s[0:1]
	s_cbranch_vccz .LBB34_20
.LBB34_4:                               ; =>This Inner Loop Header: Depth=1
	s_waitcnt vmcnt(0)
	v_mov_b32_e32 v17, s21
	v_add_co_u32_e32 v16, vcc, s20, v0
	v_addc_co_u32_e32 v17, vcc, 0, v17, vcc
	v_cmp_gt_u64_e32 vcc, s[18:19], v[16:17]
	v_mov_b32_e32 v16, 0
	s_and_saveexec_b64 s[0:1], vcc
	s_cbranch_execz .LBB34_6
; %bb.5:                                ;   in Loop: Header=BB34_4 Depth=1
	global_load_ushort v16, v[4:5], off
.LBB34_6:                               ;   in Loop: Header=BB34_4 Depth=1
	s_or_b64 exec, exec, s[0:1]
	v_mov_b32_e32 v17, s21
	v_add_co_u32_e64 v18, s[0:1], s20, v13
	v_addc_co_u32_e64 v19, s[0:1], v14, v17, s[0:1]
	v_cmp_gt_u64_e64 s[0:1], s[18:19], v[18:19]
	v_mov_b32_e32 v18, 0
	s_and_saveexec_b64 s[2:3], s[0:1]
	s_cbranch_execz .LBB34_8
; %bb.7:                                ;   in Loop: Header=BB34_4 Depth=1
	global_load_ushort v18, v[6:7], off
.LBB34_8:                               ;   in Loop: Header=BB34_4 Depth=1
	s_or_b64 exec, exec, s[2:3]
	v_mov_b32_e32 v17, s21
	v_add_co_u32_e64 v20, s[2:3], s20, v11
	v_addc_co_u32_e64 v21, s[2:3], v12, v17, s[2:3]
	v_cmp_gt_u64_e64 s[2:3], s[18:19], v[20:21]
	v_mov_b32_e32 v17, 0
	v_mov_b32_e32 v19, 0
	s_and_saveexec_b64 s[8:9], s[2:3]
	s_cbranch_execz .LBB34_10
; %bb.9:                                ;   in Loop: Header=BB34_4 Depth=1
	v_mov_b32_e32 v19, s11
	v_add_co_u32_e64 v20, s[6:7], s24, v4
	v_addc_co_u32_e64 v21, s[6:7], v5, v19, s[6:7]
	global_load_ushort v19, v[20:21], off
.LBB34_10:                              ;   in Loop: Header=BB34_4 Depth=1
	s_or_b64 exec, exec, s[8:9]
	v_mov_b32_e32 v21, s21
	v_add_co_u32_e64 v20, s[6:7], s20, v1
	v_addc_co_u32_e64 v21, s[6:7], v10, v21, s[6:7]
	v_cmp_gt_u64_e64 s[6:7], s[18:19], v[20:21]
	s_and_saveexec_b64 s[22:23], s[6:7]
	s_cbranch_execnz .LBB34_15
; %bb.11:                               ;   in Loop: Header=BB34_4 Depth=1
	s_or_b64 exec, exec, s[22:23]
	s_and_saveexec_b64 s[8:9], vcc
	s_cbranch_execnz .LBB34_16
.LBB34_12:                              ;   in Loop: Header=BB34_4 Depth=1
	s_or_b64 exec, exec, s[8:9]
	s_and_saveexec_b64 s[8:9], s[0:1]
	s_cbranch_execnz .LBB34_17
.LBB34_13:                              ;   in Loop: Header=BB34_4 Depth=1
	s_or_b64 exec, exec, s[8:9]
	s_and_saveexec_b64 s[0:1], s[2:3]
	s_cbranch_execnz .LBB34_18
.LBB34_14:                              ;   in Loop: Header=BB34_4 Depth=1
	s_or_b64 exec, exec, s[0:1]
	s_and_saveexec_b64 s[0:1], s[6:7]
	s_cbranch_execz .LBB34_3
	s_branch .LBB34_19
.LBB34_15:                              ;   in Loop: Header=BB34_4 Depth=1
	v_mov_b32_e32 v17, s27
	v_add_co_u32_e64 v20, s[8:9], s26, v4
	v_addc_co_u32_e64 v21, s[8:9], v5, v17, s[8:9]
	global_load_ushort v17, v[20:21], off
	s_or_b64 exec, exec, s[22:23]
	s_and_saveexec_b64 s[8:9], vcc
	s_cbranch_execz .LBB34_12
.LBB34_16:                              ;   in Loop: Header=BB34_4 Depth=1
	s_waitcnt vmcnt(0)
	v_fma_mixlo_f16 v16, v16, s10, 0 op_sel_hi:[1,0,0]
	global_store_short v[4:5], v16, off
	s_or_b64 exec, exec, s[8:9]
	s_and_saveexec_b64 s[8:9], s[0:1]
	s_cbranch_execz .LBB34_13
.LBB34_17:                              ;   in Loop: Header=BB34_4 Depth=1
	s_waitcnt vmcnt(0)
	v_fma_mixlo_f16 v16, v18, s10, 0 op_sel_hi:[1,0,0]
	global_store_short v[6:7], v16, off
	s_or_b64 exec, exec, s[8:9]
	s_and_saveexec_b64 s[0:1], s[2:3]
	s_cbranch_execz .LBB34_14
.LBB34_18:                              ;   in Loop: Header=BB34_4 Depth=1
	s_waitcnt vmcnt(0)
	v_fma_mixlo_f16 v16, v19, s10, 0 op_sel_hi:[1,0,0]
	v_mov_b32_e32 v19, s11
	v_add_co_u32_e32 v18, vcc, s24, v4
	v_addc_co_u32_e32 v19, vcc, v5, v19, vcc
	global_store_short v[18:19], v16, off
	s_or_b64 exec, exec, s[0:1]
	s_and_saveexec_b64 s[0:1], s[6:7]
	s_cbranch_execz .LBB34_3
.LBB34_19:                              ;   in Loop: Header=BB34_4 Depth=1
	s_waitcnt vmcnt(0)
	v_fma_mixlo_f16 v18, v17, s10, 0 op_sel_hi:[1,0,0]
	v_mov_b32_e32 v17, s27
	v_add_co_u32_e32 v16, vcc, s26, v4
	v_addc_co_u32_e32 v17, vcc, v5, v17, vcc
	global_store_short v[16:17], v18, off
	s_branch .LBB34_3
.LBB34_20:
	s_cbranch_execz .LBB34_22
	s_branch .LBB34_25
.LBB34_21:
.LBB34_22:
	v_mov_b32_e32 v3, 0
	v_lshlrev_b32_e32 v2, 2, v0
	s_mov_b32 s0, 0
	v_cmp_gt_i64_e32 vcc, s[12:13], v[2:3]
	s_and_saveexec_b64 s[2:3], vcc
	s_cbranch_execz .LBB34_25
; %bb.23:
	s_load_dword s1, s[4:5], 0xd3c
	v_lshlrev_b32_e32 v1, 3, v0
	s_mov_b32 s11, s10
	s_mov_b32 s2, s10
	;; [unrolled: 1-line block ×3, first 2 shown]
	s_waitcnt lgkmcnt(0)
	s_and_b32 s1, s1, 0xffff
	s_add_u32 s4, s14, s16
	s_addc_u32 s5, s15, s17
	v_mov_b32_e32 v2, s5
	v_add_co_u32_e32 v4, vcc, s4, v1
	v_addc_co_u32_e32 v5, vcc, 0, v2, vcc
	s_lshl_b32 s8, s1, 3
	v_add_lshl_u32 v2, v0, s1, 2
	s_lshl_b32 s9, s1, 2
	s_mov_b64 s[4:5], 0
	s_mov_b64 s[6:7], 0xffff
	v_mov_b32_e32 v0, s0
	v_mov_b32_e32 v1, s0
.LBB34_24:                              ; =>This Inner Loop Header: Depth=1
	global_load_dwordx2 v[6:7], v[4:5], off
	v_cmp_le_i64_e32 vcc, s[12:13], v[2:3]
	v_cmp_lt_u64_e64 s[0:1], s[6:7], v[2:3]
	s_or_b64 s[0:1], vcc, s[0:1]
	s_and_b64 s[0:1], exec, s[0:1]
	s_or_b64 s[4:5], s[0:1], s[4:5]
	s_waitcnt vmcnt(0)
	v_cvt_f32_f16_sdwa v9, v6 dst_sel:DWORD dst_unused:UNUSED_PAD src0_sel:WORD_1
	v_cvt_f32_f16_sdwa v11, v7 dst_sel:DWORD dst_unused:UNUSED_PAD src0_sel:WORD_1
	v_cvt_f32_f16_e32 v10, v7
	v_cvt_f32_f16_e32 v8, v6
	v_pk_mul_f32 v[6:7], s[2:3], v[10:11]
	v_pk_mul_f32 v[8:9], s[10:11], v[8:9]
	v_cvt_f16_f32_e32 v7, v7
	v_cvt_f16_f32_e32 v6, v6
	;; [unrolled: 1-line block ×4, first 2 shown]
	v_pack_b32_f16 v7, v6, v7
	v_pack_b32_f16 v6, v8, v9
	global_store_dwordx2 v[4:5], v[6:7], off
	v_add_co_u32_e32 v4, vcc, s8, v4
	v_addc_co_u32_e32 v5, vcc, v5, v0, vcc
	v_add_co_u32_e32 v2, vcc, s9, v2
	v_addc_co_u32_e32 v3, vcc, v3, v1, vcc
	s_andn2_b64 exec, exec, s[4:5]
	s_cbranch_execnz .LBB34_24
.LBB34_25:
	s_endpgm
	.section	.rodata,"a",@progbits
	.p2align	6, 0x0
	.amdhsa_kernel _ZN2at6native12_GLOBAL__N_125multi_tensor_apply_kernelINS1_18TensorListMetadataILi1EEENS1_21BinaryOpScalarFunctorIN3c104HalfELi1ELi1ELi0EEEJSt10multipliesIfEfEEEvT_T0_DpT1_
		.amdhsa_group_segment_fixed_size 0
		.amdhsa_private_segment_fixed_size 0
		.amdhsa_kernarg_size 3632
		.amdhsa_user_sgpr_count 6
		.amdhsa_user_sgpr_private_segment_buffer 1
		.amdhsa_user_sgpr_dispatch_ptr 0
		.amdhsa_user_sgpr_queue_ptr 0
		.amdhsa_user_sgpr_kernarg_segment_ptr 1
		.amdhsa_user_sgpr_dispatch_id 0
		.amdhsa_user_sgpr_flat_scratch_init 0
		.amdhsa_user_sgpr_kernarg_preload_length 0
		.amdhsa_user_sgpr_kernarg_preload_offset 0
		.amdhsa_user_sgpr_private_segment_size 0
		.amdhsa_uses_dynamic_stack 0
		.amdhsa_system_sgpr_private_segment_wavefront_offset 0
		.amdhsa_system_sgpr_workgroup_id_x 1
		.amdhsa_system_sgpr_workgroup_id_y 0
		.amdhsa_system_sgpr_workgroup_id_z 0
		.amdhsa_system_sgpr_workgroup_info 0
		.amdhsa_system_vgpr_workitem_id 0
		.amdhsa_next_free_vgpr 22
		.amdhsa_next_free_sgpr 28
		.amdhsa_accum_offset 24
		.amdhsa_reserve_vcc 1
		.amdhsa_reserve_flat_scratch 0
		.amdhsa_float_round_mode_32 0
		.amdhsa_float_round_mode_16_64 0
		.amdhsa_float_denorm_mode_32 3
		.amdhsa_float_denorm_mode_16_64 3
		.amdhsa_dx10_clamp 1
		.amdhsa_ieee_mode 1
		.amdhsa_fp16_overflow 0
		.amdhsa_tg_split 0
		.amdhsa_exception_fp_ieee_invalid_op 0
		.amdhsa_exception_fp_denorm_src 0
		.amdhsa_exception_fp_ieee_div_zero 0
		.amdhsa_exception_fp_ieee_overflow 0
		.amdhsa_exception_fp_ieee_underflow 0
		.amdhsa_exception_fp_ieee_inexact 0
		.amdhsa_exception_int_div_zero 0
	.end_amdhsa_kernel
	.section	.text._ZN2at6native12_GLOBAL__N_125multi_tensor_apply_kernelINS1_18TensorListMetadataILi1EEENS1_21BinaryOpScalarFunctorIN3c104HalfELi1ELi1ELi0EEEJSt10multipliesIfEfEEEvT_T0_DpT1_,"axG",@progbits,_ZN2at6native12_GLOBAL__N_125multi_tensor_apply_kernelINS1_18TensorListMetadataILi1EEENS1_21BinaryOpScalarFunctorIN3c104HalfELi1ELi1ELi0EEEJSt10multipliesIfEfEEEvT_T0_DpT1_,comdat
.Lfunc_end34:
	.size	_ZN2at6native12_GLOBAL__N_125multi_tensor_apply_kernelINS1_18TensorListMetadataILi1EEENS1_21BinaryOpScalarFunctorIN3c104HalfELi1ELi1ELi0EEEJSt10multipliesIfEfEEEvT_T0_DpT1_, .Lfunc_end34-_ZN2at6native12_GLOBAL__N_125multi_tensor_apply_kernelINS1_18TensorListMetadataILi1EEENS1_21BinaryOpScalarFunctorIN3c104HalfELi1ELi1ELi0EEEJSt10multipliesIfEfEEEvT_T0_DpT1_
                                        ; -- End function
	.section	.AMDGPU.csdata,"",@progbits
; Kernel info:
; codeLenInByte = 1088
; NumSgprs: 32
; NumVgprs: 22
; NumAgprs: 0
; TotalNumVgprs: 22
; ScratchSize: 0
; MemoryBound: 0
; FloatMode: 240
; IeeeMode: 1
; LDSByteSize: 0 bytes/workgroup (compile time only)
; SGPRBlocks: 3
; VGPRBlocks: 2
; NumSGPRsForWavesPerEU: 32
; NumVGPRsForWavesPerEU: 22
; AccumOffset: 24
; Occupancy: 8
; WaveLimiterHint : 0
; COMPUTE_PGM_RSRC2:SCRATCH_EN: 0
; COMPUTE_PGM_RSRC2:USER_SGPR: 6
; COMPUTE_PGM_RSRC2:TRAP_HANDLER: 0
; COMPUTE_PGM_RSRC2:TGID_X_EN: 1
; COMPUTE_PGM_RSRC2:TGID_Y_EN: 0
; COMPUTE_PGM_RSRC2:TGID_Z_EN: 0
; COMPUTE_PGM_RSRC2:TIDIG_COMP_CNT: 0
; COMPUTE_PGM_RSRC3_GFX90A:ACCUM_OFFSET: 5
; COMPUTE_PGM_RSRC3_GFX90A:TG_SPLIT: 0
	.section	.text._ZN2at6native12_GLOBAL__N_125multi_tensor_apply_kernelINS1_18TensorListMetadataILi1EEENS1_21BinaryOpScalarFunctorIN3c108BFloat16ELi1ELi1ELi0EEEJSt10multipliesIfEfEEEvT_T0_DpT1_,"axG",@progbits,_ZN2at6native12_GLOBAL__N_125multi_tensor_apply_kernelINS1_18TensorListMetadataILi1EEENS1_21BinaryOpScalarFunctorIN3c108BFloat16ELi1ELi1ELi0EEEJSt10multipliesIfEfEEEvT_T0_DpT1_,comdat
	.globl	_ZN2at6native12_GLOBAL__N_125multi_tensor_apply_kernelINS1_18TensorListMetadataILi1EEENS1_21BinaryOpScalarFunctorIN3c108BFloat16ELi1ELi1ELi0EEEJSt10multipliesIfEfEEEvT_T0_DpT1_ ; -- Begin function _ZN2at6native12_GLOBAL__N_125multi_tensor_apply_kernelINS1_18TensorListMetadataILi1EEENS1_21BinaryOpScalarFunctorIN3c108BFloat16ELi1ELi1ELi0EEEJSt10multipliesIfEfEEEvT_T0_DpT1_
	.p2align	8
	.type	_ZN2at6native12_GLOBAL__N_125multi_tensor_apply_kernelINS1_18TensorListMetadataILi1EEENS1_21BinaryOpScalarFunctorIN3c108BFloat16ELi1ELi1ELi0EEEJSt10multipliesIfEfEEEvT_T0_DpT1_,@function
_ZN2at6native12_GLOBAL__N_125multi_tensor_apply_kernelINS1_18TensorListMetadataILi1EEENS1_21BinaryOpScalarFunctorIN3c108BFloat16ELi1ELi1ELi0EEEJSt10multipliesIfEfEEEvT_T0_DpT1_: ; @_ZN2at6native12_GLOBAL__N_125multi_tensor_apply_kernelINS1_18TensorListMetadataILi1EEENS1_21BinaryOpScalarFunctorIN3c108BFloat16ELi1ELi1ELi0EEEJSt10multipliesIfEfEEEvT_T0_DpT1_
; %bb.0:
	v_mov_b32_e32 v1, s6
	global_load_ubyte v1, v1, s[4:5] offset:1760
	s_add_u32 s0, s4, s6
	s_mul_hi_u32 s1, s6, 3
	s_mul_i32 s6, s6, 3
	s_addc_u32 s2, s5, 0
	s_add_u32 s0, s0, s6
	s_addc_u32 s1, s2, s1
	s_load_dword s0, s[0:1], 0x820
	s_mov_b32 s7, 0
	s_waitcnt vmcnt(0)
	v_readfirstlane_b32 s1, v1
	s_lshl_b32 s1, s1, 3
	s_load_dword s22, s[4:5], 0xd2c
	s_load_dwordx2 s[2:3], s[4:5], s1 offset:0x370
	s_load_dwordx2 s[12:13], s[4:5], s1 offset:0x0
	s_waitcnt lgkmcnt(0)
	s_ashr_i32 s1, s0, 31
	s_lshl_b64 s[14:15], s[0:1], 17
	s_lshl_b64 s[0:1], s[0:1], 16
	s_and_b32 s6, s12, 7
	s_sub_u32 s10, s2, s0
	s_subb_u32 s11, s3, s1
	s_and_b32 s0, s2, 3
	s_mov_b32 s1, s7
	s_or_b64 s[0:1], s[6:7], s[0:1]
	s_cmp_eq_u64 s[0:1], 0
	s_cbranch_scc1 .LBB35_21
; %bb.1:
	v_cmp_lt_i64_e64 s[0:1], s[10:11], 1
	s_and_b64 vcc, exec, s[0:1]
	s_cbranch_vccnz .LBB35_20
; %bb.2:
	s_load_dword s0, s[4:5], 0xd3c
	v_mov_b32_e32 v2, 0x10000
	v_mov_b32_e32 v3, 0
	v_cmp_lt_u64_e32 vcc, s[10:11], v[2:3]
	v_lshlrev_b32_e32 v1, 1, v0
	s_waitcnt lgkmcnt(0)
	s_and_b32 s2, s0, 0xffff
	s_and_b64 s[0:1], vcc, exec
	s_cselect_b32 s17, s11, 0
	s_cselect_b32 s16, s10, 0x10000
	s_lshl_b32 s3, s2, 1
	s_lshl_b32 s24, s2, 2
	s_add_u32 s6, s12, s14
	s_addc_u32 s7, s13, s15
	v_mov_b32_e32 v5, s7
	v_add_co_u32_e32 v4, vcc, s6, v1
	s_mul_i32 s0, s2, 3
	v_addc_co_u32_e32 v5, vcc, 0, v5, vcc
	v_add_co_u32_e32 v1, vcc, s0, v0
	v_addc_co_u32_e64 v10, s[0:1], 0, 0, vcc
	v_add_co_u32_e32 v11, vcc, s3, v0
	v_addc_co_u32_e64 v12, s[0:1], 0, 0, vcc
	v_add_co_u32_e32 v13, vcc, s2, v0
	v_lshlrev_b32_e32 v6, 1, v13
	s_mov_b32 s23, 0
	v_addc_co_u32_e64 v14, s[0:1], 0, 0, vcc
	v_mov_b32_e32 v7, s7
	v_add_co_u32_e32 v6, vcc, s6, v6
	s_lshl_b32 s25, s2, 3
	s_mul_i32 s26, s2, 6
	s_mov_b32 s27, s23
	v_addc_co_u32_e32 v7, vcc, 0, v7, vcc
	s_mov_b64 s[18:19], 0
	s_movk_i32 s28, 0x7fff
	v_pk_mov_b32 v[8:9], s[10:11], s[10:11] op_sel:[0,1]
	v_mov_b32_e32 v15, s23
	v_mov_b32_e32 v16, 0x7fc0
	s_branch .LBB35_4
.LBB35_3:                               ;   in Loop: Header=BB35_4 Depth=1
	s_or_b64 exec, exec, s[0:1]
	s_add_u32 s18, s18, s24
	s_addc_u32 s19, s19, 0
	v_cmp_lt_i64_e32 vcc, s[18:19], v[8:9]
	v_cmp_lt_u64_e64 s[0:1], s[18:19], v[2:3]
	s_and_b64 s[0:1], vcc, s[0:1]
	v_add_co_u32_e32 v4, vcc, s25, v4
	v_addc_co_u32_e32 v5, vcc, v5, v15, vcc
	v_add_co_u32_e32 v6, vcc, s25, v6
	v_addc_co_u32_e32 v7, vcc, v7, v15, vcc
	s_and_b64 vcc, exec, s[0:1]
	s_cbranch_vccz .LBB35_20
.LBB35_4:                               ; =>This Inner Loop Header: Depth=1
	s_waitcnt vmcnt(0)
	v_mov_b32_e32 v17, s19
	v_add_co_u32_e32 v18, vcc, s18, v0
	v_addc_co_u32_e32 v19, vcc, 0, v17, vcc
	v_cmp_gt_u64_e32 vcc, s[16:17], v[18:19]
	v_mov_b32_e32 v18, 0
	s_and_saveexec_b64 s[0:1], vcc
	s_cbranch_execz .LBB35_6
; %bb.5:                                ;   in Loop: Header=BB35_4 Depth=1
	global_load_ushort v18, v[4:5], off
.LBB35_6:                               ;   in Loop: Header=BB35_4 Depth=1
	s_or_b64 exec, exec, s[0:1]
	v_mov_b32_e32 v17, s19
	v_add_co_u32_e64 v20, s[0:1], s18, v13
	v_addc_co_u32_e64 v21, s[0:1], v14, v17, s[0:1]
	v_cmp_gt_u64_e64 s[0:1], s[16:17], v[20:21]
	v_mov_b32_e32 v19, 0
	s_and_saveexec_b64 s[2:3], s[0:1]
	s_cbranch_execz .LBB35_8
; %bb.7:                                ;   in Loop: Header=BB35_4 Depth=1
	global_load_ushort v19, v[6:7], off
.LBB35_8:                               ;   in Loop: Header=BB35_4 Depth=1
	s_or_b64 exec, exec, s[2:3]
	v_mov_b32_e32 v17, s19
	v_add_co_u32_e64 v20, s[2:3], s18, v11
	v_addc_co_u32_e64 v21, s[2:3], v12, v17, s[2:3]
	v_cmp_gt_u64_e64 s[2:3], s[16:17], v[20:21]
	v_mov_b32_e32 v17, 0
	v_mov_b32_e32 v20, 0
	s_and_saveexec_b64 s[8:9], s[2:3]
	s_cbranch_execz .LBB35_10
; %bb.9:                                ;   in Loop: Header=BB35_4 Depth=1
	v_mov_b32_e32 v21, s23
	v_add_co_u32_e64 v20, s[6:7], s24, v4
	v_addc_co_u32_e64 v21, s[6:7], v5, v21, s[6:7]
	global_load_ushort v20, v[20:21], off
.LBB35_10:                              ;   in Loop: Header=BB35_4 Depth=1
	s_or_b64 exec, exec, s[8:9]
	v_mov_b32_e32 v21, s19
	v_add_co_u32_e64 v22, s[6:7], s18, v1
	v_addc_co_u32_e64 v23, s[6:7], v10, v21, s[6:7]
	v_cmp_gt_u64_e64 s[6:7], s[16:17], v[22:23]
	s_and_saveexec_b64 s[20:21], s[6:7]
	s_cbranch_execnz .LBB35_15
; %bb.11:                               ;   in Loop: Header=BB35_4 Depth=1
	s_or_b64 exec, exec, s[20:21]
	s_and_saveexec_b64 s[8:9], vcc
	s_cbranch_execnz .LBB35_16
.LBB35_12:                              ;   in Loop: Header=BB35_4 Depth=1
	s_or_b64 exec, exec, s[8:9]
	s_and_saveexec_b64 s[8:9], s[0:1]
	s_cbranch_execnz .LBB35_17
.LBB35_13:                              ;   in Loop: Header=BB35_4 Depth=1
	s_or_b64 exec, exec, s[8:9]
	s_and_saveexec_b64 s[0:1], s[2:3]
	s_cbranch_execnz .LBB35_18
.LBB35_14:                              ;   in Loop: Header=BB35_4 Depth=1
	s_or_b64 exec, exec, s[0:1]
	s_and_saveexec_b64 s[0:1], s[6:7]
	s_cbranch_execz .LBB35_3
	s_branch .LBB35_19
.LBB35_15:                              ;   in Loop: Header=BB35_4 Depth=1
	v_mov_b32_e32 v17, s27
	v_add_co_u32_e64 v22, s[8:9], s26, v4
	v_addc_co_u32_e64 v23, s[8:9], v5, v17, s[8:9]
	global_load_ushort v17, v[22:23], off
	s_or_b64 exec, exec, s[20:21]
	s_and_saveexec_b64 s[8:9], vcc
	s_cbranch_execz .LBB35_12
.LBB35_16:                              ;   in Loop: Header=BB35_4 Depth=1
	s_waitcnt vmcnt(0)
	v_lshlrev_b32_e32 v18, 16, v18
	v_mul_f32_e32 v18, s22, v18
	v_bfe_u32 v21, v18, 16, 1
	v_add3_u32 v21, v18, v21, s28
	v_lshrrev_b32_e32 v21, 16, v21
	v_cmp_o_f32_e32 vcc, v18, v18
	v_cndmask_b32_e32 v18, v16, v21, vcc
	global_store_short v[4:5], v18, off
	s_or_b64 exec, exec, s[8:9]
	s_and_saveexec_b64 s[8:9], s[0:1]
	s_cbranch_execz .LBB35_13
.LBB35_17:                              ;   in Loop: Header=BB35_4 Depth=1
	s_waitcnt vmcnt(0)
	v_lshlrev_b32_e32 v18, 16, v19
	v_mul_f32_e32 v18, s22, v18
	v_bfe_u32 v19, v18, 16, 1
	v_add3_u32 v19, v18, v19, s28
	v_lshrrev_b32_e32 v19, 16, v19
	v_cmp_o_f32_e32 vcc, v18, v18
	v_cndmask_b32_e32 v18, v16, v19, vcc
	global_store_short v[6:7], v18, off
	s_or_b64 exec, exec, s[8:9]
	s_and_saveexec_b64 s[0:1], s[2:3]
	s_cbranch_execz .LBB35_14
.LBB35_18:                              ;   in Loop: Header=BB35_4 Depth=1
	s_waitcnt vmcnt(0)
	v_lshlrev_b32_e32 v18, 16, v20
	v_mul_f32_e32 v18, s22, v18
	v_bfe_u32 v19, v18, 16, 1
	v_add3_u32 v19, v18, v19, s28
	v_lshrrev_b32_e32 v19, 16, v19
	v_cmp_o_f32_e32 vcc, v18, v18
	v_cndmask_b32_e32 v20, v16, v19, vcc
	v_mov_b32_e32 v19, s23
	v_add_co_u32_e32 v18, vcc, s24, v4
	v_addc_co_u32_e32 v19, vcc, v5, v19, vcc
	global_store_short v[18:19], v20, off
	s_or_b64 exec, exec, s[0:1]
	s_and_saveexec_b64 s[0:1], s[6:7]
	s_cbranch_execz .LBB35_3
.LBB35_19:                              ;   in Loop: Header=BB35_4 Depth=1
	s_waitcnt vmcnt(0)
	v_lshlrev_b32_e32 v17, 16, v17
	v_mul_f32_e32 v17, s22, v17
	v_bfe_u32 v18, v17, 16, 1
	v_add3_u32 v18, v17, v18, s28
	v_lshrrev_b32_e32 v18, 16, v18
	v_cmp_o_f32_e32 vcc, v17, v17
	v_cndmask_b32_e32 v17, v16, v18, vcc
	v_mov_b32_e32 v19, s27
	v_add_co_u32_e32 v18, vcc, s26, v4
	v_addc_co_u32_e32 v19, vcc, v5, v19, vcc
	global_store_short v[18:19], v17, off
	s_branch .LBB35_3
.LBB35_20:
	s_cbranch_execz .LBB35_22
	s_branch .LBB35_25
.LBB35_21:
.LBB35_22:
	v_mov_b32_e32 v3, 0
	v_lshlrev_b32_e32 v2, 2, v0
	s_mov_b32 s0, 0
	v_cmp_gt_i64_e32 vcc, s[10:11], v[2:3]
	s_and_saveexec_b64 s[2:3], vcc
	s_cbranch_execz .LBB35_25
; %bb.23:
	s_load_dword s1, s[4:5], 0xd3c
	v_lshlrev_b32_e32 v1, 3, v0
	s_movk_i32 s8, 0x7fff
	s_mov_b64 s[4:5], 0xffff
	v_mov_b32_e32 v6, s0
	s_waitcnt lgkmcnt(0)
	s_and_b32 s1, s1, 0xffff
	s_add_u32 s2, s12, s14
	s_addc_u32 s3, s13, s15
	v_mov_b32_e32 v2, s3
	v_add_co_u32_e32 v4, vcc, s2, v1
	v_addc_co_u32_e32 v5, vcc, 0, v2, vcc
	s_lshl_b32 s6, s1, 3
	v_add_lshl_u32 v2, v0, s1, 2
	s_lshl_b32 s7, s1, 2
	s_mov_b64 s[2:3], 0
	v_mov_b32_e32 v0, 0x7fc00000
	v_mov_b32_e32 v1, 0x7fc0
	;; [unrolled: 1-line block ×3, first 2 shown]
.LBB35_24:                              ; =>This Inner Loop Header: Depth=1
	global_load_dwordx2 v[8:9], v[4:5], off
	v_cmp_le_i64_e32 vcc, s[10:11], v[2:3]
	v_cmp_lt_u64_e64 s[0:1], s[4:5], v[2:3]
	s_or_b64 s[0:1], vcc, s[0:1]
	s_and_b64 s[0:1], exec, s[0:1]
	s_or_b64 s[2:3], s[0:1], s[2:3]
	s_waitcnt vmcnt(0)
	v_lshlrev_b32_e32 v10, 16, v8
	v_and_b32_e32 v11, 0xffff0000, v8
	v_alignbit_b32 v8, v9, v8, 16
	v_and_b32_e32 v9, 0xffff0000, v9
	v_mul_f32_e32 v9, s22, v9
	v_mul_f32_e32 v11, s22, v11
	v_bfe_u32 v14, v9, 16, 1
	v_mul_f32_e32 v10, s22, v10
	v_and_b32_e32 v8, 0xffff0000, v8
	v_bfe_u32 v13, v11, 16, 1
	v_add3_u32 v14, v9, v14, s8
	v_bfe_u32 v12, v10, 16, 1
	v_mul_f32_e32 v8, s22, v8
	v_add3_u32 v13, v11, v13, s8
	v_and_b32_e32 v14, 0xffff0000, v14
	v_cmp_o_f32_e32 vcc, v9, v9
	v_add3_u32 v12, v10, v12, s8
	v_bfe_u32 v15, v8, 16, 1
	v_and_b32_e32 v13, 0xffff0000, v13
	v_cndmask_b32_e32 v9, v0, v14, vcc
	v_cmp_o_f32_e32 vcc, v11, v11
	v_lshrrev_b32_e32 v12, 16, v12
	v_add3_u32 v15, v8, v15, s8
	v_cndmask_b32_e32 v11, v0, v13, vcc
	v_cmp_o_f32_e32 vcc, v10, v10
	v_lshrrev_b32_e32 v15, 16, v15
	v_cndmask_b32_e32 v10, v1, v12, vcc
	v_cmp_o_f32_e32 vcc, v8, v8
	v_cndmask_b32_e32 v8, v1, v15, vcc
	v_or_b32_e32 v10, v10, v11
	v_or3_b32 v9, 0, v8, v9
	v_or3_b32 v8, v10, 0, 0
	global_store_dwordx2 v[4:5], v[8:9], off
	v_add_co_u32_e32 v4, vcc, s6, v4
	v_addc_co_u32_e32 v5, vcc, v5, v6, vcc
	v_add_co_u32_e32 v2, vcc, s7, v2
	v_addc_co_u32_e32 v3, vcc, v3, v7, vcc
	s_andn2_b64 exec, exec, s[2:3]
	s_cbranch_execnz .LBB35_24
.LBB35_25:
	s_endpgm
	.section	.rodata,"a",@progbits
	.p2align	6, 0x0
	.amdhsa_kernel _ZN2at6native12_GLOBAL__N_125multi_tensor_apply_kernelINS1_18TensorListMetadataILi1EEENS1_21BinaryOpScalarFunctorIN3c108BFloat16ELi1ELi1ELi0EEEJSt10multipliesIfEfEEEvT_T0_DpT1_
		.amdhsa_group_segment_fixed_size 0
		.amdhsa_private_segment_fixed_size 0
		.amdhsa_kernarg_size 3632
		.amdhsa_user_sgpr_count 6
		.amdhsa_user_sgpr_private_segment_buffer 1
		.amdhsa_user_sgpr_dispatch_ptr 0
		.amdhsa_user_sgpr_queue_ptr 0
		.amdhsa_user_sgpr_kernarg_segment_ptr 1
		.amdhsa_user_sgpr_dispatch_id 0
		.amdhsa_user_sgpr_flat_scratch_init 0
		.amdhsa_user_sgpr_kernarg_preload_length 0
		.amdhsa_user_sgpr_kernarg_preload_offset 0
		.amdhsa_user_sgpr_private_segment_size 0
		.amdhsa_uses_dynamic_stack 0
		.amdhsa_system_sgpr_private_segment_wavefront_offset 0
		.amdhsa_system_sgpr_workgroup_id_x 1
		.amdhsa_system_sgpr_workgroup_id_y 0
		.amdhsa_system_sgpr_workgroup_id_z 0
		.amdhsa_system_sgpr_workgroup_info 0
		.amdhsa_system_vgpr_workitem_id 0
		.amdhsa_next_free_vgpr 24
		.amdhsa_next_free_sgpr 29
		.amdhsa_accum_offset 24
		.amdhsa_reserve_vcc 1
		.amdhsa_reserve_flat_scratch 0
		.amdhsa_float_round_mode_32 0
		.amdhsa_float_round_mode_16_64 0
		.amdhsa_float_denorm_mode_32 3
		.amdhsa_float_denorm_mode_16_64 3
		.amdhsa_dx10_clamp 1
		.amdhsa_ieee_mode 1
		.amdhsa_fp16_overflow 0
		.amdhsa_tg_split 0
		.amdhsa_exception_fp_ieee_invalid_op 0
		.amdhsa_exception_fp_denorm_src 0
		.amdhsa_exception_fp_ieee_div_zero 0
		.amdhsa_exception_fp_ieee_overflow 0
		.amdhsa_exception_fp_ieee_underflow 0
		.amdhsa_exception_fp_ieee_inexact 0
		.amdhsa_exception_int_div_zero 0
	.end_amdhsa_kernel
	.section	.text._ZN2at6native12_GLOBAL__N_125multi_tensor_apply_kernelINS1_18TensorListMetadataILi1EEENS1_21BinaryOpScalarFunctorIN3c108BFloat16ELi1ELi1ELi0EEEJSt10multipliesIfEfEEEvT_T0_DpT1_,"axG",@progbits,_ZN2at6native12_GLOBAL__N_125multi_tensor_apply_kernelINS1_18TensorListMetadataILi1EEENS1_21BinaryOpScalarFunctorIN3c108BFloat16ELi1ELi1ELi0EEEJSt10multipliesIfEfEEEvT_T0_DpT1_,comdat
.Lfunc_end35:
	.size	_ZN2at6native12_GLOBAL__N_125multi_tensor_apply_kernelINS1_18TensorListMetadataILi1EEENS1_21BinaryOpScalarFunctorIN3c108BFloat16ELi1ELi1ELi0EEEJSt10multipliesIfEfEEEvT_T0_DpT1_, .Lfunc_end35-_ZN2at6native12_GLOBAL__N_125multi_tensor_apply_kernelINS1_18TensorListMetadataILi1EEENS1_21BinaryOpScalarFunctorIN3c108BFloat16ELi1ELi1ELi0EEEJSt10multipliesIfEfEEEvT_T0_DpT1_
                                        ; -- End function
	.section	.AMDGPU.csdata,"",@progbits
; Kernel info:
; codeLenInByte = 1340
; NumSgprs: 33
; NumVgprs: 24
; NumAgprs: 0
; TotalNumVgprs: 24
; ScratchSize: 0
; MemoryBound: 0
; FloatMode: 240
; IeeeMode: 1
; LDSByteSize: 0 bytes/workgroup (compile time only)
; SGPRBlocks: 4
; VGPRBlocks: 2
; NumSGPRsForWavesPerEU: 33
; NumVGPRsForWavesPerEU: 24
; AccumOffset: 24
; Occupancy: 8
; WaveLimiterHint : 0
; COMPUTE_PGM_RSRC2:SCRATCH_EN: 0
; COMPUTE_PGM_RSRC2:USER_SGPR: 6
; COMPUTE_PGM_RSRC2:TRAP_HANDLER: 0
; COMPUTE_PGM_RSRC2:TGID_X_EN: 1
; COMPUTE_PGM_RSRC2:TGID_Y_EN: 0
; COMPUTE_PGM_RSRC2:TGID_Z_EN: 0
; COMPUTE_PGM_RSRC2:TIDIG_COMP_CNT: 0
; COMPUTE_PGM_RSRC3_GFX90A:ACCUM_OFFSET: 5
; COMPUTE_PGM_RSRC3_GFX90A:TG_SPLIT: 0
	.section	.text._ZN2at6native12_GLOBAL__N_125multi_tensor_apply_kernelINS1_18TensorListMetadataILi2EEENS1_21BinaryOpScalarFunctorIhLi2ELi1ELi1EEEJSt10multipliesIhEhEEEvT_T0_DpT1_,"axG",@progbits,_ZN2at6native12_GLOBAL__N_125multi_tensor_apply_kernelINS1_18TensorListMetadataILi2EEENS1_21BinaryOpScalarFunctorIhLi2ELi1ELi1EEEJSt10multipliesIhEhEEEvT_T0_DpT1_,comdat
	.globl	_ZN2at6native12_GLOBAL__N_125multi_tensor_apply_kernelINS1_18TensorListMetadataILi2EEENS1_21BinaryOpScalarFunctorIhLi2ELi1ELi1EEEJSt10multipliesIhEhEEEvT_T0_DpT1_ ; -- Begin function _ZN2at6native12_GLOBAL__N_125multi_tensor_apply_kernelINS1_18TensorListMetadataILi2EEENS1_21BinaryOpScalarFunctorIhLi2ELi1ELi1EEEJSt10multipliesIhEhEEEvT_T0_DpT1_
	.p2align	8
	.type	_ZN2at6native12_GLOBAL__N_125multi_tensor_apply_kernelINS1_18TensorListMetadataILi2EEENS1_21BinaryOpScalarFunctorIhLi2ELi1ELi1EEEJSt10multipliesIhEhEEEvT_T0_DpT1_,@function
_ZN2at6native12_GLOBAL__N_125multi_tensor_apply_kernelINS1_18TensorListMetadataILi2EEENS1_21BinaryOpScalarFunctorIhLi2ELi1ELi1EEEJSt10multipliesIhEhEEEvT_T0_DpT1_: ; @_ZN2at6native12_GLOBAL__N_125multi_tensor_apply_kernelINS1_18TensorListMetadataILi2EEENS1_21BinaryOpScalarFunctorIhLi2ELi1ELi1EEEJSt10multipliesIhEhEEEvT_T0_DpT1_
; %bb.0:
	v_mov_b32_e32 v1, s6
	global_load_ubyte v1, v1, s[4:5] offset:1536
	s_add_u32 s0, s4, s6
	s_mul_hi_u32 s1, s6, 3
	s_mul_i32 s6, s6, 3
	s_addc_u32 s2, s5, 0
	s_add_u32 s0, s0, s6
	s_addc_u32 s1, s2, s1
	s_load_dword s6, s[0:1], 0x740
	s_waitcnt vmcnt(0)
	v_readfirstlane_b32 s0, v1
	s_lshl_b32 s7, s0, 3
	s_load_dwordx2 s[0:1], s[4:5], s7 offset:0x0
	s_load_dword s21, s[4:5], 0xc48
	s_load_dwordx2 s[8:9], s[4:5], s7 offset:0x400
	s_load_dwordx2 s[2:3], s[4:5], s7 offset:0x200
	s_waitcnt lgkmcnt(0)
	s_ashr_i32 s7, s6, 31
	s_lshl_b64 s[6:7], s[6:7], 16
	s_add_u32 s10, s0, s6
	s_addc_u32 s11, s1, s7
	s_add_u32 s20, s2, s6
	s_addc_u32 s22, s3, s7
	s_or_b64 s[12:13], s[8:9], s[10:11]
	s_or_b32 s12, s20, s12
	s_and_b32 s14, s12, 3
	s_sub_u32 s12, s8, s6
	s_subb_u32 s13, s9, s7
	s_cmp_eq_u32 s14, 0
	s_mov_b64 s[8:9], -1
	s_cbranch_scc1 .LBB36_21
; %bb.1:
	v_cmp_lt_i64_e64 s[8:9], s[12:13], 1
	s_and_b64 vcc, exec, s[8:9]
	s_cbranch_vccnz .LBB36_20
; %bb.2:
	s_load_dword s8, s[4:5], 0xc5c
	v_mov_b32_e32 v2, 0x10000
	v_mov_b32_e32 v3, 0
	v_cmp_lt_u64_e32 vcc, s[12:13], v[2:3]
	v_mov_b32_e32 v1, s7
	s_waitcnt lgkmcnt(0)
	s_and_b32 s16, s8, 0xffff
	s_and_b64 s[8:9], vcc, exec
	v_add_co_u32_e32 v2, vcc, s6, v0
	v_addc_co_u32_e32 v3, vcc, 0, v1, vcc
	v_mov_b32_e32 v20, s1
	v_add_co_u32_e32 v1, vcc, s0, v2
	s_cselect_b32 s15, s13, 0
	s_cselect_b32 s14, s12, 0x10000
	s_lshl_b32 s17, s16, 1
	s_mul_i32 s8, s16, 3
	s_lshl_b32 s23, s16, 2
	v_addc_co_u32_e32 v4, vcc, v20, v3, vcc
	v_mov_b32_e32 v22, s3
	v_add_co_u32_e32 v5, vcc, s2, v2
	s_add_u32 s1, s6, s8
	v_addc_co_u32_e32 v6, vcc, v22, v3, vcc
	s_addc_u32 s3, s7, 0
	v_mov_b32_e32 v7, s3
	v_add_co_u32_e32 v9, vcc, s1, v0
	v_addc_co_u32_e32 v10, vcc, 0, v7, vcc
	v_add_co_u32_e32 v7, vcc, s0, v9
	v_addc_co_u32_e32 v8, vcc, v20, v10, vcc
	;; [unrolled: 2-line block ×3, first 2 shown]
	s_add_u32 s1, s6, s17
	v_add_co_u32_e32 v11, vcc, s8, v0
	s_addc_u32 s3, s7, 0
	v_addc_co_u32_e64 v12, s[8:9], 0, 0, vcc
	v_mov_b32_e32 v13, s3
	v_add_co_u32_e32 v15, vcc, s1, v0
	v_addc_co_u32_e32 v16, vcc, 0, v13, vcc
	v_add_co_u32_e32 v13, vcc, s0, v15
	v_addc_co_u32_e32 v14, vcc, v20, v16, vcc
	;; [unrolled: 2-line block ×3, first 2 shown]
	v_add_co_u32_e32 v17, vcc, s17, v0
	v_addc_co_u32_e64 v18, s[6:7], 0, 0, vcc
	v_add_co_u32_e32 v2, vcc, s16, v2
	v_addc_co_u32_e32 v3, vcc, 0, v3, vcc
	v_add_co_u32_e32 v19, vcc, s0, v2
	v_addc_co_u32_e32 v20, vcc, v20, v3, vcc
	;; [unrolled: 2-line block ×3, first 2 shown]
	v_add_co_u32_e32 v23, vcc, s16, v0
	v_addc_co_u32_e64 v24, s[0:1], 0, 0, vcc
	s_mov_b64 s[16:17], 0
	s_lshr_b32 s24, s21, 16
	v_pk_mov_b32 v[2:3], s[12:13], s[12:13] op_sel:[0,1]
	s_branch .LBB36_4
.LBB36_3:                               ;   in Loop: Header=BB36_4 Depth=1
	s_or_b64 exec, exec, s[0:1]
	s_add_u32 s16, s16, s23
	s_waitcnt vmcnt(0)
	v_mov_b32_e32 v26, 0x10000
	s_addc_u32 s17, s17, 0
	v_mov_b32_e32 v27, 0
	v_cmp_lt_i64_e32 vcc, s[16:17], v[2:3]
	v_cmp_lt_u64_e64 s[0:1], s[16:17], v[26:27]
	s_and_b64 s[0:1], vcc, s[0:1]
	s_and_b64 vcc, exec, s[0:1]
	s_cbranch_vccz .LBB36_20
.LBB36_4:                               ; =>This Inner Loop Header: Depth=1
	v_mov_b32_e32 v25, s17
	v_add_co_u32_e32 v26, vcc, s16, v0
	v_addc_co_u32_e32 v27, vcc, 0, v25, vcc
	v_cmp_gt_u64_e32 vcc, s[14:15], v[26:27]
	v_mov_b32_e32 v25, 0
	s_and_saveexec_b64 s[2:3], vcc
	s_cbranch_execz .LBB36_6
; %bb.5:                                ;   in Loop: Header=BB36_4 Depth=1
	v_mov_b32_e32 v25, s17
	v_add_co_u32_e64 v26, s[0:1], s16, v1
	v_addc_co_u32_e64 v27, s[0:1], v4, v25, s[0:1]
	global_load_ubyte v25, v[26:27], off
.LBB36_6:                               ;   in Loop: Header=BB36_4 Depth=1
	s_or_b64 exec, exec, s[2:3]
	v_mov_b32_e32 v27, s17
	v_add_co_u32_e64 v26, s[0:1], s16, v23
	v_addc_co_u32_e64 v27, s[0:1], v24, v27, s[0:1]
	v_cmp_gt_u64_e64 s[0:1], s[14:15], v[26:27]
	v_mov_b32_e32 v27, 0
	s_and_saveexec_b64 s[6:7], s[0:1]
	s_cbranch_execz .LBB36_8
; %bb.7:                                ;   in Loop: Header=BB36_4 Depth=1
	v_mov_b32_e32 v27, s17
	v_add_co_u32_e64 v26, s[2:3], s16, v19
	v_addc_co_u32_e64 v27, s[2:3], v20, v27, s[2:3]
	global_load_ubyte v27, v[26:27], off
.LBB36_8:                               ;   in Loop: Header=BB36_4 Depth=1
	s_or_b64 exec, exec, s[6:7]
	v_mov_b32_e32 v26, s17
	v_add_co_u32_e64 v28, s[2:3], s16, v17
	v_addc_co_u32_e64 v29, s[2:3], v18, v26, s[2:3]
	v_cmp_gt_u64_e64 s[2:3], s[14:15], v[28:29]
	v_mov_b32_e32 v26, 0
	v_mov_b32_e32 v28, 0
	s_and_saveexec_b64 s[8:9], s[2:3]
	s_cbranch_execz .LBB36_10
; %bb.9:                                ;   in Loop: Header=BB36_4 Depth=1
	v_mov_b32_e32 v29, s17
	v_add_co_u32_e64 v28, s[6:7], s16, v13
	v_addc_co_u32_e64 v29, s[6:7], v14, v29, s[6:7]
	global_load_ubyte v28, v[28:29], off
.LBB36_10:                              ;   in Loop: Header=BB36_4 Depth=1
	s_or_b64 exec, exec, s[8:9]
	v_mov_b32_e32 v29, s17
	v_add_co_u32_e64 v30, s[6:7], s16, v11
	v_addc_co_u32_e64 v31, s[6:7], v12, v29, s[6:7]
	v_cmp_gt_u64_e64 s[6:7], s[14:15], v[30:31]
	s_and_saveexec_b64 s[18:19], s[6:7]
	s_cbranch_execnz .LBB36_15
; %bb.11:                               ;   in Loop: Header=BB36_4 Depth=1
	s_or_b64 exec, exec, s[18:19]
	s_and_saveexec_b64 s[8:9], vcc
	s_cbranch_execnz .LBB36_16
.LBB36_12:                              ;   in Loop: Header=BB36_4 Depth=1
	s_or_b64 exec, exec, s[8:9]
	s_and_saveexec_b64 s[8:9], s[0:1]
	s_cbranch_execnz .LBB36_17
.LBB36_13:                              ;   in Loop: Header=BB36_4 Depth=1
	s_or_b64 exec, exec, s[8:9]
	s_and_saveexec_b64 s[0:1], s[2:3]
	s_cbranch_execnz .LBB36_18
.LBB36_14:                              ;   in Loop: Header=BB36_4 Depth=1
	s_or_b64 exec, exec, s[0:1]
	s_and_saveexec_b64 s[0:1], s[6:7]
	s_cbranch_execz .LBB36_3
	s_branch .LBB36_19
.LBB36_15:                              ;   in Loop: Header=BB36_4 Depth=1
	v_mov_b32_e32 v26, s17
	v_add_co_u32_e64 v30, s[8:9], s16, v7
	v_addc_co_u32_e64 v31, s[8:9], v8, v26, s[8:9]
	global_load_ubyte v26, v[30:31], off
	s_or_b64 exec, exec, s[18:19]
	s_and_saveexec_b64 s[8:9], vcc
	s_cbranch_execz .LBB36_12
.LBB36_16:                              ;   in Loop: Header=BB36_4 Depth=1
	v_mov_b32_e32 v29, s17
	v_add_co_u32_e32 v30, vcc, s16, v5
	s_waitcnt vmcnt(0)
	v_mul_lo_u16_e32 v25, s24, v25
	v_addc_co_u32_e32 v31, vcc, v6, v29, vcc
	global_store_byte v[30:31], v25, off
	s_or_b64 exec, exec, s[8:9]
	s_and_saveexec_b64 s[8:9], s[0:1]
	s_cbranch_execz .LBB36_13
.LBB36_17:                              ;   in Loop: Header=BB36_4 Depth=1
	s_waitcnt vmcnt(0)
	v_mul_lo_u16_e32 v25, s24, v27
	v_mov_b32_e32 v27, s17
	v_add_co_u32_e32 v30, vcc, s16, v21
	v_addc_co_u32_e32 v31, vcc, v22, v27, vcc
	global_store_byte v[30:31], v25, off
	s_or_b64 exec, exec, s[8:9]
	s_and_saveexec_b64 s[0:1], s[2:3]
	s_cbranch_execz .LBB36_14
.LBB36_18:                              ;   in Loop: Header=BB36_4 Depth=1
	s_waitcnt vmcnt(0)
	v_mul_lo_u16_e32 v25, s24, v28
	v_mov_b32_e32 v27, s17
	v_add_co_u32_e32 v28, vcc, s16, v15
	v_addc_co_u32_e32 v29, vcc, v16, v27, vcc
	global_store_byte v[28:29], v25, off
	s_or_b64 exec, exec, s[0:1]
	s_and_saveexec_b64 s[0:1], s[6:7]
	s_cbranch_execz .LBB36_3
.LBB36_19:                              ;   in Loop: Header=BB36_4 Depth=1
	s_waitcnt vmcnt(0)
	v_mul_lo_u16_e32 v25, s24, v26
	v_mov_b32_e32 v27, s17
	v_add_co_u32_e32 v26, vcc, s16, v9
	v_addc_co_u32_e32 v27, vcc, v10, v27, vcc
	global_store_byte v[26:27], v25, off
	s_branch .LBB36_3
.LBB36_20:
	s_mov_b64 s[8:9], 0
.LBB36_21:
	s_andn2_b64 vcc, exec, s[8:9]
	s_cbranch_vccnz .LBB36_25
; %bb.22:
	v_lshlrev_b32_e32 v0, 2, v0
	v_mov_b32_e32 v1, 0
	v_cmp_gt_i64_e32 vcc, s[12:13], v[0:1]
	s_and_saveexec_b64 s[0:1], vcc
	s_cbranch_execz .LBB36_25
; %bb.23:
	s_load_dword s0, s[4:5], 0xc5c
	s_mov_b32 s1, 0
	s_mov_b64 s[2:3], 0
	s_lshr_b32 s6, s21, 16
	v_mov_b32_e32 v2, s11
	s_waitcnt lgkmcnt(0)
	s_and_b32 s0, s0, 0xffff
	s_lshl_b32 s7, s0, 2
	v_mov_b32_e32 v3, s22
	v_mov_b32_e32 v4, s1
	s_mov_b64 s[4:5], 0xffff
	v_mov_b32_e32 v5, 8
.LBB36_24:                              ; =>This Inner Loop Header: Depth=1
	v_add_co_u32_e32 v6, vcc, s10, v0
	v_addc_co_u32_e32 v7, vcc, v2, v1, vcc
	global_load_dword v8, v[6:7], off
	v_add_co_u32_e32 v6, vcc, s20, v0
	v_addc_co_u32_e32 v7, vcc, v3, v1, vcc
	v_add_co_u32_e32 v0, vcc, s7, v0
	v_addc_co_u32_e32 v1, vcc, v4, v1, vcc
	v_cmp_le_i64_e32 vcc, s[12:13], v[0:1]
	v_cmp_lt_u64_e64 s[0:1], s[4:5], v[0:1]
	s_or_b64 s[0:1], vcc, s[0:1]
	s_and_b64 s[0:1], exec, s[0:1]
	s_or_b64 s[2:3], s[0:1], s[2:3]
	s_waitcnt vmcnt(0)
	v_mul_lo_u16_sdwa v11, v8, s6 dst_sel:DWORD dst_unused:UNUSED_PAD src0_sel:WORD_1 src1_sel:DWORD
	v_lshrrev_b32_e32 v10, 8, v8
	v_and_b32_e32 v11, 0xff, v11
	v_mul_lo_u16_e32 v9, s6, v8
	v_mul_lo_u16_sdwa v8, v8, s6 dst_sel:DWORD dst_unused:UNUSED_PAD src0_sel:BYTE_3 src1_sel:DWORD
	v_mul_lo_u16_e32 v10, s6, v10
	v_lshlrev_b32_e32 v11, 16, v11
	v_and_b32_e32 v9, 0xff, v9
	v_lshlrev_b32_sdwa v10, v5, v10 dst_sel:DWORD dst_unused:UNUSED_PAD src0_sel:DWORD src1_sel:BYTE_0
	v_lshl_or_b32 v8, v8, 24, v11
	v_or3_b32 v8, v8, v10, v9
	global_store_dword v[6:7], v8, off
	s_andn2_b64 exec, exec, s[2:3]
	s_cbranch_execnz .LBB36_24
.LBB36_25:
	s_endpgm
	.section	.rodata,"a",@progbits
	.p2align	6, 0x0
	.amdhsa_kernel _ZN2at6native12_GLOBAL__N_125multi_tensor_apply_kernelINS1_18TensorListMetadataILi2EEENS1_21BinaryOpScalarFunctorIhLi2ELi1ELi1EEEJSt10multipliesIhEhEEEvT_T0_DpT1_
		.amdhsa_group_segment_fixed_size 0
		.amdhsa_private_segment_fixed_size 0
		.amdhsa_kernarg_size 3408
		.amdhsa_user_sgpr_count 6
		.amdhsa_user_sgpr_private_segment_buffer 1
		.amdhsa_user_sgpr_dispatch_ptr 0
		.amdhsa_user_sgpr_queue_ptr 0
		.amdhsa_user_sgpr_kernarg_segment_ptr 1
		.amdhsa_user_sgpr_dispatch_id 0
		.amdhsa_user_sgpr_flat_scratch_init 0
		.amdhsa_user_sgpr_kernarg_preload_length 0
		.amdhsa_user_sgpr_kernarg_preload_offset 0
		.amdhsa_user_sgpr_private_segment_size 0
		.amdhsa_uses_dynamic_stack 0
		.amdhsa_system_sgpr_private_segment_wavefront_offset 0
		.amdhsa_system_sgpr_workgroup_id_x 1
		.amdhsa_system_sgpr_workgroup_id_y 0
		.amdhsa_system_sgpr_workgroup_id_z 0
		.amdhsa_system_sgpr_workgroup_info 0
		.amdhsa_system_vgpr_workitem_id 0
		.amdhsa_next_free_vgpr 32
		.amdhsa_next_free_sgpr 25
		.amdhsa_accum_offset 32
		.amdhsa_reserve_vcc 1
		.amdhsa_reserve_flat_scratch 0
		.amdhsa_float_round_mode_32 0
		.amdhsa_float_round_mode_16_64 0
		.amdhsa_float_denorm_mode_32 3
		.amdhsa_float_denorm_mode_16_64 3
		.amdhsa_dx10_clamp 1
		.amdhsa_ieee_mode 1
		.amdhsa_fp16_overflow 0
		.amdhsa_tg_split 0
		.amdhsa_exception_fp_ieee_invalid_op 0
		.amdhsa_exception_fp_denorm_src 0
		.amdhsa_exception_fp_ieee_div_zero 0
		.amdhsa_exception_fp_ieee_overflow 0
		.amdhsa_exception_fp_ieee_underflow 0
		.amdhsa_exception_fp_ieee_inexact 0
		.amdhsa_exception_int_div_zero 0
	.end_amdhsa_kernel
	.section	.text._ZN2at6native12_GLOBAL__N_125multi_tensor_apply_kernelINS1_18TensorListMetadataILi2EEENS1_21BinaryOpScalarFunctorIhLi2ELi1ELi1EEEJSt10multipliesIhEhEEEvT_T0_DpT1_,"axG",@progbits,_ZN2at6native12_GLOBAL__N_125multi_tensor_apply_kernelINS1_18TensorListMetadataILi2EEENS1_21BinaryOpScalarFunctorIhLi2ELi1ELi1EEEJSt10multipliesIhEhEEEvT_T0_DpT1_,comdat
.Lfunc_end36:
	.size	_ZN2at6native12_GLOBAL__N_125multi_tensor_apply_kernelINS1_18TensorListMetadataILi2EEENS1_21BinaryOpScalarFunctorIhLi2ELi1ELi1EEEJSt10multipliesIhEhEEEvT_T0_DpT1_, .Lfunc_end36-_ZN2at6native12_GLOBAL__N_125multi_tensor_apply_kernelINS1_18TensorListMetadataILi2EEENS1_21BinaryOpScalarFunctorIhLi2ELi1ELi1EEEJSt10multipliesIhEhEEEvT_T0_DpT1_
                                        ; -- End function
	.section	.AMDGPU.csdata,"",@progbits
; Kernel info:
; codeLenInByte = 1200
; NumSgprs: 29
; NumVgprs: 32
; NumAgprs: 0
; TotalNumVgprs: 32
; ScratchSize: 0
; MemoryBound: 0
; FloatMode: 240
; IeeeMode: 1
; LDSByteSize: 0 bytes/workgroup (compile time only)
; SGPRBlocks: 3
; VGPRBlocks: 3
; NumSGPRsForWavesPerEU: 29
; NumVGPRsForWavesPerEU: 32
; AccumOffset: 32
; Occupancy: 8
; WaveLimiterHint : 0
; COMPUTE_PGM_RSRC2:SCRATCH_EN: 0
; COMPUTE_PGM_RSRC2:USER_SGPR: 6
; COMPUTE_PGM_RSRC2:TRAP_HANDLER: 0
; COMPUTE_PGM_RSRC2:TGID_X_EN: 1
; COMPUTE_PGM_RSRC2:TGID_Y_EN: 0
; COMPUTE_PGM_RSRC2:TGID_Z_EN: 0
; COMPUTE_PGM_RSRC2:TIDIG_COMP_CNT: 0
; COMPUTE_PGM_RSRC3_GFX90A:ACCUM_OFFSET: 7
; COMPUTE_PGM_RSRC3_GFX90A:TG_SPLIT: 0
	.section	.text._ZN2at6native12_GLOBAL__N_125multi_tensor_apply_kernelINS1_18TensorListMetadataILi2EEENS1_21BinaryOpScalarFunctorIaLi2ELi1ELi1EEEJSt10multipliesIaEaEEEvT_T0_DpT1_,"axG",@progbits,_ZN2at6native12_GLOBAL__N_125multi_tensor_apply_kernelINS1_18TensorListMetadataILi2EEENS1_21BinaryOpScalarFunctorIaLi2ELi1ELi1EEEJSt10multipliesIaEaEEEvT_T0_DpT1_,comdat
	.globl	_ZN2at6native12_GLOBAL__N_125multi_tensor_apply_kernelINS1_18TensorListMetadataILi2EEENS1_21BinaryOpScalarFunctorIaLi2ELi1ELi1EEEJSt10multipliesIaEaEEEvT_T0_DpT1_ ; -- Begin function _ZN2at6native12_GLOBAL__N_125multi_tensor_apply_kernelINS1_18TensorListMetadataILi2EEENS1_21BinaryOpScalarFunctorIaLi2ELi1ELi1EEEJSt10multipliesIaEaEEEvT_T0_DpT1_
	.p2align	8
	.type	_ZN2at6native12_GLOBAL__N_125multi_tensor_apply_kernelINS1_18TensorListMetadataILi2EEENS1_21BinaryOpScalarFunctorIaLi2ELi1ELi1EEEJSt10multipliesIaEaEEEvT_T0_DpT1_,@function
_ZN2at6native12_GLOBAL__N_125multi_tensor_apply_kernelINS1_18TensorListMetadataILi2EEENS1_21BinaryOpScalarFunctorIaLi2ELi1ELi1EEEJSt10multipliesIaEaEEEvT_T0_DpT1_: ; @_ZN2at6native12_GLOBAL__N_125multi_tensor_apply_kernelINS1_18TensorListMetadataILi2EEENS1_21BinaryOpScalarFunctorIaLi2ELi1ELi1EEEJSt10multipliesIaEaEEEvT_T0_DpT1_
; %bb.0:
	v_mov_b32_e32 v1, s6
	global_load_ubyte v1, v1, s[4:5] offset:1536
	s_add_u32 s0, s4, s6
	s_mul_hi_u32 s1, s6, 3
	s_mul_i32 s6, s6, 3
	s_addc_u32 s2, s5, 0
	s_add_u32 s0, s0, s6
	s_addc_u32 s1, s2, s1
	s_load_dword s6, s[0:1], 0x740
	s_waitcnt vmcnt(0)
	v_readfirstlane_b32 s0, v1
	s_lshl_b32 s7, s0, 3
	s_load_dwordx2 s[0:1], s[4:5], s7 offset:0x0
	s_load_dword s21, s[4:5], 0xc48
	s_load_dwordx2 s[8:9], s[4:5], s7 offset:0x400
	s_load_dwordx2 s[2:3], s[4:5], s7 offset:0x200
	s_waitcnt lgkmcnt(0)
	s_ashr_i32 s7, s6, 31
	s_lshl_b64 s[6:7], s[6:7], 16
	s_add_u32 s10, s0, s6
	s_addc_u32 s11, s1, s7
	s_add_u32 s20, s2, s6
	s_addc_u32 s22, s3, s7
	s_or_b64 s[12:13], s[8:9], s[10:11]
	s_or_b32 s12, s20, s12
	s_and_b32 s14, s12, 3
	s_sub_u32 s12, s8, s6
	s_subb_u32 s13, s9, s7
	s_cmp_eq_u32 s14, 0
	s_mov_b64 s[8:9], -1
	s_cbranch_scc1 .LBB37_21
; %bb.1:
	v_cmp_lt_i64_e64 s[8:9], s[12:13], 1
	s_and_b64 vcc, exec, s[8:9]
	s_cbranch_vccnz .LBB37_20
; %bb.2:
	s_load_dword s8, s[4:5], 0xc5c
	v_mov_b32_e32 v2, 0x10000
	v_mov_b32_e32 v3, 0
	v_cmp_lt_u64_e32 vcc, s[12:13], v[2:3]
	v_mov_b32_e32 v1, s7
	s_waitcnt lgkmcnt(0)
	s_and_b32 s16, s8, 0xffff
	s_and_b64 s[8:9], vcc, exec
	v_add_co_u32_e32 v2, vcc, s6, v0
	v_addc_co_u32_e32 v3, vcc, 0, v1, vcc
	v_mov_b32_e32 v20, s1
	v_add_co_u32_e32 v1, vcc, s0, v2
	s_cselect_b32 s15, s13, 0
	s_cselect_b32 s14, s12, 0x10000
	s_lshl_b32 s17, s16, 1
	s_mul_i32 s8, s16, 3
	s_lshl_b32 s23, s16, 2
	v_addc_co_u32_e32 v4, vcc, v20, v3, vcc
	v_mov_b32_e32 v22, s3
	v_add_co_u32_e32 v5, vcc, s2, v2
	s_add_u32 s1, s6, s8
	v_addc_co_u32_e32 v6, vcc, v22, v3, vcc
	s_addc_u32 s3, s7, 0
	v_mov_b32_e32 v7, s3
	v_add_co_u32_e32 v9, vcc, s1, v0
	v_addc_co_u32_e32 v10, vcc, 0, v7, vcc
	v_add_co_u32_e32 v7, vcc, s0, v9
	v_addc_co_u32_e32 v8, vcc, v20, v10, vcc
	;; [unrolled: 2-line block ×3, first 2 shown]
	s_add_u32 s1, s6, s17
	v_add_co_u32_e32 v11, vcc, s8, v0
	s_addc_u32 s3, s7, 0
	v_addc_co_u32_e64 v12, s[8:9], 0, 0, vcc
	v_mov_b32_e32 v13, s3
	v_add_co_u32_e32 v15, vcc, s1, v0
	v_addc_co_u32_e32 v16, vcc, 0, v13, vcc
	v_add_co_u32_e32 v13, vcc, s0, v15
	v_addc_co_u32_e32 v14, vcc, v20, v16, vcc
	;; [unrolled: 2-line block ×3, first 2 shown]
	v_add_co_u32_e32 v17, vcc, s17, v0
	v_addc_co_u32_e64 v18, s[6:7], 0, 0, vcc
	v_add_co_u32_e32 v2, vcc, s16, v2
	v_addc_co_u32_e32 v3, vcc, 0, v3, vcc
	v_add_co_u32_e32 v19, vcc, s0, v2
	v_addc_co_u32_e32 v20, vcc, v20, v3, vcc
	;; [unrolled: 2-line block ×3, first 2 shown]
	v_add_co_u32_e32 v23, vcc, s16, v0
	v_addc_co_u32_e64 v24, s[0:1], 0, 0, vcc
	s_mov_b64 s[16:17], 0
	s_lshr_b32 s24, s21, 16
	v_pk_mov_b32 v[2:3], s[12:13], s[12:13] op_sel:[0,1]
	s_branch .LBB37_4
.LBB37_3:                               ;   in Loop: Header=BB37_4 Depth=1
	s_or_b64 exec, exec, s[0:1]
	s_add_u32 s16, s16, s23
	s_waitcnt vmcnt(0)
	v_mov_b32_e32 v26, 0x10000
	s_addc_u32 s17, s17, 0
	v_mov_b32_e32 v27, 0
	v_cmp_lt_i64_e32 vcc, s[16:17], v[2:3]
	v_cmp_lt_u64_e64 s[0:1], s[16:17], v[26:27]
	s_and_b64 s[0:1], vcc, s[0:1]
	s_and_b64 vcc, exec, s[0:1]
	s_cbranch_vccz .LBB37_20
.LBB37_4:                               ; =>This Inner Loop Header: Depth=1
	v_mov_b32_e32 v25, s17
	v_add_co_u32_e32 v26, vcc, s16, v0
	v_addc_co_u32_e32 v27, vcc, 0, v25, vcc
	v_cmp_gt_u64_e32 vcc, s[14:15], v[26:27]
	v_mov_b32_e32 v25, 0
	s_and_saveexec_b64 s[2:3], vcc
	s_cbranch_execz .LBB37_6
; %bb.5:                                ;   in Loop: Header=BB37_4 Depth=1
	v_mov_b32_e32 v25, s17
	v_add_co_u32_e64 v26, s[0:1], s16, v1
	v_addc_co_u32_e64 v27, s[0:1], v4, v25, s[0:1]
	global_load_ubyte v25, v[26:27], off
.LBB37_6:                               ;   in Loop: Header=BB37_4 Depth=1
	s_or_b64 exec, exec, s[2:3]
	v_mov_b32_e32 v27, s17
	v_add_co_u32_e64 v26, s[0:1], s16, v23
	v_addc_co_u32_e64 v27, s[0:1], v24, v27, s[0:1]
	v_cmp_gt_u64_e64 s[0:1], s[14:15], v[26:27]
	v_mov_b32_e32 v27, 0
	s_and_saveexec_b64 s[6:7], s[0:1]
	s_cbranch_execz .LBB37_8
; %bb.7:                                ;   in Loop: Header=BB37_4 Depth=1
	v_mov_b32_e32 v27, s17
	v_add_co_u32_e64 v26, s[2:3], s16, v19
	v_addc_co_u32_e64 v27, s[2:3], v20, v27, s[2:3]
	global_load_ubyte v27, v[26:27], off
.LBB37_8:                               ;   in Loop: Header=BB37_4 Depth=1
	s_or_b64 exec, exec, s[6:7]
	v_mov_b32_e32 v26, s17
	v_add_co_u32_e64 v28, s[2:3], s16, v17
	v_addc_co_u32_e64 v29, s[2:3], v18, v26, s[2:3]
	v_cmp_gt_u64_e64 s[2:3], s[14:15], v[28:29]
	v_mov_b32_e32 v26, 0
	v_mov_b32_e32 v28, 0
	s_and_saveexec_b64 s[8:9], s[2:3]
	s_cbranch_execz .LBB37_10
; %bb.9:                                ;   in Loop: Header=BB37_4 Depth=1
	v_mov_b32_e32 v29, s17
	v_add_co_u32_e64 v28, s[6:7], s16, v13
	v_addc_co_u32_e64 v29, s[6:7], v14, v29, s[6:7]
	global_load_ubyte v28, v[28:29], off
.LBB37_10:                              ;   in Loop: Header=BB37_4 Depth=1
	s_or_b64 exec, exec, s[8:9]
	v_mov_b32_e32 v29, s17
	v_add_co_u32_e64 v30, s[6:7], s16, v11
	v_addc_co_u32_e64 v31, s[6:7], v12, v29, s[6:7]
	v_cmp_gt_u64_e64 s[6:7], s[14:15], v[30:31]
	s_and_saveexec_b64 s[18:19], s[6:7]
	s_cbranch_execnz .LBB37_15
; %bb.11:                               ;   in Loop: Header=BB37_4 Depth=1
	s_or_b64 exec, exec, s[18:19]
	s_and_saveexec_b64 s[8:9], vcc
	s_cbranch_execnz .LBB37_16
.LBB37_12:                              ;   in Loop: Header=BB37_4 Depth=1
	s_or_b64 exec, exec, s[8:9]
	s_and_saveexec_b64 s[8:9], s[0:1]
	s_cbranch_execnz .LBB37_17
.LBB37_13:                              ;   in Loop: Header=BB37_4 Depth=1
	s_or_b64 exec, exec, s[8:9]
	s_and_saveexec_b64 s[0:1], s[2:3]
	s_cbranch_execnz .LBB37_18
.LBB37_14:                              ;   in Loop: Header=BB37_4 Depth=1
	s_or_b64 exec, exec, s[0:1]
	s_and_saveexec_b64 s[0:1], s[6:7]
	s_cbranch_execz .LBB37_3
	s_branch .LBB37_19
.LBB37_15:                              ;   in Loop: Header=BB37_4 Depth=1
	v_mov_b32_e32 v26, s17
	v_add_co_u32_e64 v30, s[8:9], s16, v7
	v_addc_co_u32_e64 v31, s[8:9], v8, v26, s[8:9]
	global_load_ubyte v26, v[30:31], off
	s_or_b64 exec, exec, s[18:19]
	s_and_saveexec_b64 s[8:9], vcc
	s_cbranch_execz .LBB37_12
.LBB37_16:                              ;   in Loop: Header=BB37_4 Depth=1
	v_mov_b32_e32 v29, s17
	v_add_co_u32_e32 v30, vcc, s16, v5
	s_waitcnt vmcnt(0)
	v_mul_lo_u16_e32 v25, s24, v25
	v_addc_co_u32_e32 v31, vcc, v6, v29, vcc
	global_store_byte v[30:31], v25, off
	s_or_b64 exec, exec, s[8:9]
	s_and_saveexec_b64 s[8:9], s[0:1]
	s_cbranch_execz .LBB37_13
.LBB37_17:                              ;   in Loop: Header=BB37_4 Depth=1
	s_waitcnt vmcnt(0)
	v_mul_lo_u16_e32 v25, s24, v27
	v_mov_b32_e32 v27, s17
	v_add_co_u32_e32 v30, vcc, s16, v21
	v_addc_co_u32_e32 v31, vcc, v22, v27, vcc
	global_store_byte v[30:31], v25, off
	s_or_b64 exec, exec, s[8:9]
	s_and_saveexec_b64 s[0:1], s[2:3]
	s_cbranch_execz .LBB37_14
.LBB37_18:                              ;   in Loop: Header=BB37_4 Depth=1
	s_waitcnt vmcnt(0)
	v_mul_lo_u16_e32 v25, s24, v28
	v_mov_b32_e32 v27, s17
	v_add_co_u32_e32 v28, vcc, s16, v15
	v_addc_co_u32_e32 v29, vcc, v16, v27, vcc
	global_store_byte v[28:29], v25, off
	s_or_b64 exec, exec, s[0:1]
	s_and_saveexec_b64 s[0:1], s[6:7]
	s_cbranch_execz .LBB37_3
.LBB37_19:                              ;   in Loop: Header=BB37_4 Depth=1
	s_waitcnt vmcnt(0)
	v_mul_lo_u16_e32 v25, s24, v26
	v_mov_b32_e32 v27, s17
	v_add_co_u32_e32 v26, vcc, s16, v9
	v_addc_co_u32_e32 v27, vcc, v10, v27, vcc
	global_store_byte v[26:27], v25, off
	s_branch .LBB37_3
.LBB37_20:
	s_mov_b64 s[8:9], 0
.LBB37_21:
	s_andn2_b64 vcc, exec, s[8:9]
	s_cbranch_vccnz .LBB37_25
; %bb.22:
	v_lshlrev_b32_e32 v0, 2, v0
	v_mov_b32_e32 v1, 0
	v_cmp_gt_i64_e32 vcc, s[12:13], v[0:1]
	s_and_saveexec_b64 s[0:1], vcc
	s_cbranch_execz .LBB37_25
; %bb.23:
	s_load_dword s0, s[4:5], 0xc5c
	s_mov_b32 s1, 0
	s_mov_b64 s[2:3], 0
	s_lshr_b32 s6, s21, 16
	v_mov_b32_e32 v2, s11
	s_waitcnt lgkmcnt(0)
	s_and_b32 s0, s0, 0xffff
	s_lshl_b32 s7, s0, 2
	v_mov_b32_e32 v3, s22
	v_mov_b32_e32 v4, s1
	s_mov_b64 s[4:5], 0xffff
	v_mov_b32_e32 v5, 8
.LBB37_24:                              ; =>This Inner Loop Header: Depth=1
	v_add_co_u32_e32 v6, vcc, s10, v0
	v_addc_co_u32_e32 v7, vcc, v2, v1, vcc
	global_load_dword v8, v[6:7], off
	v_add_co_u32_e32 v6, vcc, s20, v0
	v_addc_co_u32_e32 v7, vcc, v3, v1, vcc
	v_add_co_u32_e32 v0, vcc, s7, v0
	v_addc_co_u32_e32 v1, vcc, v4, v1, vcc
	v_cmp_le_i64_e32 vcc, s[12:13], v[0:1]
	v_cmp_lt_u64_e64 s[0:1], s[4:5], v[0:1]
	s_or_b64 s[0:1], vcc, s[0:1]
	s_and_b64 s[0:1], exec, s[0:1]
	s_or_b64 s[2:3], s[0:1], s[2:3]
	s_waitcnt vmcnt(0)
	v_mul_lo_u16_sdwa v11, v8, s6 dst_sel:DWORD dst_unused:UNUSED_PAD src0_sel:WORD_1 src1_sel:DWORD
	v_lshrrev_b32_e32 v10, 8, v8
	v_and_b32_e32 v11, 0xff, v11
	v_mul_lo_u16_e32 v9, s6, v8
	v_mul_lo_u16_sdwa v8, v8, s6 dst_sel:DWORD dst_unused:UNUSED_PAD src0_sel:BYTE_3 src1_sel:DWORD
	v_mul_lo_u16_e32 v10, s6, v10
	v_lshlrev_b32_e32 v11, 16, v11
	v_and_b32_e32 v9, 0xff, v9
	v_lshlrev_b32_sdwa v10, v5, v10 dst_sel:DWORD dst_unused:UNUSED_PAD src0_sel:DWORD src1_sel:BYTE_0
	v_lshl_or_b32 v8, v8, 24, v11
	v_or3_b32 v8, v8, v10, v9
	global_store_dword v[6:7], v8, off
	s_andn2_b64 exec, exec, s[2:3]
	s_cbranch_execnz .LBB37_24
.LBB37_25:
	s_endpgm
	.section	.rodata,"a",@progbits
	.p2align	6, 0x0
	.amdhsa_kernel _ZN2at6native12_GLOBAL__N_125multi_tensor_apply_kernelINS1_18TensorListMetadataILi2EEENS1_21BinaryOpScalarFunctorIaLi2ELi1ELi1EEEJSt10multipliesIaEaEEEvT_T0_DpT1_
		.amdhsa_group_segment_fixed_size 0
		.amdhsa_private_segment_fixed_size 0
		.amdhsa_kernarg_size 3408
		.amdhsa_user_sgpr_count 6
		.amdhsa_user_sgpr_private_segment_buffer 1
		.amdhsa_user_sgpr_dispatch_ptr 0
		.amdhsa_user_sgpr_queue_ptr 0
		.amdhsa_user_sgpr_kernarg_segment_ptr 1
		.amdhsa_user_sgpr_dispatch_id 0
		.amdhsa_user_sgpr_flat_scratch_init 0
		.amdhsa_user_sgpr_kernarg_preload_length 0
		.amdhsa_user_sgpr_kernarg_preload_offset 0
		.amdhsa_user_sgpr_private_segment_size 0
		.amdhsa_uses_dynamic_stack 0
		.amdhsa_system_sgpr_private_segment_wavefront_offset 0
		.amdhsa_system_sgpr_workgroup_id_x 1
		.amdhsa_system_sgpr_workgroup_id_y 0
		.amdhsa_system_sgpr_workgroup_id_z 0
		.amdhsa_system_sgpr_workgroup_info 0
		.amdhsa_system_vgpr_workitem_id 0
		.amdhsa_next_free_vgpr 32
		.amdhsa_next_free_sgpr 25
		.amdhsa_accum_offset 32
		.amdhsa_reserve_vcc 1
		.amdhsa_reserve_flat_scratch 0
		.amdhsa_float_round_mode_32 0
		.amdhsa_float_round_mode_16_64 0
		.amdhsa_float_denorm_mode_32 3
		.amdhsa_float_denorm_mode_16_64 3
		.amdhsa_dx10_clamp 1
		.amdhsa_ieee_mode 1
		.amdhsa_fp16_overflow 0
		.amdhsa_tg_split 0
		.amdhsa_exception_fp_ieee_invalid_op 0
		.amdhsa_exception_fp_denorm_src 0
		.amdhsa_exception_fp_ieee_div_zero 0
		.amdhsa_exception_fp_ieee_overflow 0
		.amdhsa_exception_fp_ieee_underflow 0
		.amdhsa_exception_fp_ieee_inexact 0
		.amdhsa_exception_int_div_zero 0
	.end_amdhsa_kernel
	.section	.text._ZN2at6native12_GLOBAL__N_125multi_tensor_apply_kernelINS1_18TensorListMetadataILi2EEENS1_21BinaryOpScalarFunctorIaLi2ELi1ELi1EEEJSt10multipliesIaEaEEEvT_T0_DpT1_,"axG",@progbits,_ZN2at6native12_GLOBAL__N_125multi_tensor_apply_kernelINS1_18TensorListMetadataILi2EEENS1_21BinaryOpScalarFunctorIaLi2ELi1ELi1EEEJSt10multipliesIaEaEEEvT_T0_DpT1_,comdat
.Lfunc_end37:
	.size	_ZN2at6native12_GLOBAL__N_125multi_tensor_apply_kernelINS1_18TensorListMetadataILi2EEENS1_21BinaryOpScalarFunctorIaLi2ELi1ELi1EEEJSt10multipliesIaEaEEEvT_T0_DpT1_, .Lfunc_end37-_ZN2at6native12_GLOBAL__N_125multi_tensor_apply_kernelINS1_18TensorListMetadataILi2EEENS1_21BinaryOpScalarFunctorIaLi2ELi1ELi1EEEJSt10multipliesIaEaEEEvT_T0_DpT1_
                                        ; -- End function
	.section	.AMDGPU.csdata,"",@progbits
; Kernel info:
; codeLenInByte = 1200
; NumSgprs: 29
; NumVgprs: 32
; NumAgprs: 0
; TotalNumVgprs: 32
; ScratchSize: 0
; MemoryBound: 0
; FloatMode: 240
; IeeeMode: 1
; LDSByteSize: 0 bytes/workgroup (compile time only)
; SGPRBlocks: 3
; VGPRBlocks: 3
; NumSGPRsForWavesPerEU: 29
; NumVGPRsForWavesPerEU: 32
; AccumOffset: 32
; Occupancy: 8
; WaveLimiterHint : 0
; COMPUTE_PGM_RSRC2:SCRATCH_EN: 0
; COMPUTE_PGM_RSRC2:USER_SGPR: 6
; COMPUTE_PGM_RSRC2:TRAP_HANDLER: 0
; COMPUTE_PGM_RSRC2:TGID_X_EN: 1
; COMPUTE_PGM_RSRC2:TGID_Y_EN: 0
; COMPUTE_PGM_RSRC2:TGID_Z_EN: 0
; COMPUTE_PGM_RSRC2:TIDIG_COMP_CNT: 0
; COMPUTE_PGM_RSRC3_GFX90A:ACCUM_OFFSET: 7
; COMPUTE_PGM_RSRC3_GFX90A:TG_SPLIT: 0
	.section	.text._ZN2at6native12_GLOBAL__N_125multi_tensor_apply_kernelINS1_18TensorListMetadataILi2EEENS1_21BinaryOpScalarFunctorIiLi2ELi1ELi1EEEJSt10multipliesIiEiEEEvT_T0_DpT1_,"axG",@progbits,_ZN2at6native12_GLOBAL__N_125multi_tensor_apply_kernelINS1_18TensorListMetadataILi2EEENS1_21BinaryOpScalarFunctorIiLi2ELi1ELi1EEEJSt10multipliesIiEiEEEvT_T0_DpT1_,comdat
	.globl	_ZN2at6native12_GLOBAL__N_125multi_tensor_apply_kernelINS1_18TensorListMetadataILi2EEENS1_21BinaryOpScalarFunctorIiLi2ELi1ELi1EEEJSt10multipliesIiEiEEEvT_T0_DpT1_ ; -- Begin function _ZN2at6native12_GLOBAL__N_125multi_tensor_apply_kernelINS1_18TensorListMetadataILi2EEENS1_21BinaryOpScalarFunctorIiLi2ELi1ELi1EEEJSt10multipliesIiEiEEEvT_T0_DpT1_
	.p2align	8
	.type	_ZN2at6native12_GLOBAL__N_125multi_tensor_apply_kernelINS1_18TensorListMetadataILi2EEENS1_21BinaryOpScalarFunctorIiLi2ELi1ELi1EEEJSt10multipliesIiEiEEEvT_T0_DpT1_,@function
_ZN2at6native12_GLOBAL__N_125multi_tensor_apply_kernelINS1_18TensorListMetadataILi2EEENS1_21BinaryOpScalarFunctorIiLi2ELi1ELi1EEEJSt10multipliesIiEiEEEvT_T0_DpT1_: ; @_ZN2at6native12_GLOBAL__N_125multi_tensor_apply_kernelINS1_18TensorListMetadataILi2EEENS1_21BinaryOpScalarFunctorIiLi2ELi1ELi1EEEJSt10multipliesIiEiEEEvT_T0_DpT1_
; %bb.0:
	v_mov_b32_e32 v1, s6
	global_load_ubyte v1, v1, s[4:5] offset:1536
	s_add_u32 s0, s4, s6
	s_mul_hi_u32 s2, s6, 3
	s_mul_i32 s6, s6, 3
	s_addc_u32 s7, s5, 0
	s_add_u32 s6, s0, s6
	s_addc_u32 s7, s7, s2
	s_load_dword s6, s[6:7], 0x740
	s_mov_b32 s1, 0
	s_mov_b32 s15, s1
	;; [unrolled: 1-line block ×3, first 2 shown]
	s_waitcnt lgkmcnt(0)
	s_ashr_i32 s7, s6, 31
	s_lshl_b64 s[16:17], s[6:7], 18
	s_waitcnt vmcnt(0)
	v_readfirstlane_b32 s0, v1
	s_lshl_b32 s0, s0, 3
	s_load_dwordx2 s[10:11], s[4:5], s0 offset:0x0
	s_load_dword s24, s[4:5], 0xc4c
	s_load_dwordx2 s[8:9], s[4:5], s0 offset:0x400
	s_load_dwordx2 s[12:13], s[4:5], s0 offset:0x200
	s_waitcnt lgkmcnt(0)
	s_and_b32 s0, s10, 15
	s_and_b32 s14, s8, 3
	;; [unrolled: 1-line block ×3, first 2 shown]
	s_or_b64 s[0:1], s[0:1], s[14:15]
	s_or_b64 s[0:1], s[2:3], s[0:1]
	s_lshl_b64 s[2:3], s[6:7], 16
	s_sub_u32 s14, s8, s2
	s_subb_u32 s15, s9, s3
	s_cmp_eq_u64 s[0:1], 0
	s_mov_b64 s[0:1], -1
	s_cbranch_scc1 .LBB38_21
; %bb.1:
	v_cmp_lt_i64_e64 s[0:1], s[14:15], 1
	s_and_b64 vcc, exec, s[0:1]
	s_cbranch_vccnz .LBB38_20
; %bb.2:
	s_load_dword s0, s[4:5], 0xc5c
	v_mov_b32_e32 v2, 0x10000
	v_mov_b32_e32 v3, 0
	v_cmp_lt_u64_e32 vcc, s[14:15], v[2:3]
	v_lshlrev_b32_e32 v10, 2, v0
	s_waitcnt lgkmcnt(0)
	s_and_b32 s2, s0, 0xffff
	s_and_b64 s[0:1], vcc, exec
	v_mov_b32_e32 v13, s11
	v_add_co_u32_e32 v2, vcc, s10, v10
	v_addc_co_u32_e32 v1, vcc, 0, v13, vcc
	v_mov_b32_e32 v11, 0
	v_mov_b32_e32 v15, s13
	v_add_co_u32_e32 v4, vcc, s12, v10
	v_addc_co_u32_e32 v3, vcc, 0, v15, vcc
	v_mad_u64_u32 v[8:9], s[0:1], s2, 12, v[10:11]
	v_add_co_u32_e32 v6, vcc, s10, v8
	v_addc_co_u32_e32 v5, vcc, v13, v9, vcc
	v_add_co_u32_e32 v8, vcc, s12, v8
	s_mul_i32 s6, s2, 3
	v_addc_co_u32_e32 v7, vcc, v15, v9, vcc
	v_add_co_u32_e32 v17, vcc, s6, v0
	v_addc_co_u32_e64 v18, s[0:1], 0, 0, vcc
	s_cselect_b32 s19, s15, 0
	s_cselect_b32 s18, s14, 0x10000
	s_lshl_b32 s0, s2, 3
	v_add_co_u32_e32 v11, vcc, s0, v10
	v_addc_co_u32_e64 v14, s[0:1], 0, 0, vcc
	v_add_co_u32_e32 v10, vcc, s10, v11
	v_addc_co_u32_e32 v9, vcc, v13, v14, vcc
	v_add_co_u32_e32 v12, vcc, s12, v11
	s_lshl_b32 s3, s2, 1
	v_addc_co_u32_e32 v11, vcc, v15, v14, vcc
	v_add_co_u32_e32 v19, vcc, s3, v0
	v_addc_co_u32_e64 v20, s[0:1], 0, 0, vcc
	v_add_co_u32_e32 v21, vcc, s2, v0
	v_lshlrev_b32_e32 v16, 2, v21
	v_addc_co_u32_e64 v22, s[0:1], 0, 0, vcc
	v_add_co_u32_e32 v14, vcc, s10, v16
	v_addc_co_u32_e32 v13, vcc, 0, v13, vcc
	v_add_co_u32_e32 v16, vcc, s12, v16
	s_mov_b32 s25, 0
	s_lshl_b32 s26, s2, 2
	s_lshl_b32 s27, s2, 4
	v_addc_co_u32_e32 v15, vcc, 0, v15, vcc
	s_mov_b64 s[20:21], 0
	s_branch .LBB38_4
.LBB38_3:                               ;   in Loop: Header=BB38_4 Depth=1
	s_or_b64 exec, exec, s[0:1]
	s_add_u32 s20, s20, s26
	s_addc_u32 s21, s21, 0
	s_waitcnt vmcnt(0)
	v_pk_mov_b32 v[24:25], s[14:15], s[14:15] op_sel:[0,1]
	v_cmp_lt_i64_e32 vcc, s[20:21], v[24:25]
	v_mov_b32_e32 v24, 0x10000
	v_mov_b32_e32 v25, 0
	v_cmp_lt_u64_e64 s[0:1], s[20:21], v[24:25]
	s_and_b64 s[0:1], vcc, s[0:1]
	v_mov_b32_e32 v23, s25
	v_add_co_u32_e32 v2, vcc, s27, v2
	v_addc_co_u32_e32 v1, vcc, v1, v23, vcc
	v_add_co_u32_e32 v4, vcc, s27, v4
	v_addc_co_u32_e32 v3, vcc, v3, v23, vcc
	;; [unrolled: 2-line block ×8, first 2 shown]
	s_and_b64 vcc, exec, s[0:1]
	s_cbranch_vccz .LBB38_20
.LBB38_4:                               ; =>This Inner Loop Header: Depth=1
	v_mov_b32_e32 v23, s21
	v_add_co_u32_e32 v24, vcc, s20, v0
	v_addc_co_u32_e32 v25, vcc, 0, v23, vcc
	v_cmp_gt_u64_e32 vcc, s[18:19], v[24:25]
	v_mov_b32_e32 v23, 0
	s_and_saveexec_b64 s[2:3], vcc
	s_cbranch_execz .LBB38_6
; %bb.5:                                ;   in Loop: Header=BB38_4 Depth=1
	v_mov_b32_e32 v23, s17
	v_add_co_u32_e64 v24, s[0:1], s16, v2
	v_addc_co_u32_e64 v25, s[0:1], v1, v23, s[0:1]
	global_load_dword v23, v[24:25], off
.LBB38_6:                               ;   in Loop: Header=BB38_4 Depth=1
	s_or_b64 exec, exec, s[2:3]
	v_mov_b32_e32 v25, s21
	v_add_co_u32_e64 v24, s[0:1], s20, v21
	v_addc_co_u32_e64 v25, s[0:1], v22, v25, s[0:1]
	v_cmp_gt_u64_e64 s[0:1], s[18:19], v[24:25]
	v_mov_b32_e32 v25, 0
	s_and_saveexec_b64 s[6:7], s[0:1]
	s_cbranch_execz .LBB38_8
; %bb.7:                                ;   in Loop: Header=BB38_4 Depth=1
	v_mov_b32_e32 v25, s17
	v_add_co_u32_e64 v24, s[2:3], s16, v14
	v_addc_co_u32_e64 v25, s[2:3], v13, v25, s[2:3]
	global_load_dword v25, v[24:25], off
.LBB38_8:                               ;   in Loop: Header=BB38_4 Depth=1
	s_or_b64 exec, exec, s[6:7]
	v_mov_b32_e32 v24, s21
	v_add_co_u32_e64 v26, s[2:3], s20, v19
	v_addc_co_u32_e64 v27, s[2:3], v20, v24, s[2:3]
	v_cmp_gt_u64_e64 s[2:3], s[18:19], v[26:27]
	v_mov_b32_e32 v24, 0
	v_mov_b32_e32 v26, 0
	s_and_saveexec_b64 s[8:9], s[2:3]
	s_cbranch_execz .LBB38_10
; %bb.9:                                ;   in Loop: Header=BB38_4 Depth=1
	v_mov_b32_e32 v27, s17
	v_add_co_u32_e64 v26, s[6:7], s16, v10
	v_addc_co_u32_e64 v27, s[6:7], v9, v27, s[6:7]
	global_load_dword v26, v[26:27], off
.LBB38_10:                              ;   in Loop: Header=BB38_4 Depth=1
	s_or_b64 exec, exec, s[8:9]
	v_mov_b32_e32 v27, s21
	v_add_co_u32_e64 v28, s[6:7], s20, v17
	v_addc_co_u32_e64 v29, s[6:7], v18, v27, s[6:7]
	v_cmp_gt_u64_e64 s[6:7], s[18:19], v[28:29]
	s_and_saveexec_b64 s[22:23], s[6:7]
	s_cbranch_execnz .LBB38_15
; %bb.11:                               ;   in Loop: Header=BB38_4 Depth=1
	s_or_b64 exec, exec, s[22:23]
	s_and_saveexec_b64 s[8:9], vcc
	s_cbranch_execnz .LBB38_16
.LBB38_12:                              ;   in Loop: Header=BB38_4 Depth=1
	s_or_b64 exec, exec, s[8:9]
	s_and_saveexec_b64 s[8:9], s[0:1]
	s_cbranch_execnz .LBB38_17
.LBB38_13:                              ;   in Loop: Header=BB38_4 Depth=1
	s_or_b64 exec, exec, s[8:9]
	s_and_saveexec_b64 s[0:1], s[2:3]
	s_cbranch_execnz .LBB38_18
.LBB38_14:                              ;   in Loop: Header=BB38_4 Depth=1
	s_or_b64 exec, exec, s[0:1]
	s_and_saveexec_b64 s[0:1], s[6:7]
	s_cbranch_execz .LBB38_3
	s_branch .LBB38_19
.LBB38_15:                              ;   in Loop: Header=BB38_4 Depth=1
	v_mov_b32_e32 v24, s17
	v_add_co_u32_e64 v28, s[8:9], s16, v6
	v_addc_co_u32_e64 v29, s[8:9], v5, v24, s[8:9]
	global_load_dword v24, v[28:29], off
	s_or_b64 exec, exec, s[22:23]
	s_and_saveexec_b64 s[8:9], vcc
	s_cbranch_execz .LBB38_12
.LBB38_16:                              ;   in Loop: Header=BB38_4 Depth=1
	v_mov_b32_e32 v27, s17
	v_add_co_u32_e32 v28, vcc, s16, v4
	s_waitcnt vmcnt(0)
	v_mul_lo_u32 v23, v23, s24
	v_addc_co_u32_e32 v29, vcc, v3, v27, vcc
	global_store_dword v[28:29], v23, off
	s_or_b64 exec, exec, s[8:9]
	s_and_saveexec_b64 s[8:9], s[0:1]
	s_cbranch_execz .LBB38_13
.LBB38_17:                              ;   in Loop: Header=BB38_4 Depth=1
	s_waitcnt vmcnt(0)
	v_mul_lo_u32 v23, v25, s24
	v_mov_b32_e32 v25, s17
	v_add_co_u32_e32 v28, vcc, s16, v16
	v_addc_co_u32_e32 v29, vcc, v15, v25, vcc
	global_store_dword v[28:29], v23, off
	s_or_b64 exec, exec, s[8:9]
	s_and_saveexec_b64 s[0:1], s[2:3]
	s_cbranch_execz .LBB38_14
.LBB38_18:                              ;   in Loop: Header=BB38_4 Depth=1
	s_waitcnt vmcnt(0)
	v_mul_lo_u32 v23, v26, s24
	v_mov_b32_e32 v25, s17
	v_add_co_u32_e32 v26, vcc, s16, v12
	v_addc_co_u32_e32 v27, vcc, v11, v25, vcc
	global_store_dword v[26:27], v23, off
	s_or_b64 exec, exec, s[0:1]
	s_and_saveexec_b64 s[0:1], s[6:7]
	s_cbranch_execz .LBB38_3
.LBB38_19:                              ;   in Loop: Header=BB38_4 Depth=1
	s_waitcnt vmcnt(0)
	v_mul_lo_u32 v23, v24, s24
	v_mov_b32_e32 v25, s17
	v_add_co_u32_e32 v24, vcc, s16, v8
	v_addc_co_u32_e32 v25, vcc, v7, v25, vcc
	global_store_dword v[24:25], v23, off
	s_branch .LBB38_3
.LBB38_20:
	s_mov_b64 s[0:1], 0
.LBB38_21:
	s_andn2_b64 vcc, exec, s[0:1]
	s_cbranch_vccnz .LBB38_25
; %bb.22:
	v_mov_b32_e32 v3, 0
	v_lshlrev_b32_e32 v2, 2, v0
	s_mov_b32 s0, 0
	v_cmp_gt_i64_e32 vcc, s[14:15], v[2:3]
	s_and_saveexec_b64 s[2:3], vcc
	s_cbranch_execz .LBB38_25
; %bb.23:
	s_load_dword s1, s[4:5], 0xc5c
	v_lshlrev_b32_e32 v1, 4, v0
	v_mov_b32_e32 v4, s17
	s_mov_b32 s8, s24
	s_mov_b64 s[4:5], 0
	s_waitcnt lgkmcnt(0)
	s_and_b32 s1, s1, 0xffff
	v_add_lshl_u32 v2, v0, s1, 2
	v_add_co_u32_e32 v0, vcc, s16, v1
	v_addc_co_u32_e32 v1, vcc, 0, v4, vcc
	v_add_co_u32_e32 v0, vcc, 8, v0
	s_lshl_b32 s9, s1, 2
	v_addc_co_u32_e32 v1, vcc, 0, v1, vcc
	s_lshl_b32 s16, s1, 4
	v_mov_b32_e32 v4, s11
	v_mov_b32_e32 v5, s13
	s_mov_b64 s[6:7], 0xffff
	v_mov_b32_e32 v6, s0
	v_mov_b32_e32 v7, s0
.LBB38_24:                              ; =>This Inner Loop Header: Depth=1
	v_add_co_u32_e32 v8, vcc, s10, v0
	v_addc_co_u32_e32 v9, vcc, v4, v1, vcc
	global_load_dwordx4 v[8:11], v[8:9], off offset:-8
	v_add_co_u32_e32 v12, vcc, s12, v0
	v_addc_co_u32_e32 v13, vcc, v5, v1, vcc
	v_cmp_le_i64_e32 vcc, s[14:15], v[2:3]
	v_cmp_lt_u64_e64 s[0:1], s[6:7], v[2:3]
	v_add_co_u32_e64 v2, s[2:3], s9, v2
	v_addc_co_u32_e64 v3, s[2:3], v3, v6, s[2:3]
	s_or_b64 s[0:1], vcc, s[0:1]
	v_add_co_u32_e64 v0, s[2:3], s16, v0
	s_and_b64 s[0:1], exec, s[0:1]
	v_addc_co_u32_e64 v1, s[2:3], v1, v7, s[2:3]
	s_or_b64 s[4:5], s[0:1], s[4:5]
	s_waitcnt vmcnt(0)
	v_mul_lo_u32 v9, v9, s8
	v_mul_lo_u32 v8, v8, s24
	;; [unrolled: 1-line block ×4, first 2 shown]
	global_store_dwordx4 v[12:13], v[8:11], off offset:-8
	s_andn2_b64 exec, exec, s[4:5]
	s_cbranch_execnz .LBB38_24
.LBB38_25:
	s_endpgm
	.section	.rodata,"a",@progbits
	.p2align	6, 0x0
	.amdhsa_kernel _ZN2at6native12_GLOBAL__N_125multi_tensor_apply_kernelINS1_18TensorListMetadataILi2EEENS1_21BinaryOpScalarFunctorIiLi2ELi1ELi1EEEJSt10multipliesIiEiEEEvT_T0_DpT1_
		.amdhsa_group_segment_fixed_size 0
		.amdhsa_private_segment_fixed_size 0
		.amdhsa_kernarg_size 3408
		.amdhsa_user_sgpr_count 6
		.amdhsa_user_sgpr_private_segment_buffer 1
		.amdhsa_user_sgpr_dispatch_ptr 0
		.amdhsa_user_sgpr_queue_ptr 0
		.amdhsa_user_sgpr_kernarg_segment_ptr 1
		.amdhsa_user_sgpr_dispatch_id 0
		.amdhsa_user_sgpr_flat_scratch_init 0
		.amdhsa_user_sgpr_kernarg_preload_length 0
		.amdhsa_user_sgpr_kernarg_preload_offset 0
		.amdhsa_user_sgpr_private_segment_size 0
		.amdhsa_uses_dynamic_stack 0
		.amdhsa_system_sgpr_private_segment_wavefront_offset 0
		.amdhsa_system_sgpr_workgroup_id_x 1
		.amdhsa_system_sgpr_workgroup_id_y 0
		.amdhsa_system_sgpr_workgroup_id_z 0
		.amdhsa_system_sgpr_workgroup_info 0
		.amdhsa_system_vgpr_workitem_id 0
		.amdhsa_next_free_vgpr 30
		.amdhsa_next_free_sgpr 28
		.amdhsa_accum_offset 32
		.amdhsa_reserve_vcc 1
		.amdhsa_reserve_flat_scratch 0
		.amdhsa_float_round_mode_32 0
		.amdhsa_float_round_mode_16_64 0
		.amdhsa_float_denorm_mode_32 3
		.amdhsa_float_denorm_mode_16_64 3
		.amdhsa_dx10_clamp 1
		.amdhsa_ieee_mode 1
		.amdhsa_fp16_overflow 0
		.amdhsa_tg_split 0
		.amdhsa_exception_fp_ieee_invalid_op 0
		.amdhsa_exception_fp_denorm_src 0
		.amdhsa_exception_fp_ieee_div_zero 0
		.amdhsa_exception_fp_ieee_overflow 0
		.amdhsa_exception_fp_ieee_underflow 0
		.amdhsa_exception_fp_ieee_inexact 0
		.amdhsa_exception_int_div_zero 0
	.end_amdhsa_kernel
	.section	.text._ZN2at6native12_GLOBAL__N_125multi_tensor_apply_kernelINS1_18TensorListMetadataILi2EEENS1_21BinaryOpScalarFunctorIiLi2ELi1ELi1EEEJSt10multipliesIiEiEEEvT_T0_DpT1_,"axG",@progbits,_ZN2at6native12_GLOBAL__N_125multi_tensor_apply_kernelINS1_18TensorListMetadataILi2EEENS1_21BinaryOpScalarFunctorIiLi2ELi1ELi1EEEJSt10multipliesIiEiEEEvT_T0_DpT1_,comdat
.Lfunc_end38:
	.size	_ZN2at6native12_GLOBAL__N_125multi_tensor_apply_kernelINS1_18TensorListMetadataILi2EEENS1_21BinaryOpScalarFunctorIiLi2ELi1ELi1EEEJSt10multipliesIiEiEEEvT_T0_DpT1_, .Lfunc_end38-_ZN2at6native12_GLOBAL__N_125multi_tensor_apply_kernelINS1_18TensorListMetadataILi2EEENS1_21BinaryOpScalarFunctorIiLi2ELi1ELi1EEEJSt10multipliesIiEiEEEvT_T0_DpT1_
                                        ; -- End function
	.section	.AMDGPU.csdata,"",@progbits
; Kernel info:
; codeLenInByte = 1296
; NumSgprs: 32
; NumVgprs: 30
; NumAgprs: 0
; TotalNumVgprs: 30
; ScratchSize: 0
; MemoryBound: 0
; FloatMode: 240
; IeeeMode: 1
; LDSByteSize: 0 bytes/workgroup (compile time only)
; SGPRBlocks: 3
; VGPRBlocks: 3
; NumSGPRsForWavesPerEU: 32
; NumVGPRsForWavesPerEU: 30
; AccumOffset: 32
; Occupancy: 8
; WaveLimiterHint : 0
; COMPUTE_PGM_RSRC2:SCRATCH_EN: 0
; COMPUTE_PGM_RSRC2:USER_SGPR: 6
; COMPUTE_PGM_RSRC2:TRAP_HANDLER: 0
; COMPUTE_PGM_RSRC2:TGID_X_EN: 1
; COMPUTE_PGM_RSRC2:TGID_Y_EN: 0
; COMPUTE_PGM_RSRC2:TGID_Z_EN: 0
; COMPUTE_PGM_RSRC2:TIDIG_COMP_CNT: 0
; COMPUTE_PGM_RSRC3_GFX90A:ACCUM_OFFSET: 7
; COMPUTE_PGM_RSRC3_GFX90A:TG_SPLIT: 0
	.section	.text._ZN2at6native12_GLOBAL__N_125multi_tensor_apply_kernelINS1_18TensorListMetadataILi2EEENS1_21BinaryOpScalarFunctorIlLi2ELi1ELi1EEEJSt10multipliesIlElEEEvT_T0_DpT1_,"axG",@progbits,_ZN2at6native12_GLOBAL__N_125multi_tensor_apply_kernelINS1_18TensorListMetadataILi2EEENS1_21BinaryOpScalarFunctorIlLi2ELi1ELi1EEEJSt10multipliesIlElEEEvT_T0_DpT1_,comdat
	.globl	_ZN2at6native12_GLOBAL__N_125multi_tensor_apply_kernelINS1_18TensorListMetadataILi2EEENS1_21BinaryOpScalarFunctorIlLi2ELi1ELi1EEEJSt10multipliesIlElEEEvT_T0_DpT1_ ; -- Begin function _ZN2at6native12_GLOBAL__N_125multi_tensor_apply_kernelINS1_18TensorListMetadataILi2EEENS1_21BinaryOpScalarFunctorIlLi2ELi1ELi1EEEJSt10multipliesIlElEEEvT_T0_DpT1_
	.p2align	8
	.type	_ZN2at6native12_GLOBAL__N_125multi_tensor_apply_kernelINS1_18TensorListMetadataILi2EEENS1_21BinaryOpScalarFunctorIlLi2ELi1ELi1EEEJSt10multipliesIlElEEEvT_T0_DpT1_,@function
_ZN2at6native12_GLOBAL__N_125multi_tensor_apply_kernelINS1_18TensorListMetadataILi2EEENS1_21BinaryOpScalarFunctorIlLi2ELi1ELi1EEEJSt10multipliesIlElEEEvT_T0_DpT1_: ; @_ZN2at6native12_GLOBAL__N_125multi_tensor_apply_kernelINS1_18TensorListMetadataILi2EEENS1_21BinaryOpScalarFunctorIlLi2ELi1ELi1EEEJSt10multipliesIlElEEEvT_T0_DpT1_
; %bb.0:
	v_mov_b32_e32 v1, s6
	global_load_ubyte v1, v1, s[4:5] offset:1536
	s_add_u32 s0, s4, s6
	s_mul_hi_u32 s1, s6, 3
	s_mul_i32 s6, s6, 3
	s_addc_u32 s2, s5, 0
	s_add_u32 s0, s0, s6
	s_addc_u32 s1, s2, s1
	s_load_dword s6, s[0:1], 0x740
	s_mov_b32 s9, 0
	s_mov_b32 s17, s9
	;; [unrolled: 1-line block ×3, first 2 shown]
	s_waitcnt lgkmcnt(0)
	s_ashr_i32 s7, s6, 31
	s_lshl_b64 s[14:15], s[6:7], 19
	s_waitcnt vmcnt(0)
	v_readfirstlane_b32 s0, v1
	s_lshl_b32 s8, s0, 3
	s_load_dwordx2 s[2:3], s[4:5], s8 offset:0x0
	s_load_dwordx2 s[10:11], s[4:5], 0xc50
	s_load_dwordx2 s[18:19], s[4:5], s8 offset:0x400
	s_load_dwordx2 s[0:1], s[4:5], s8 offset:0x200
	s_waitcnt lgkmcnt(0)
	s_add_u32 s22, s2, s14
	s_addc_u32 s23, s3, s15
	s_and_b32 s8, s22, 31
	s_add_u32 s24, s0, s14
	s_addc_u32 s25, s1, s15
	s_and_b32 s16, s18, 3
	s_and_b32 s12, s24, 31
	s_or_b64 s[8:9], s[8:9], s[16:17]
	s_or_b64 s[8:9], s[12:13], s[8:9]
	s_lshl_b64 s[6:7], s[6:7], 16
	s_sub_u32 s12, s18, s6
	s_subb_u32 s13, s19, s7
	s_cmp_eq_u64 s[8:9], 0
	s_mov_b64 s[6:7], -1
	s_cbranch_scc1 .LBB39_21
; %bb.1:
	v_cmp_lt_i64_e64 s[6:7], s[12:13], 1
	s_and_b64 vcc, exec, s[6:7]
	s_cbranch_vccnz .LBB39_20
; %bb.2:
	s_load_dword s6, s[4:5], 0xc64
	v_mov_b32_e32 v2, 0x10000
	v_mov_b32_e32 v3, 0
	v_cmp_lt_u64_e32 vcc, s[12:13], v[2:3]
	v_lshlrev_b32_e32 v10, 3, v0
	s_waitcnt lgkmcnt(0)
	s_and_b32 s8, s6, 0xffff
	s_and_b64 s[6:7], vcc, exec
	v_mov_b32_e32 v13, s3
	v_add_co_u32_e32 v2, vcc, s2, v10
	v_addc_co_u32_e32 v1, vcc, 0, v13, vcc
	v_mov_b32_e32 v11, 0
	v_mov_b32_e32 v15, s1
	v_add_co_u32_e32 v4, vcc, s0, v10
	v_addc_co_u32_e32 v3, vcc, 0, v15, vcc
	v_mad_u64_u32 v[8:9], s[6:7], s8, 24, v[10:11]
	v_add_co_u32_e32 v6, vcc, s2, v8
	v_addc_co_u32_e32 v5, vcc, v13, v9, vcc
	v_add_co_u32_e32 v8, vcc, s0, v8
	s_mul_i32 s18, s8, 3
	v_addc_co_u32_e32 v7, vcc, v15, v9, vcc
	s_cselect_b32 s17, s13, 0
	s_cselect_b32 s16, s12, 0x10000
	v_add_co_u32_e32 v17, vcc, s18, v0
	s_lshl_b32 s1, s8, 4
	v_addc_co_u32_e64 v26, s[6:7], 0, 0, vcc
	v_add_co_u32_e32 v11, vcc, s1, v10
	v_addc_co_u32_e64 v14, s[6:7], 0, 0, vcc
	v_add_co_u32_e32 v10, vcc, s2, v11
	v_addc_co_u32_e32 v9, vcc, v13, v14, vcc
	v_add_co_u32_e32 v12, vcc, s0, v11
	s_lshl_b32 s9, s8, 1
	v_addc_co_u32_e32 v11, vcc, v15, v14, vcc
	v_add_co_u32_e32 v27, vcc, s9, v0
	v_addc_co_u32_e64 v28, s[6:7], 0, 0, vcc
	v_add_co_u32_e32 v29, vcc, s8, v0
	v_lshlrev_b32_e32 v16, 3, v29
	v_addc_co_u32_e64 v30, s[6:7], 0, 0, vcc
	v_add_co_u32_e32 v14, vcc, s2, v16
	v_addc_co_u32_e32 v13, vcc, 0, v13, vcc
	v_add_co_u32_e32 v16, vcc, s0, v16
	s_mov_b32 s26, 0
	s_lshl_b32 s27, s8, 2
	s_lshl_b32 s28, s8, 5
	v_addc_co_u32_e32 v15, vcc, 0, v15, vcc
	s_mov_b64 s[18:19], 0
	s_branch .LBB39_4
.LBB39_3:                               ;   in Loop: Header=BB39_4 Depth=1
	s_or_b64 exec, exec, s[0:1]
	s_add_u32 s18, s18, s27
	s_addc_u32 s19, s19, 0
	s_waitcnt vmcnt(0)
	v_pk_mov_b32 v[18:19], s[12:13], s[12:13] op_sel:[0,1]
	v_cmp_lt_i64_e32 vcc, s[18:19], v[18:19]
	v_mov_b32_e32 v18, 0x10000
	v_mov_b32_e32 v19, 0
	v_cmp_lt_u64_e64 s[0:1], s[18:19], v[18:19]
	s_and_b64 s[0:1], vcc, s[0:1]
	v_mov_b32_e32 v18, s26
	v_add_co_u32_e32 v2, vcc, s28, v2
	v_addc_co_u32_e32 v1, vcc, v1, v18, vcc
	v_add_co_u32_e32 v4, vcc, s28, v4
	v_addc_co_u32_e32 v3, vcc, v3, v18, vcc
	;; [unrolled: 2-line block ×8, first 2 shown]
	s_and_b64 vcc, exec, s[0:1]
	s_cbranch_vccz .LBB39_20
.LBB39_4:                               ; =>This Inner Loop Header: Depth=1
	v_mov_b32_e32 v19, s19
	v_add_co_u32_e32 v18, vcc, s18, v0
	v_addc_co_u32_e32 v19, vcc, 0, v19, vcc
	v_cmp_gt_u64_e32 vcc, s[16:17], v[18:19]
	v_pk_mov_b32 v[18:19], 0, 0
	v_pk_mov_b32 v[22:23], v[18:19], v[18:19] op_sel:[0,1]
	s_and_saveexec_b64 s[2:3], vcc
	s_cbranch_execz .LBB39_6
; %bb.5:                                ;   in Loop: Header=BB39_4 Depth=1
	v_mov_b32_e32 v21, s15
	v_add_co_u32_e64 v20, s[0:1], s14, v2
	v_addc_co_u32_e64 v21, s[0:1], v1, v21, s[0:1]
	global_load_dwordx2 v[22:23], v[20:21], off
.LBB39_6:                               ;   in Loop: Header=BB39_4 Depth=1
	s_or_b64 exec, exec, s[2:3]
	v_mov_b32_e32 v21, s19
	v_add_co_u32_e64 v20, s[0:1], s18, v29
	v_addc_co_u32_e64 v21, s[0:1], v30, v21, s[0:1]
	v_cmp_gt_u64_e64 s[0:1], s[16:17], v[20:21]
	s_and_saveexec_b64 s[6:7], s[0:1]
	s_cbranch_execz .LBB39_8
; %bb.7:                                ;   in Loop: Header=BB39_4 Depth=1
	v_mov_b32_e32 v19, s15
	v_add_co_u32_e64 v18, s[2:3], s14, v14
	v_addc_co_u32_e64 v19, s[2:3], v13, v19, s[2:3]
	global_load_dwordx2 v[18:19], v[18:19], off
.LBB39_8:                               ;   in Loop: Header=BB39_4 Depth=1
	s_or_b64 exec, exec, s[6:7]
	v_mov_b32_e32 v21, s19
	v_add_co_u32_e64 v20, s[2:3], s18, v27
	v_addc_co_u32_e64 v21, s[2:3], v28, v21, s[2:3]
	v_cmp_gt_u64_e64 s[2:3], s[16:17], v[20:21]
	v_pk_mov_b32 v[20:21], 0, 0
	v_pk_mov_b32 v[24:25], v[20:21], v[20:21] op_sel:[0,1]
	s_and_saveexec_b64 s[8:9], s[2:3]
	s_cbranch_execz .LBB39_10
; %bb.9:                                ;   in Loop: Header=BB39_4 Depth=1
	v_mov_b32_e32 v25, s15
	v_add_co_u32_e64 v24, s[6:7], s14, v10
	v_addc_co_u32_e64 v25, s[6:7], v9, v25, s[6:7]
	global_load_dwordx2 v[24:25], v[24:25], off
.LBB39_10:                              ;   in Loop: Header=BB39_4 Depth=1
	s_or_b64 exec, exec, s[8:9]
	v_mov_b32_e32 v31, s19
	v_add_co_u32_e64 v32, s[6:7], s18, v17
	v_addc_co_u32_e64 v33, s[6:7], v26, v31, s[6:7]
	v_cmp_gt_u64_e64 s[6:7], s[16:17], v[32:33]
	s_and_saveexec_b64 s[20:21], s[6:7]
	s_cbranch_execnz .LBB39_15
; %bb.11:                               ;   in Loop: Header=BB39_4 Depth=1
	s_or_b64 exec, exec, s[20:21]
	s_and_saveexec_b64 s[8:9], vcc
	s_cbranch_execnz .LBB39_16
.LBB39_12:                              ;   in Loop: Header=BB39_4 Depth=1
	s_or_b64 exec, exec, s[8:9]
	s_and_saveexec_b64 s[8:9], s[0:1]
	s_cbranch_execnz .LBB39_17
.LBB39_13:                              ;   in Loop: Header=BB39_4 Depth=1
	s_or_b64 exec, exec, s[8:9]
	s_and_saveexec_b64 s[0:1], s[2:3]
	s_cbranch_execnz .LBB39_18
.LBB39_14:                              ;   in Loop: Header=BB39_4 Depth=1
	s_or_b64 exec, exec, s[0:1]
	s_and_saveexec_b64 s[0:1], s[6:7]
	s_cbranch_execz .LBB39_3
	s_branch .LBB39_19
.LBB39_15:                              ;   in Loop: Header=BB39_4 Depth=1
	v_mov_b32_e32 v21, s15
	v_add_co_u32_e64 v20, s[8:9], s14, v6
	v_addc_co_u32_e64 v21, s[8:9], v5, v21, s[8:9]
	global_load_dwordx2 v[20:21], v[20:21], off
	s_or_b64 exec, exec, s[20:21]
	s_and_saveexec_b64 s[8:9], vcc
	s_cbranch_execz .LBB39_12
.LBB39_16:                              ;   in Loop: Header=BB39_4 Depth=1
	v_mov_b32_e32 v31, s15
	v_add_co_u32_e32 v32, vcc, s14, v4
	v_addc_co_u32_e32 v33, vcc, v3, v31, vcc
	s_waitcnt vmcnt(0)
	v_mul_lo_u32 v31, v23, s10
	v_mul_lo_u32 v34, v22, s11
	v_mad_u64_u32 v[22:23], s[20:21], v22, s10, 0
	v_add3_u32 v23, v23, v34, v31
	global_store_dwordx2 v[32:33], v[22:23], off
	s_or_b64 exec, exec, s[8:9]
	s_and_saveexec_b64 s[8:9], s[0:1]
	s_cbranch_execz .LBB39_13
.LBB39_17:                              ;   in Loop: Header=BB39_4 Depth=1
	s_waitcnt vmcnt(0)
	v_mul_lo_u32 v22, v19, s10
	v_mul_lo_u32 v23, v18, s11
	v_mad_u64_u32 v[18:19], s[0:1], v18, s10, 0
	v_add3_u32 v19, v19, v23, v22
	v_mov_b32_e32 v23, s15
	v_add_co_u32_e32 v22, vcc, s14, v16
	v_addc_co_u32_e32 v23, vcc, v15, v23, vcc
	global_store_dwordx2 v[22:23], v[18:19], off
	s_or_b64 exec, exec, s[8:9]
	s_and_saveexec_b64 s[0:1], s[2:3]
	s_cbranch_execz .LBB39_14
.LBB39_18:                              ;   in Loop: Header=BB39_4 Depth=1
	s_waitcnt vmcnt(0)
	v_mul_lo_u32 v22, v25, s10
	v_mul_lo_u32 v23, v24, s11
	v_mad_u64_u32 v[18:19], s[2:3], v24, s10, 0
	v_add3_u32 v19, v19, v23, v22
	v_mov_b32_e32 v23, s15
	v_add_co_u32_e32 v22, vcc, s14, v12
	v_addc_co_u32_e32 v23, vcc, v11, v23, vcc
	global_store_dwordx2 v[22:23], v[18:19], off
	s_or_b64 exec, exec, s[0:1]
	s_and_saveexec_b64 s[0:1], s[6:7]
	s_cbranch_execz .LBB39_3
.LBB39_19:                              ;   in Loop: Header=BB39_4 Depth=1
	s_waitcnt vmcnt(0)
	v_mul_lo_u32 v21, v21, s10
	v_mul_lo_u32 v22, v20, s11
	v_mad_u64_u32 v[18:19], s[2:3], v20, s10, 0
	v_add3_u32 v19, v19, v22, v21
	v_mov_b32_e32 v21, s15
	v_add_co_u32_e32 v20, vcc, s14, v8
	v_addc_co_u32_e32 v21, vcc, v7, v21, vcc
	global_store_dwordx2 v[20:21], v[18:19], off
	s_branch .LBB39_3
.LBB39_20:
	s_mov_b64 s[6:7], 0
.LBB39_21:
	s_andn2_b64 vcc, exec, s[6:7]
	s_cbranch_vccnz .LBB39_25
; %bb.22:
	v_mov_b32_e32 v3, 0
	v_lshlrev_b32_e32 v2, 2, v0
	s_mov_b32 s0, 0
	v_cmp_gt_i64_e32 vcc, s[12:13], v[2:3]
	s_and_saveexec_b64 s[2:3], vcc
	s_cbranch_execz .LBB39_25
; %bb.23:
	s_load_dword s1, s[4:5], 0xc64
	v_lshlrev_b32_e32 v4, 5, v0
	s_mov_b64 s[4:5], 0
	s_mov_b64 s[6:7], 0xffff
	s_waitcnt lgkmcnt(0)
	s_and_b32 s1, s1, 0xffff
	v_add_lshl_u32 v2, v0, s1, 2
	s_lshl_b32 s8, s1, 2
	s_lshl_b32 s9, s1, 5
	v_mov_b32_e32 v0, s0
.LBB39_24:                              ; =>This Inner Loop Header: Depth=1
	v_mov_b32_e32 v1, s23
	v_add_co_u32_e32 v14, vcc, s22, v4
	v_addc_co_u32_e32 v15, vcc, 0, v1, vcc
	global_load_dwordx4 v[6:9], v[14:15], off
	global_load_dwordx4 v[10:13], v[14:15], off offset:16
	v_cmp_le_i64_e32 vcc, s[12:13], v[2:3]
	v_cmp_lt_u64_e64 s[0:1], s[6:7], v[2:3]
	s_or_b64 s[0:1], vcc, s[0:1]
	v_add_co_u32_e64 v2, s[2:3], s8, v2
	s_add_u32 s22, s22, s9
	v_addc_co_u32_e64 v3, s[2:3], v3, v0, s[2:3]
	s_addc_u32 s23, s23, 0
	v_add_co_u32_e64 v14, s[2:3], s24, v4
	s_add_u32 s24, s24, s9
	v_mov_b32_e32 v1, s25
	s_addc_u32 s25, s25, 0
	s_and_b64 s[0:1], exec, s[0:1]
	v_addc_co_u32_e64 v15, s[2:3], 0, v1, s[2:3]
	s_or_b64 s[4:5], s[0:1], s[4:5]
	s_waitcnt vmcnt(1)
	v_mul_lo_u32 v1, v7, s10
	v_mul_lo_u32 v5, v6, s11
	v_mad_u64_u32 v[6:7], s[0:1], v6, s10, 0
	v_mul_lo_u32 v16, v9, s10
	v_mul_lo_u32 v17, v8, s11
	v_mad_u64_u32 v[8:9], s[0:1], v8, s10, 0
	s_waitcnt vmcnt(0)
	v_mul_lo_u32 v18, v11, s10
	v_mul_lo_u32 v19, v10, s11
	v_mad_u64_u32 v[10:11], s[0:1], v10, s10, 0
	v_mul_lo_u32 v20, v13, s10
	v_mul_lo_u32 v21, v12, s11
	v_mad_u64_u32 v[12:13], s[0:1], v12, s10, 0
	v_add3_u32 v7, v7, v5, v1
	v_add3_u32 v9, v9, v17, v16
	v_add3_u32 v11, v11, v19, v18
	v_add3_u32 v13, v13, v21, v20
	global_store_dwordx4 v[14:15], v[6:9], off
	global_store_dwordx4 v[14:15], v[10:13], off offset:16
	s_andn2_b64 exec, exec, s[4:5]
	s_cbranch_execnz .LBB39_24
.LBB39_25:
	s_endpgm
	.section	.rodata,"a",@progbits
	.p2align	6, 0x0
	.amdhsa_kernel _ZN2at6native12_GLOBAL__N_125multi_tensor_apply_kernelINS1_18TensorListMetadataILi2EEENS1_21BinaryOpScalarFunctorIlLi2ELi1ELi1EEEJSt10multipliesIlElEEEvT_T0_DpT1_
		.amdhsa_group_segment_fixed_size 0
		.amdhsa_private_segment_fixed_size 0
		.amdhsa_kernarg_size 3416
		.amdhsa_user_sgpr_count 6
		.amdhsa_user_sgpr_private_segment_buffer 1
		.amdhsa_user_sgpr_dispatch_ptr 0
		.amdhsa_user_sgpr_queue_ptr 0
		.amdhsa_user_sgpr_kernarg_segment_ptr 1
		.amdhsa_user_sgpr_dispatch_id 0
		.amdhsa_user_sgpr_flat_scratch_init 0
		.amdhsa_user_sgpr_kernarg_preload_length 0
		.amdhsa_user_sgpr_kernarg_preload_offset 0
		.amdhsa_user_sgpr_private_segment_size 0
		.amdhsa_uses_dynamic_stack 0
		.amdhsa_system_sgpr_private_segment_wavefront_offset 0
		.amdhsa_system_sgpr_workgroup_id_x 1
		.amdhsa_system_sgpr_workgroup_id_y 0
		.amdhsa_system_sgpr_workgroup_id_z 0
		.amdhsa_system_sgpr_workgroup_info 0
		.amdhsa_system_vgpr_workitem_id 0
		.amdhsa_next_free_vgpr 35
		.amdhsa_next_free_sgpr 29
		.amdhsa_accum_offset 36
		.amdhsa_reserve_vcc 1
		.amdhsa_reserve_flat_scratch 0
		.amdhsa_float_round_mode_32 0
		.amdhsa_float_round_mode_16_64 0
		.amdhsa_float_denorm_mode_32 3
		.amdhsa_float_denorm_mode_16_64 3
		.amdhsa_dx10_clamp 1
		.amdhsa_ieee_mode 1
		.amdhsa_fp16_overflow 0
		.amdhsa_tg_split 0
		.amdhsa_exception_fp_ieee_invalid_op 0
		.amdhsa_exception_fp_denorm_src 0
		.amdhsa_exception_fp_ieee_div_zero 0
		.amdhsa_exception_fp_ieee_overflow 0
		.amdhsa_exception_fp_ieee_underflow 0
		.amdhsa_exception_fp_ieee_inexact 0
		.amdhsa_exception_int_div_zero 0
	.end_amdhsa_kernel
	.section	.text._ZN2at6native12_GLOBAL__N_125multi_tensor_apply_kernelINS1_18TensorListMetadataILi2EEENS1_21BinaryOpScalarFunctorIlLi2ELi1ELi1EEEJSt10multipliesIlElEEEvT_T0_DpT1_,"axG",@progbits,_ZN2at6native12_GLOBAL__N_125multi_tensor_apply_kernelINS1_18TensorListMetadataILi2EEENS1_21BinaryOpScalarFunctorIlLi2ELi1ELi1EEEJSt10multipliesIlElEEEvT_T0_DpT1_,comdat
.Lfunc_end39:
	.size	_ZN2at6native12_GLOBAL__N_125multi_tensor_apply_kernelINS1_18TensorListMetadataILi2EEENS1_21BinaryOpScalarFunctorIlLi2ELi1ELi1EEEJSt10multipliesIlElEEEvT_T0_DpT1_, .Lfunc_end39-_ZN2at6native12_GLOBAL__N_125multi_tensor_apply_kernelINS1_18TensorListMetadataILi2EEENS1_21BinaryOpScalarFunctorIlLi2ELi1ELi1EEEJSt10multipliesIlElEEEvT_T0_DpT1_
                                        ; -- End function
	.section	.AMDGPU.csdata,"",@progbits
; Kernel info:
; codeLenInByte = 1520
; NumSgprs: 33
; NumVgprs: 35
; NumAgprs: 0
; TotalNumVgprs: 35
; ScratchSize: 0
; MemoryBound: 0
; FloatMode: 240
; IeeeMode: 1
; LDSByteSize: 0 bytes/workgroup (compile time only)
; SGPRBlocks: 4
; VGPRBlocks: 4
; NumSGPRsForWavesPerEU: 33
; NumVGPRsForWavesPerEU: 35
; AccumOffset: 36
; Occupancy: 8
; WaveLimiterHint : 0
; COMPUTE_PGM_RSRC2:SCRATCH_EN: 0
; COMPUTE_PGM_RSRC2:USER_SGPR: 6
; COMPUTE_PGM_RSRC2:TRAP_HANDLER: 0
; COMPUTE_PGM_RSRC2:TGID_X_EN: 1
; COMPUTE_PGM_RSRC2:TGID_Y_EN: 0
; COMPUTE_PGM_RSRC2:TGID_Z_EN: 0
; COMPUTE_PGM_RSRC2:TIDIG_COMP_CNT: 0
; COMPUTE_PGM_RSRC3_GFX90A:ACCUM_OFFSET: 8
; COMPUTE_PGM_RSRC3_GFX90A:TG_SPLIT: 0
	.section	.text._ZN2at6native12_GLOBAL__N_125multi_tensor_apply_kernelINS1_18TensorListMetadataILi2EEENS1_21BinaryOpScalarFunctorIsLi2ELi1ELi1EEEJSt10multipliesIsEsEEEvT_T0_DpT1_,"axG",@progbits,_ZN2at6native12_GLOBAL__N_125multi_tensor_apply_kernelINS1_18TensorListMetadataILi2EEENS1_21BinaryOpScalarFunctorIsLi2ELi1ELi1EEEJSt10multipliesIsEsEEEvT_T0_DpT1_,comdat
	.globl	_ZN2at6native12_GLOBAL__N_125multi_tensor_apply_kernelINS1_18TensorListMetadataILi2EEENS1_21BinaryOpScalarFunctorIsLi2ELi1ELi1EEEJSt10multipliesIsEsEEEvT_T0_DpT1_ ; -- Begin function _ZN2at6native12_GLOBAL__N_125multi_tensor_apply_kernelINS1_18TensorListMetadataILi2EEENS1_21BinaryOpScalarFunctorIsLi2ELi1ELi1EEEJSt10multipliesIsEsEEEvT_T0_DpT1_
	.p2align	8
	.type	_ZN2at6native12_GLOBAL__N_125multi_tensor_apply_kernelINS1_18TensorListMetadataILi2EEENS1_21BinaryOpScalarFunctorIsLi2ELi1ELi1EEEJSt10multipliesIsEsEEEvT_T0_DpT1_,@function
_ZN2at6native12_GLOBAL__N_125multi_tensor_apply_kernelINS1_18TensorListMetadataILi2EEENS1_21BinaryOpScalarFunctorIsLi2ELi1ELi1EEEJSt10multipliesIsEsEEEvT_T0_DpT1_: ; @_ZN2at6native12_GLOBAL__N_125multi_tensor_apply_kernelINS1_18TensorListMetadataILi2EEENS1_21BinaryOpScalarFunctorIsLi2ELi1ELi1EEEJSt10multipliesIsEsEEEvT_T0_DpT1_
; %bb.0:
	v_mov_b32_e32 v1, s6
	global_load_ubyte v1, v1, s[4:5] offset:1536
	s_load_dword s0, s[4:5], 0xc48
	s_mul_i32 s7, s6, 3
	s_mul_hi_u32 s2, s6, 3
	s_mov_b32 s1, 0
	s_mov_b32 s3, s1
	s_waitcnt lgkmcnt(0)
	s_lshr_b32 s24, s0, 16
	s_add_u32 s0, s4, s6
	s_addc_u32 s8, s5, 0
	s_add_u32 s6, s0, s7
	s_addc_u32 s7, s8, s2
	s_waitcnt vmcnt(0)
	v_readfirstlane_b32 s0, v1
	s_lshl_b32 s0, s0, 3
	s_load_dword s8, s[6:7], 0x740
	s_load_dwordx2 s[10:11], s[4:5], s0 offset:0x0
	s_load_dwordx2 s[14:15], s[4:5], s0 offset:0x400
	;; [unrolled: 1-line block ×3, first 2 shown]
	s_mov_b32 s7, s1
	s_waitcnt lgkmcnt(0)
	s_ashr_i32 s9, s8, 31
	s_and_b32 s0, s10, 7
	s_and_b32 s6, s14, 3
	;; [unrolled: 1-line block ×3, first 2 shown]
	s_or_b64 s[0:1], s[0:1], s[6:7]
	s_lshl_b64 s[16:17], s[8:9], 17
	s_or_b64 s[0:1], s[2:3], s[0:1]
	s_lshl_b64 s[2:3], s[8:9], 16
	s_sub_u32 s14, s14, s2
	s_subb_u32 s15, s15, s3
	s_cmp_eq_u64 s[0:1], 0
	s_mov_b64 s[0:1], -1
	s_cbranch_scc1 .LBB40_21
; %bb.1:
	v_cmp_lt_i64_e64 s[0:1], s[14:15], 1
	s_and_b64 vcc, exec, s[0:1]
	s_cbranch_vccnz .LBB40_20
; %bb.2:
	s_load_dword s0, s[4:5], 0xc5c
	v_mov_b32_e32 v2, 0x10000
	v_mov_b32_e32 v3, 0
	v_cmp_lt_u64_e32 vcc, s[14:15], v[2:3]
	v_lshlrev_b32_e32 v10, 1, v0
	s_waitcnt lgkmcnt(0)
	s_and_b32 s2, s0, 0xffff
	s_and_b64 s[0:1], vcc, exec
	v_mov_b32_e32 v13, s11
	v_add_co_u32_e32 v2, vcc, s10, v10
	v_addc_co_u32_e32 v1, vcc, 0, v13, vcc
	v_mov_b32_e32 v11, 0
	v_mov_b32_e32 v15, s13
	v_add_co_u32_e32 v4, vcc, s12, v10
	v_addc_co_u32_e32 v3, vcc, 0, v15, vcc
	v_mad_u64_u32 v[8:9], s[0:1], s2, 6, v[10:11]
	v_add_co_u32_e32 v6, vcc, s10, v8
	v_addc_co_u32_e32 v5, vcc, v13, v9, vcc
	v_add_co_u32_e32 v8, vcc, s12, v8
	s_mul_i32 s6, s2, 3
	v_addc_co_u32_e32 v7, vcc, v15, v9, vcc
	s_cselect_b32 s19, s15, 0
	s_cselect_b32 s18, s14, 0x10000
	s_lshl_b32 s26, s2, 2
	v_add_co_u32_e32 v17, vcc, s6, v0
	v_addc_co_u32_e64 v18, s[0:1], 0, 0, vcc
	v_add_co_u32_e32 v11, vcc, s26, v10
	v_addc_co_u32_e64 v14, s[0:1], 0, 0, vcc
	v_add_co_u32_e32 v10, vcc, s10, v11
	v_addc_co_u32_e32 v9, vcc, v13, v14, vcc
	v_add_co_u32_e32 v12, vcc, s12, v11
	s_lshl_b32 s3, s2, 1
	v_addc_co_u32_e32 v11, vcc, v15, v14, vcc
	v_add_co_u32_e32 v19, vcc, s3, v0
	v_addc_co_u32_e64 v20, s[0:1], 0, 0, vcc
	v_add_co_u32_e32 v21, vcc, s2, v0
	v_lshlrev_b32_e32 v16, 1, v21
	v_addc_co_u32_e64 v22, s[0:1], 0, 0, vcc
	v_add_co_u32_e32 v14, vcc, s10, v16
	v_addc_co_u32_e32 v13, vcc, 0, v13, vcc
	v_add_co_u32_e32 v16, vcc, s12, v16
	s_mov_b32 s25, 0
	s_lshl_b32 s27, s2, 3
	v_addc_co_u32_e32 v15, vcc, 0, v15, vcc
	s_mov_b64 s[20:21], 0
	s_branch .LBB40_4
.LBB40_3:                               ;   in Loop: Header=BB40_4 Depth=1
	s_or_b64 exec, exec, s[0:1]
	s_add_u32 s20, s20, s26
	s_addc_u32 s21, s21, 0
	s_waitcnt vmcnt(0)
	v_pk_mov_b32 v[24:25], s[14:15], s[14:15] op_sel:[0,1]
	v_cmp_lt_i64_e32 vcc, s[20:21], v[24:25]
	v_mov_b32_e32 v24, 0x10000
	v_mov_b32_e32 v25, 0
	v_cmp_lt_u64_e64 s[0:1], s[20:21], v[24:25]
	s_and_b64 s[0:1], vcc, s[0:1]
	v_mov_b32_e32 v23, s25
	v_add_co_u32_e32 v2, vcc, s27, v2
	v_addc_co_u32_e32 v1, vcc, v1, v23, vcc
	v_add_co_u32_e32 v4, vcc, s27, v4
	v_addc_co_u32_e32 v3, vcc, v3, v23, vcc
	;; [unrolled: 2-line block ×8, first 2 shown]
	s_and_b64 vcc, exec, s[0:1]
	s_cbranch_vccz .LBB40_20
.LBB40_4:                               ; =>This Inner Loop Header: Depth=1
	v_mov_b32_e32 v23, s21
	v_add_co_u32_e32 v24, vcc, s20, v0
	v_addc_co_u32_e32 v25, vcc, 0, v23, vcc
	v_cmp_gt_u64_e32 vcc, s[18:19], v[24:25]
	v_mov_b32_e32 v23, 0
	s_and_saveexec_b64 s[2:3], vcc
	s_cbranch_execz .LBB40_6
; %bb.5:                                ;   in Loop: Header=BB40_4 Depth=1
	v_mov_b32_e32 v23, s17
	v_add_co_u32_e64 v24, s[0:1], s16, v2
	v_addc_co_u32_e64 v25, s[0:1], v1, v23, s[0:1]
	global_load_ushort v23, v[24:25], off
.LBB40_6:                               ;   in Loop: Header=BB40_4 Depth=1
	s_or_b64 exec, exec, s[2:3]
	v_mov_b32_e32 v25, s21
	v_add_co_u32_e64 v24, s[0:1], s20, v21
	v_addc_co_u32_e64 v25, s[0:1], v22, v25, s[0:1]
	v_cmp_gt_u64_e64 s[0:1], s[18:19], v[24:25]
	v_mov_b32_e32 v25, 0
	s_and_saveexec_b64 s[6:7], s[0:1]
	s_cbranch_execz .LBB40_8
; %bb.7:                                ;   in Loop: Header=BB40_4 Depth=1
	v_mov_b32_e32 v25, s17
	v_add_co_u32_e64 v24, s[2:3], s16, v14
	v_addc_co_u32_e64 v25, s[2:3], v13, v25, s[2:3]
	global_load_ushort v25, v[24:25], off
.LBB40_8:                               ;   in Loop: Header=BB40_4 Depth=1
	s_or_b64 exec, exec, s[6:7]
	v_mov_b32_e32 v24, s21
	v_add_co_u32_e64 v26, s[2:3], s20, v19
	v_addc_co_u32_e64 v27, s[2:3], v20, v24, s[2:3]
	v_cmp_gt_u64_e64 s[2:3], s[18:19], v[26:27]
	v_mov_b32_e32 v24, 0
	v_mov_b32_e32 v26, 0
	s_and_saveexec_b64 s[8:9], s[2:3]
	s_cbranch_execz .LBB40_10
; %bb.9:                                ;   in Loop: Header=BB40_4 Depth=1
	v_mov_b32_e32 v27, s17
	v_add_co_u32_e64 v26, s[6:7], s16, v10
	v_addc_co_u32_e64 v27, s[6:7], v9, v27, s[6:7]
	global_load_ushort v26, v[26:27], off
.LBB40_10:                              ;   in Loop: Header=BB40_4 Depth=1
	s_or_b64 exec, exec, s[8:9]
	v_mov_b32_e32 v27, s21
	v_add_co_u32_e64 v28, s[6:7], s20, v17
	v_addc_co_u32_e64 v29, s[6:7], v18, v27, s[6:7]
	v_cmp_gt_u64_e64 s[6:7], s[18:19], v[28:29]
	s_and_saveexec_b64 s[22:23], s[6:7]
	s_cbranch_execnz .LBB40_15
; %bb.11:                               ;   in Loop: Header=BB40_4 Depth=1
	s_or_b64 exec, exec, s[22:23]
	s_and_saveexec_b64 s[8:9], vcc
	s_cbranch_execnz .LBB40_16
.LBB40_12:                              ;   in Loop: Header=BB40_4 Depth=1
	s_or_b64 exec, exec, s[8:9]
	s_and_saveexec_b64 s[8:9], s[0:1]
	s_cbranch_execnz .LBB40_17
.LBB40_13:                              ;   in Loop: Header=BB40_4 Depth=1
	s_or_b64 exec, exec, s[8:9]
	s_and_saveexec_b64 s[0:1], s[2:3]
	s_cbranch_execnz .LBB40_18
.LBB40_14:                              ;   in Loop: Header=BB40_4 Depth=1
	s_or_b64 exec, exec, s[0:1]
	s_and_saveexec_b64 s[0:1], s[6:7]
	s_cbranch_execz .LBB40_3
	s_branch .LBB40_19
.LBB40_15:                              ;   in Loop: Header=BB40_4 Depth=1
	v_mov_b32_e32 v24, s17
	v_add_co_u32_e64 v28, s[8:9], s16, v6
	v_addc_co_u32_e64 v29, s[8:9], v5, v24, s[8:9]
	global_load_ushort v24, v[28:29], off
	s_or_b64 exec, exec, s[22:23]
	s_and_saveexec_b64 s[8:9], vcc
	s_cbranch_execz .LBB40_12
.LBB40_16:                              ;   in Loop: Header=BB40_4 Depth=1
	v_mov_b32_e32 v27, s17
	v_add_co_u32_e32 v28, vcc, s16, v4
	s_waitcnt vmcnt(0)
	v_mul_lo_u16_e32 v23, s24, v23
	v_addc_co_u32_e32 v29, vcc, v3, v27, vcc
	global_store_short v[28:29], v23, off
	s_or_b64 exec, exec, s[8:9]
	s_and_saveexec_b64 s[8:9], s[0:1]
	s_cbranch_execz .LBB40_13
.LBB40_17:                              ;   in Loop: Header=BB40_4 Depth=1
	s_waitcnt vmcnt(0)
	v_mul_lo_u16_e32 v23, s24, v25
	v_mov_b32_e32 v25, s17
	v_add_co_u32_e32 v28, vcc, s16, v16
	v_addc_co_u32_e32 v29, vcc, v15, v25, vcc
	global_store_short v[28:29], v23, off
	s_or_b64 exec, exec, s[8:9]
	s_and_saveexec_b64 s[0:1], s[2:3]
	s_cbranch_execz .LBB40_14
.LBB40_18:                              ;   in Loop: Header=BB40_4 Depth=1
	s_waitcnt vmcnt(0)
	v_mul_lo_u16_e32 v23, s24, v26
	v_mov_b32_e32 v25, s17
	v_add_co_u32_e32 v26, vcc, s16, v12
	v_addc_co_u32_e32 v27, vcc, v11, v25, vcc
	global_store_short v[26:27], v23, off
	s_or_b64 exec, exec, s[0:1]
	s_and_saveexec_b64 s[0:1], s[6:7]
	s_cbranch_execz .LBB40_3
.LBB40_19:                              ;   in Loop: Header=BB40_4 Depth=1
	s_waitcnt vmcnt(0)
	v_mul_lo_u16_e32 v23, s24, v24
	v_mov_b32_e32 v25, s17
	v_add_co_u32_e32 v24, vcc, s16, v8
	v_addc_co_u32_e32 v25, vcc, v7, v25, vcc
	global_store_short v[24:25], v23, off
	s_branch .LBB40_3
.LBB40_20:
	s_mov_b64 s[0:1], 0
.LBB40_21:
	s_andn2_b64 vcc, exec, s[0:1]
	s_cbranch_vccnz .LBB40_25
; %bb.22:
	v_mov_b32_e32 v3, 0
	v_lshlrev_b32_e32 v2, 2, v0
	s_mov_b32 s0, 0
	v_cmp_gt_i64_e32 vcc, s[14:15], v[2:3]
	s_and_saveexec_b64 s[2:3], vcc
	s_cbranch_execz .LBB40_25
; %bb.23:
	s_load_dword s1, s[4:5], 0xc5c
	v_lshlrev_b32_e32 v1, 3, v0
	v_mov_b32_e32 v2, s17
	v_add_co_u32_e32 v4, vcc, s16, v1
	s_waitcnt lgkmcnt(0)
	s_and_b32 s1, s1, 0xffff
	v_addc_co_u32_e32 v1, vcc, 0, v2, vcc
	s_lshl_b32 s8, s1, 3
	v_add_lshl_u32 v2, v0, s1, 2
	s_lshl_b32 s9, s1, 2
	s_mov_b64 s[4:5], 0
	v_mov_b32_e32 v0, s11
	v_mov_b32_e32 v5, s13
	s_mov_b64 s[6:7], 0xffff
	v_mov_b32_e32 v6, s0
	v_mov_b32_e32 v7, s0
.LBB40_24:                              ; =>This Inner Loop Header: Depth=1
	v_add_co_u32_e32 v8, vcc, s10, v4
	v_addc_co_u32_e32 v9, vcc, v0, v1, vcc
	global_load_dwordx2 v[8:9], v[8:9], off
	v_add_co_u32_e32 v10, vcc, s12, v4
	v_addc_co_u32_e32 v11, vcc, v5, v1, vcc
	v_cmp_le_i64_e32 vcc, s[14:15], v[2:3]
	v_cmp_lt_u64_e64 s[0:1], s[6:7], v[2:3]
	v_add_co_u32_e64 v4, s[2:3], s8, v4
	v_addc_co_u32_e64 v1, s[2:3], v1, v6, s[2:3]
	s_or_b64 s[0:1], vcc, s[0:1]
	v_add_co_u32_e64 v2, s[2:3], s9, v2
	s_and_b64 s[0:1], exec, s[0:1]
	v_addc_co_u32_e64 v3, s[2:3], v3, v7, s[2:3]
	s_or_b64 s[4:5], s[0:1], s[4:5]
	s_waitcnt vmcnt(0)
	v_mul_lo_u16_sdwa v12, v8, s24 dst_sel:WORD_1 dst_unused:UNUSED_PAD src0_sel:WORD_1 src1_sel:DWORD
	v_mul_lo_u16_sdwa v13, v9, s24 dst_sel:WORD_1 dst_unused:UNUSED_PAD src0_sel:WORD_1 src1_sel:DWORD
	v_mul_lo_u16_e32 v9, s24, v9
	v_mul_lo_u16_e32 v8, s24, v8
	v_or_b32_e32 v9, v13, v9
	v_or_b32_e32 v8, v12, v8
	global_store_dwordx2 v[10:11], v[8:9], off
	s_andn2_b64 exec, exec, s[4:5]
	s_cbranch_execnz .LBB40_24
.LBB40_25:
	s_endpgm
	.section	.rodata,"a",@progbits
	.p2align	6, 0x0
	.amdhsa_kernel _ZN2at6native12_GLOBAL__N_125multi_tensor_apply_kernelINS1_18TensorListMetadataILi2EEENS1_21BinaryOpScalarFunctorIsLi2ELi1ELi1EEEJSt10multipliesIsEsEEEvT_T0_DpT1_
		.amdhsa_group_segment_fixed_size 0
		.amdhsa_private_segment_fixed_size 0
		.amdhsa_kernarg_size 3408
		.amdhsa_user_sgpr_count 6
		.amdhsa_user_sgpr_private_segment_buffer 1
		.amdhsa_user_sgpr_dispatch_ptr 0
		.amdhsa_user_sgpr_queue_ptr 0
		.amdhsa_user_sgpr_kernarg_segment_ptr 1
		.amdhsa_user_sgpr_dispatch_id 0
		.amdhsa_user_sgpr_flat_scratch_init 0
		.amdhsa_user_sgpr_kernarg_preload_length 0
		.amdhsa_user_sgpr_kernarg_preload_offset 0
		.amdhsa_user_sgpr_private_segment_size 0
		.amdhsa_uses_dynamic_stack 0
		.amdhsa_system_sgpr_private_segment_wavefront_offset 0
		.amdhsa_system_sgpr_workgroup_id_x 1
		.amdhsa_system_sgpr_workgroup_id_y 0
		.amdhsa_system_sgpr_workgroup_id_z 0
		.amdhsa_system_sgpr_workgroup_info 0
		.amdhsa_system_vgpr_workitem_id 0
		.amdhsa_next_free_vgpr 30
		.amdhsa_next_free_sgpr 28
		.amdhsa_accum_offset 32
		.amdhsa_reserve_vcc 1
		.amdhsa_reserve_flat_scratch 0
		.amdhsa_float_round_mode_32 0
		.amdhsa_float_round_mode_16_64 0
		.amdhsa_float_denorm_mode_32 3
		.amdhsa_float_denorm_mode_16_64 3
		.amdhsa_dx10_clamp 1
		.amdhsa_ieee_mode 1
		.amdhsa_fp16_overflow 0
		.amdhsa_tg_split 0
		.amdhsa_exception_fp_ieee_invalid_op 0
		.amdhsa_exception_fp_denorm_src 0
		.amdhsa_exception_fp_ieee_div_zero 0
		.amdhsa_exception_fp_ieee_overflow 0
		.amdhsa_exception_fp_ieee_underflow 0
		.amdhsa_exception_fp_ieee_inexact 0
		.amdhsa_exception_int_div_zero 0
	.end_amdhsa_kernel
	.section	.text._ZN2at6native12_GLOBAL__N_125multi_tensor_apply_kernelINS1_18TensorListMetadataILi2EEENS1_21BinaryOpScalarFunctorIsLi2ELi1ELi1EEEJSt10multipliesIsEsEEEvT_T0_DpT1_,"axG",@progbits,_ZN2at6native12_GLOBAL__N_125multi_tensor_apply_kernelINS1_18TensorListMetadataILi2EEENS1_21BinaryOpScalarFunctorIsLi2ELi1ELi1EEEJSt10multipliesIsEsEEEvT_T0_DpT1_,comdat
.Lfunc_end40:
	.size	_ZN2at6native12_GLOBAL__N_125multi_tensor_apply_kernelINS1_18TensorListMetadataILi2EEENS1_21BinaryOpScalarFunctorIsLi2ELi1ELi1EEEJSt10multipliesIsEsEEEvT_T0_DpT1_, .Lfunc_end40-_ZN2at6native12_GLOBAL__N_125multi_tensor_apply_kernelINS1_18TensorListMetadataILi2EEENS1_21BinaryOpScalarFunctorIsLi2ELi1ELi1EEEJSt10multipliesIsEsEEEvT_T0_DpT1_
                                        ; -- End function
	.section	.AMDGPU.csdata,"",@progbits
; Kernel info:
; codeLenInByte = 1268
; NumSgprs: 32
; NumVgprs: 30
; NumAgprs: 0
; TotalNumVgprs: 30
; ScratchSize: 0
; MemoryBound: 0
; FloatMode: 240
; IeeeMode: 1
; LDSByteSize: 0 bytes/workgroup (compile time only)
; SGPRBlocks: 3
; VGPRBlocks: 3
; NumSGPRsForWavesPerEU: 32
; NumVGPRsForWavesPerEU: 30
; AccumOffset: 32
; Occupancy: 8
; WaveLimiterHint : 0
; COMPUTE_PGM_RSRC2:SCRATCH_EN: 0
; COMPUTE_PGM_RSRC2:USER_SGPR: 6
; COMPUTE_PGM_RSRC2:TRAP_HANDLER: 0
; COMPUTE_PGM_RSRC2:TGID_X_EN: 1
; COMPUTE_PGM_RSRC2:TGID_Y_EN: 0
; COMPUTE_PGM_RSRC2:TGID_Z_EN: 0
; COMPUTE_PGM_RSRC2:TIDIG_COMP_CNT: 0
; COMPUTE_PGM_RSRC3_GFX90A:ACCUM_OFFSET: 7
; COMPUTE_PGM_RSRC3_GFX90A:TG_SPLIT: 0
	.section	.text._ZN2at6native12_GLOBAL__N_125multi_tensor_apply_kernelINS1_18TensorListMetadataILi2EEENS1_21BinaryOpScalarFunctorIdLi2ELi1ELi1EEEJSt10multipliesIdEdEEEvT_T0_DpT1_,"axG",@progbits,_ZN2at6native12_GLOBAL__N_125multi_tensor_apply_kernelINS1_18TensorListMetadataILi2EEENS1_21BinaryOpScalarFunctorIdLi2ELi1ELi1EEEJSt10multipliesIdEdEEEvT_T0_DpT1_,comdat
	.globl	_ZN2at6native12_GLOBAL__N_125multi_tensor_apply_kernelINS1_18TensorListMetadataILi2EEENS1_21BinaryOpScalarFunctorIdLi2ELi1ELi1EEEJSt10multipliesIdEdEEEvT_T0_DpT1_ ; -- Begin function _ZN2at6native12_GLOBAL__N_125multi_tensor_apply_kernelINS1_18TensorListMetadataILi2EEENS1_21BinaryOpScalarFunctorIdLi2ELi1ELi1EEEJSt10multipliesIdEdEEEvT_T0_DpT1_
	.p2align	8
	.type	_ZN2at6native12_GLOBAL__N_125multi_tensor_apply_kernelINS1_18TensorListMetadataILi2EEENS1_21BinaryOpScalarFunctorIdLi2ELi1ELi1EEEJSt10multipliesIdEdEEEvT_T0_DpT1_,@function
_ZN2at6native12_GLOBAL__N_125multi_tensor_apply_kernelINS1_18TensorListMetadataILi2EEENS1_21BinaryOpScalarFunctorIdLi2ELi1ELi1EEEJSt10multipliesIdEdEEEvT_T0_DpT1_: ; @_ZN2at6native12_GLOBAL__N_125multi_tensor_apply_kernelINS1_18TensorListMetadataILi2EEENS1_21BinaryOpScalarFunctorIdLi2ELi1ELi1EEEJSt10multipliesIdEdEEEvT_T0_DpT1_
; %bb.0:
	v_mov_b32_e32 v1, s6
	global_load_ubyte v1, v1, s[4:5] offset:1536
	s_add_u32 s0, s4, s6
	s_mul_hi_u32 s1, s6, 3
	s_mul_i32 s6, s6, 3
	s_addc_u32 s2, s5, 0
	s_add_u32 s0, s0, s6
	s_addc_u32 s1, s2, s1
	s_load_dword s6, s[0:1], 0x740
	s_mov_b32 s9, 0
	s_mov_b32 s17, s9
	;; [unrolled: 1-line block ×3, first 2 shown]
	s_waitcnt lgkmcnt(0)
	s_ashr_i32 s7, s6, 31
	s_lshl_b64 s[14:15], s[6:7], 19
	s_waitcnt vmcnt(0)
	v_readfirstlane_b32 s0, v1
	s_lshl_b32 s8, s0, 3
	s_load_dwordx2 s[2:3], s[4:5], s8 offset:0x0
	s_load_dwordx2 s[10:11], s[4:5], 0xc50
	s_load_dwordx2 s[18:19], s[4:5], s8 offset:0x400
	s_load_dwordx2 s[0:1], s[4:5], s8 offset:0x200
	s_waitcnt lgkmcnt(0)
	s_add_u32 s22, s2, s14
	s_addc_u32 s23, s3, s15
	s_and_b32 s8, s22, 31
	s_add_u32 s24, s0, s14
	s_addc_u32 s25, s1, s15
	s_and_b32 s16, s18, 3
	s_and_b32 s12, s24, 31
	s_or_b64 s[8:9], s[8:9], s[16:17]
	s_or_b64 s[8:9], s[12:13], s[8:9]
	s_lshl_b64 s[6:7], s[6:7], 16
	s_sub_u32 s12, s18, s6
	s_subb_u32 s13, s19, s7
	s_cmp_eq_u64 s[8:9], 0
	s_mov_b64 s[6:7], -1
	s_cbranch_scc1 .LBB41_21
; %bb.1:
	v_cmp_lt_i64_e64 s[6:7], s[12:13], 1
	s_and_b64 vcc, exec, s[6:7]
	s_cbranch_vccnz .LBB41_20
; %bb.2:
	s_load_dword s6, s[4:5], 0xc64
	v_mov_b32_e32 v2, 0x10000
	v_mov_b32_e32 v3, 0
	v_cmp_lt_u64_e32 vcc, s[12:13], v[2:3]
	v_lshlrev_b32_e32 v10, 3, v0
	s_waitcnt lgkmcnt(0)
	s_and_b32 s8, s6, 0xffff
	s_and_b64 s[6:7], vcc, exec
	v_mov_b32_e32 v13, s3
	v_add_co_u32_e32 v2, vcc, s2, v10
	v_addc_co_u32_e32 v1, vcc, 0, v13, vcc
	v_mov_b32_e32 v11, 0
	v_mov_b32_e32 v15, s1
	v_add_co_u32_e32 v4, vcc, s0, v10
	v_addc_co_u32_e32 v3, vcc, 0, v15, vcc
	v_mad_u64_u32 v[8:9], s[6:7], s8, 24, v[10:11]
	v_add_co_u32_e32 v6, vcc, s2, v8
	v_addc_co_u32_e32 v5, vcc, v13, v9, vcc
	v_add_co_u32_e32 v8, vcc, s0, v8
	s_mul_i32 s18, s8, 3
	v_addc_co_u32_e32 v7, vcc, v15, v9, vcc
	s_cselect_b32 s17, s13, 0
	s_cselect_b32 s16, s12, 0x10000
	v_add_co_u32_e32 v17, vcc, s18, v0
	s_lshl_b32 s1, s8, 4
	v_addc_co_u32_e64 v26, s[6:7], 0, 0, vcc
	v_add_co_u32_e32 v11, vcc, s1, v10
	v_addc_co_u32_e64 v14, s[6:7], 0, 0, vcc
	v_add_co_u32_e32 v10, vcc, s2, v11
	v_addc_co_u32_e32 v9, vcc, v13, v14, vcc
	v_add_co_u32_e32 v12, vcc, s0, v11
	s_lshl_b32 s9, s8, 1
	v_addc_co_u32_e32 v11, vcc, v15, v14, vcc
	v_add_co_u32_e32 v27, vcc, s9, v0
	v_addc_co_u32_e64 v28, s[6:7], 0, 0, vcc
	v_add_co_u32_e32 v29, vcc, s8, v0
	v_lshlrev_b32_e32 v16, 3, v29
	v_addc_co_u32_e64 v30, s[6:7], 0, 0, vcc
	v_add_co_u32_e32 v14, vcc, s2, v16
	v_addc_co_u32_e32 v13, vcc, 0, v13, vcc
	v_add_co_u32_e32 v16, vcc, s0, v16
	s_mov_b32 s26, 0
	s_lshl_b32 s27, s8, 2
	s_lshl_b32 s28, s8, 5
	v_addc_co_u32_e32 v15, vcc, 0, v15, vcc
	s_mov_b64 s[18:19], 0
	s_branch .LBB41_4
.LBB41_3:                               ;   in Loop: Header=BB41_4 Depth=1
	s_or_b64 exec, exec, s[0:1]
	s_add_u32 s18, s18, s27
	s_addc_u32 s19, s19, 0
	s_waitcnt vmcnt(0)
	v_pk_mov_b32 v[18:19], s[12:13], s[12:13] op_sel:[0,1]
	v_cmp_lt_i64_e32 vcc, s[18:19], v[18:19]
	v_mov_b32_e32 v18, 0x10000
	v_mov_b32_e32 v19, 0
	v_cmp_lt_u64_e64 s[0:1], s[18:19], v[18:19]
	s_and_b64 s[0:1], vcc, s[0:1]
	v_mov_b32_e32 v18, s26
	v_add_co_u32_e32 v2, vcc, s28, v2
	v_addc_co_u32_e32 v1, vcc, v1, v18, vcc
	v_add_co_u32_e32 v4, vcc, s28, v4
	v_addc_co_u32_e32 v3, vcc, v3, v18, vcc
	;; [unrolled: 2-line block ×8, first 2 shown]
	s_and_b64 vcc, exec, s[0:1]
	s_cbranch_vccz .LBB41_20
.LBB41_4:                               ; =>This Inner Loop Header: Depth=1
	v_mov_b32_e32 v19, s19
	v_add_co_u32_e32 v18, vcc, s18, v0
	v_addc_co_u32_e32 v19, vcc, 0, v19, vcc
	v_cmp_gt_u64_e32 vcc, s[16:17], v[18:19]
	v_pk_mov_b32 v[18:19], 0, 0
	v_pk_mov_b32 v[20:21], v[18:19], v[18:19] op_sel:[0,1]
	s_and_saveexec_b64 s[2:3], vcc
	s_cbranch_execz .LBB41_6
; %bb.5:                                ;   in Loop: Header=BB41_4 Depth=1
	v_mov_b32_e32 v21, s15
	v_add_co_u32_e64 v20, s[0:1], s14, v2
	v_addc_co_u32_e64 v21, s[0:1], v1, v21, s[0:1]
	global_load_dwordx2 v[20:21], v[20:21], off
.LBB41_6:                               ;   in Loop: Header=BB41_4 Depth=1
	s_or_b64 exec, exec, s[2:3]
	v_mov_b32_e32 v23, s19
	v_add_co_u32_e64 v22, s[0:1], s18, v29
	v_addc_co_u32_e64 v23, s[0:1], v30, v23, s[0:1]
	v_cmp_gt_u64_e64 s[0:1], s[16:17], v[22:23]
	s_and_saveexec_b64 s[6:7], s[0:1]
	s_cbranch_execz .LBB41_8
; %bb.7:                                ;   in Loop: Header=BB41_4 Depth=1
	v_mov_b32_e32 v19, s15
	v_add_co_u32_e64 v18, s[2:3], s14, v14
	v_addc_co_u32_e64 v19, s[2:3], v13, v19, s[2:3]
	global_load_dwordx2 v[18:19], v[18:19], off
.LBB41_8:                               ;   in Loop: Header=BB41_4 Depth=1
	s_or_b64 exec, exec, s[6:7]
	v_mov_b32_e32 v23, s19
	v_add_co_u32_e64 v22, s[2:3], s18, v27
	v_addc_co_u32_e64 v23, s[2:3], v28, v23, s[2:3]
	v_cmp_gt_u64_e64 s[2:3], s[16:17], v[22:23]
	v_pk_mov_b32 v[22:23], 0, 0
	v_pk_mov_b32 v[24:25], v[22:23], v[22:23] op_sel:[0,1]
	s_and_saveexec_b64 s[8:9], s[2:3]
	s_cbranch_execz .LBB41_10
; %bb.9:                                ;   in Loop: Header=BB41_4 Depth=1
	v_mov_b32_e32 v25, s15
	v_add_co_u32_e64 v24, s[6:7], s14, v10
	v_addc_co_u32_e64 v25, s[6:7], v9, v25, s[6:7]
	global_load_dwordx2 v[24:25], v[24:25], off
.LBB41_10:                              ;   in Loop: Header=BB41_4 Depth=1
	s_or_b64 exec, exec, s[8:9]
	v_mov_b32_e32 v31, s19
	v_add_co_u32_e64 v32, s[6:7], s18, v17
	v_addc_co_u32_e64 v33, s[6:7], v26, v31, s[6:7]
	v_cmp_gt_u64_e64 s[6:7], s[16:17], v[32:33]
	s_and_saveexec_b64 s[20:21], s[6:7]
	s_cbranch_execnz .LBB41_15
; %bb.11:                               ;   in Loop: Header=BB41_4 Depth=1
	s_or_b64 exec, exec, s[20:21]
	s_and_saveexec_b64 s[8:9], vcc
	s_cbranch_execnz .LBB41_16
.LBB41_12:                              ;   in Loop: Header=BB41_4 Depth=1
	s_or_b64 exec, exec, s[8:9]
	s_and_saveexec_b64 s[8:9], s[0:1]
	s_cbranch_execnz .LBB41_17
.LBB41_13:                              ;   in Loop: Header=BB41_4 Depth=1
	s_or_b64 exec, exec, s[8:9]
	s_and_saveexec_b64 s[0:1], s[2:3]
	s_cbranch_execnz .LBB41_18
.LBB41_14:                              ;   in Loop: Header=BB41_4 Depth=1
	s_or_b64 exec, exec, s[0:1]
	s_and_saveexec_b64 s[0:1], s[6:7]
	s_cbranch_execz .LBB41_3
	s_branch .LBB41_19
.LBB41_15:                              ;   in Loop: Header=BB41_4 Depth=1
	v_mov_b32_e32 v23, s15
	v_add_co_u32_e64 v22, s[8:9], s14, v6
	v_addc_co_u32_e64 v23, s[8:9], v5, v23, s[8:9]
	global_load_dwordx2 v[22:23], v[22:23], off
	s_or_b64 exec, exec, s[20:21]
	s_and_saveexec_b64 s[8:9], vcc
	s_cbranch_execz .LBB41_12
.LBB41_16:                              ;   in Loop: Header=BB41_4 Depth=1
	v_mov_b32_e32 v31, s15
	v_add_co_u32_e32 v32, vcc, s14, v4
	s_waitcnt vmcnt(0)
	v_mul_f64 v[20:21], v[20:21], s[10:11]
	v_addc_co_u32_e32 v33, vcc, v3, v31, vcc
	global_store_dwordx2 v[32:33], v[20:21], off
	s_or_b64 exec, exec, s[8:9]
	s_and_saveexec_b64 s[8:9], s[0:1]
	s_cbranch_execz .LBB41_13
.LBB41_17:                              ;   in Loop: Header=BB41_4 Depth=1
	s_waitcnt vmcnt(0)
	v_mov_b32_e32 v21, s15
	v_add_co_u32_e32 v20, vcc, s14, v16
	v_mul_f64 v[18:19], v[18:19], s[10:11]
	v_addc_co_u32_e32 v21, vcc, v15, v21, vcc
	global_store_dwordx2 v[20:21], v[18:19], off
	s_or_b64 exec, exec, s[8:9]
	s_and_saveexec_b64 s[0:1], s[2:3]
	s_cbranch_execz .LBB41_14
.LBB41_18:                              ;   in Loop: Header=BB41_4 Depth=1
	s_waitcnt vmcnt(0)
	v_mov_b32_e32 v21, s15
	v_add_co_u32_e32 v20, vcc, s14, v12
	v_mul_f64 v[18:19], v[24:25], s[10:11]
	v_addc_co_u32_e32 v21, vcc, v11, v21, vcc
	global_store_dwordx2 v[20:21], v[18:19], off
	s_or_b64 exec, exec, s[0:1]
	s_and_saveexec_b64 s[0:1], s[6:7]
	s_cbranch_execz .LBB41_3
.LBB41_19:                              ;   in Loop: Header=BB41_4 Depth=1
	s_waitcnt vmcnt(0)
	v_mov_b32_e32 v21, s15
	v_add_co_u32_e32 v20, vcc, s14, v8
	v_mul_f64 v[18:19], v[22:23], s[10:11]
	v_addc_co_u32_e32 v21, vcc, v7, v21, vcc
	global_store_dwordx2 v[20:21], v[18:19], off
	s_branch .LBB41_3
.LBB41_20:
	s_mov_b64 s[6:7], 0
.LBB41_21:
	s_andn2_b64 vcc, exec, s[6:7]
	s_cbranch_vccnz .LBB41_25
; %bb.22:
	v_mov_b32_e32 v3, 0
	v_lshlrev_b32_e32 v2, 2, v0
	s_mov_b32 s0, 0
	v_cmp_gt_i64_e32 vcc, s[12:13], v[2:3]
	s_and_saveexec_b64 s[2:3], vcc
	s_cbranch_execz .LBB41_25
; %bb.23:
	s_load_dword s1, s[4:5], 0xc64
	v_lshlrev_b32_e32 v4, 5, v0
	s_mov_b64 s[4:5], 0
	s_mov_b64 s[6:7], 0xffff
	s_waitcnt lgkmcnt(0)
	s_and_b32 s1, s1, 0xffff
	v_add_lshl_u32 v2, v0, s1, 2
	s_lshl_b32 s8, s1, 2
	s_lshl_b32 s9, s1, 5
	v_mov_b32_e32 v0, s0
.LBB41_24:                              ; =>This Inner Loop Header: Depth=1
	v_mov_b32_e32 v1, s23
	v_add_co_u32_e32 v14, vcc, s22, v4
	v_addc_co_u32_e32 v15, vcc, 0, v1, vcc
	global_load_dwordx4 v[6:9], v[14:15], off
	global_load_dwordx4 v[10:13], v[14:15], off offset:16
	v_cmp_le_i64_e32 vcc, s[12:13], v[2:3]
	v_cmp_lt_u64_e64 s[0:1], s[6:7], v[2:3]
	s_or_b64 s[0:1], vcc, s[0:1]
	v_add_co_u32_e64 v2, s[2:3], s8, v2
	s_add_u32 s22, s22, s9
	v_addc_co_u32_e64 v3, s[2:3], v3, v0, s[2:3]
	s_addc_u32 s23, s23, 0
	v_add_co_u32_e64 v14, s[2:3], s24, v4
	s_add_u32 s24, s24, s9
	v_mov_b32_e32 v1, s25
	s_addc_u32 s25, s25, 0
	s_and_b64 s[0:1], exec, s[0:1]
	v_addc_co_u32_e64 v15, s[2:3], 0, v1, s[2:3]
	s_or_b64 s[4:5], s[0:1], s[4:5]
	s_waitcnt vmcnt(1)
	v_mul_f64 v[6:7], v[6:7], s[10:11]
	v_mul_f64 v[8:9], v[8:9], s[10:11]
	s_waitcnt vmcnt(0)
	v_mul_f64 v[10:11], v[10:11], s[10:11]
	v_mul_f64 v[12:13], v[12:13], s[10:11]
	global_store_dwordx4 v[14:15], v[6:9], off
	global_store_dwordx4 v[14:15], v[10:13], off offset:16
	s_andn2_b64 exec, exec, s[4:5]
	s_cbranch_execnz .LBB41_24
.LBB41_25:
	s_endpgm
	.section	.rodata,"a",@progbits
	.p2align	6, 0x0
	.amdhsa_kernel _ZN2at6native12_GLOBAL__N_125multi_tensor_apply_kernelINS1_18TensorListMetadataILi2EEENS1_21BinaryOpScalarFunctorIdLi2ELi1ELi1EEEJSt10multipliesIdEdEEEvT_T0_DpT1_
		.amdhsa_group_segment_fixed_size 0
		.amdhsa_private_segment_fixed_size 0
		.amdhsa_kernarg_size 3416
		.amdhsa_user_sgpr_count 6
		.amdhsa_user_sgpr_private_segment_buffer 1
		.amdhsa_user_sgpr_dispatch_ptr 0
		.amdhsa_user_sgpr_queue_ptr 0
		.amdhsa_user_sgpr_kernarg_segment_ptr 1
		.amdhsa_user_sgpr_dispatch_id 0
		.amdhsa_user_sgpr_flat_scratch_init 0
		.amdhsa_user_sgpr_kernarg_preload_length 0
		.amdhsa_user_sgpr_kernarg_preload_offset 0
		.amdhsa_user_sgpr_private_segment_size 0
		.amdhsa_uses_dynamic_stack 0
		.amdhsa_system_sgpr_private_segment_wavefront_offset 0
		.amdhsa_system_sgpr_workgroup_id_x 1
		.amdhsa_system_sgpr_workgroup_id_y 0
		.amdhsa_system_sgpr_workgroup_id_z 0
		.amdhsa_system_sgpr_workgroup_info 0
		.amdhsa_system_vgpr_workitem_id 0
		.amdhsa_next_free_vgpr 34
		.amdhsa_next_free_sgpr 29
		.amdhsa_accum_offset 36
		.amdhsa_reserve_vcc 1
		.amdhsa_reserve_flat_scratch 0
		.amdhsa_float_round_mode_32 0
		.amdhsa_float_round_mode_16_64 0
		.amdhsa_float_denorm_mode_32 3
		.amdhsa_float_denorm_mode_16_64 3
		.amdhsa_dx10_clamp 1
		.amdhsa_ieee_mode 1
		.amdhsa_fp16_overflow 0
		.amdhsa_tg_split 0
		.amdhsa_exception_fp_ieee_invalid_op 0
		.amdhsa_exception_fp_denorm_src 0
		.amdhsa_exception_fp_ieee_div_zero 0
		.amdhsa_exception_fp_ieee_overflow 0
		.amdhsa_exception_fp_ieee_underflow 0
		.amdhsa_exception_fp_ieee_inexact 0
		.amdhsa_exception_int_div_zero 0
	.end_amdhsa_kernel
	.section	.text._ZN2at6native12_GLOBAL__N_125multi_tensor_apply_kernelINS1_18TensorListMetadataILi2EEENS1_21BinaryOpScalarFunctorIdLi2ELi1ELi1EEEJSt10multipliesIdEdEEEvT_T0_DpT1_,"axG",@progbits,_ZN2at6native12_GLOBAL__N_125multi_tensor_apply_kernelINS1_18TensorListMetadataILi2EEENS1_21BinaryOpScalarFunctorIdLi2ELi1ELi1EEEJSt10multipliesIdEdEEEvT_T0_DpT1_,comdat
.Lfunc_end41:
	.size	_ZN2at6native12_GLOBAL__N_125multi_tensor_apply_kernelINS1_18TensorListMetadataILi2EEENS1_21BinaryOpScalarFunctorIdLi2ELi1ELi1EEEJSt10multipliesIdEdEEEvT_T0_DpT1_, .Lfunc_end41-_ZN2at6native12_GLOBAL__N_125multi_tensor_apply_kernelINS1_18TensorListMetadataILi2EEENS1_21BinaryOpScalarFunctorIdLi2ELi1ELi1EEEJSt10multipliesIdEdEEEvT_T0_DpT1_
                                        ; -- End function
	.section	.AMDGPU.csdata,"",@progbits
; Kernel info:
; codeLenInByte = 1328
; NumSgprs: 33
; NumVgprs: 34
; NumAgprs: 0
; TotalNumVgprs: 34
; ScratchSize: 0
; MemoryBound: 0
; FloatMode: 240
; IeeeMode: 1
; LDSByteSize: 0 bytes/workgroup (compile time only)
; SGPRBlocks: 4
; VGPRBlocks: 4
; NumSGPRsForWavesPerEU: 33
; NumVGPRsForWavesPerEU: 34
; AccumOffset: 36
; Occupancy: 8
; WaveLimiterHint : 0
; COMPUTE_PGM_RSRC2:SCRATCH_EN: 0
; COMPUTE_PGM_RSRC2:USER_SGPR: 6
; COMPUTE_PGM_RSRC2:TRAP_HANDLER: 0
; COMPUTE_PGM_RSRC2:TGID_X_EN: 1
; COMPUTE_PGM_RSRC2:TGID_Y_EN: 0
; COMPUTE_PGM_RSRC2:TGID_Z_EN: 0
; COMPUTE_PGM_RSRC2:TIDIG_COMP_CNT: 0
; COMPUTE_PGM_RSRC3_GFX90A:ACCUM_OFFSET: 8
; COMPUTE_PGM_RSRC3_GFX90A:TG_SPLIT: 0
	.section	.text._ZN2at6native12_GLOBAL__N_125multi_tensor_apply_kernelINS1_18TensorListMetadataILi2EEENS1_21BinaryOpScalarFunctorIfLi2ELi1ELi1EEEJSt10multipliesIfEfEEEvT_T0_DpT1_,"axG",@progbits,_ZN2at6native12_GLOBAL__N_125multi_tensor_apply_kernelINS1_18TensorListMetadataILi2EEENS1_21BinaryOpScalarFunctorIfLi2ELi1ELi1EEEJSt10multipliesIfEfEEEvT_T0_DpT1_,comdat
	.globl	_ZN2at6native12_GLOBAL__N_125multi_tensor_apply_kernelINS1_18TensorListMetadataILi2EEENS1_21BinaryOpScalarFunctorIfLi2ELi1ELi1EEEJSt10multipliesIfEfEEEvT_T0_DpT1_ ; -- Begin function _ZN2at6native12_GLOBAL__N_125multi_tensor_apply_kernelINS1_18TensorListMetadataILi2EEENS1_21BinaryOpScalarFunctorIfLi2ELi1ELi1EEEJSt10multipliesIfEfEEEvT_T0_DpT1_
	.p2align	8
	.type	_ZN2at6native12_GLOBAL__N_125multi_tensor_apply_kernelINS1_18TensorListMetadataILi2EEENS1_21BinaryOpScalarFunctorIfLi2ELi1ELi1EEEJSt10multipliesIfEfEEEvT_T0_DpT1_,@function
_ZN2at6native12_GLOBAL__N_125multi_tensor_apply_kernelINS1_18TensorListMetadataILi2EEENS1_21BinaryOpScalarFunctorIfLi2ELi1ELi1EEEJSt10multipliesIfEfEEEvT_T0_DpT1_: ; @_ZN2at6native12_GLOBAL__N_125multi_tensor_apply_kernelINS1_18TensorListMetadataILi2EEENS1_21BinaryOpScalarFunctorIfLi2ELi1ELi1EEEJSt10multipliesIfEfEEEvT_T0_DpT1_
; %bb.0:
	v_mov_b32_e32 v1, s6
	global_load_ubyte v1, v1, s[4:5] offset:1536
	s_add_u32 s0, s4, s6
	s_mul_hi_u32 s2, s6, 3
	s_mul_i32 s6, s6, 3
	s_addc_u32 s7, s5, 0
	s_add_u32 s6, s0, s6
	s_addc_u32 s7, s7, s2
	s_load_dword s6, s[6:7], 0x740
	s_mov_b32 s1, 0
	s_mov_b32 s17, s1
	;; [unrolled: 1-line block ×3, first 2 shown]
	s_waitcnt lgkmcnt(0)
	s_ashr_i32 s7, s6, 31
	s_lshl_b64 s[18:19], s[6:7], 18
	s_waitcnt vmcnt(0)
	v_readfirstlane_b32 s0, v1
	s_lshl_b32 s0, s0, 3
	s_load_dwordx2 s[10:11], s[4:5], s0 offset:0x0
	s_load_dword s12, s[4:5], 0xc4c
	s_load_dwordx2 s[8:9], s[4:5], s0 offset:0x400
	s_load_dwordx2 s[14:15], s[4:5], s0 offset:0x200
	s_waitcnt lgkmcnt(0)
	s_and_b32 s0, s10, 15
	s_and_b32 s16, s8, 3
	;; [unrolled: 1-line block ×3, first 2 shown]
	s_or_b64 s[0:1], s[0:1], s[16:17]
	s_or_b64 s[0:1], s[2:3], s[0:1]
	s_lshl_b64 s[2:3], s[6:7], 16
	s_sub_u32 s16, s8, s2
	s_subb_u32 s17, s9, s3
	s_cmp_eq_u64 s[0:1], 0
	s_mov_b64 s[0:1], -1
	s_cbranch_scc1 .LBB42_21
; %bb.1:
	v_cmp_lt_i64_e64 s[0:1], s[16:17], 1
	s_and_b64 vcc, exec, s[0:1]
	s_cbranch_vccnz .LBB42_20
; %bb.2:
	s_load_dword s0, s[4:5], 0xc5c
	v_mov_b32_e32 v2, 0x10000
	v_mov_b32_e32 v3, 0
	v_cmp_lt_u64_e32 vcc, s[16:17], v[2:3]
	v_lshlrev_b32_e32 v10, 2, v0
	s_waitcnt lgkmcnt(0)
	s_and_b32 s2, s0, 0xffff
	s_and_b64 s[0:1], vcc, exec
	v_mov_b32_e32 v13, s11
	v_add_co_u32_e32 v2, vcc, s10, v10
	v_addc_co_u32_e32 v1, vcc, 0, v13, vcc
	v_mov_b32_e32 v11, 0
	v_mov_b32_e32 v15, s15
	v_add_co_u32_e32 v4, vcc, s14, v10
	v_addc_co_u32_e32 v3, vcc, 0, v15, vcc
	v_mad_u64_u32 v[8:9], s[0:1], s2, 12, v[10:11]
	v_add_co_u32_e32 v6, vcc, s10, v8
	v_addc_co_u32_e32 v5, vcc, v13, v9, vcc
	v_add_co_u32_e32 v8, vcc, s14, v8
	s_mul_i32 s6, s2, 3
	v_addc_co_u32_e32 v7, vcc, v15, v9, vcc
	v_add_co_u32_e32 v17, vcc, s6, v0
	v_addc_co_u32_e64 v18, s[0:1], 0, 0, vcc
	s_cselect_b32 s21, s17, 0
	s_cselect_b32 s20, s16, 0x10000
	s_lshl_b32 s0, s2, 3
	v_add_co_u32_e32 v11, vcc, s0, v10
	v_addc_co_u32_e64 v14, s[0:1], 0, 0, vcc
	v_add_co_u32_e32 v10, vcc, s10, v11
	v_addc_co_u32_e32 v9, vcc, v13, v14, vcc
	v_add_co_u32_e32 v12, vcc, s14, v11
	s_lshl_b32 s3, s2, 1
	v_addc_co_u32_e32 v11, vcc, v15, v14, vcc
	v_add_co_u32_e32 v19, vcc, s3, v0
	v_addc_co_u32_e64 v20, s[0:1], 0, 0, vcc
	v_add_co_u32_e32 v21, vcc, s2, v0
	v_lshlrev_b32_e32 v16, 2, v21
	v_addc_co_u32_e64 v22, s[0:1], 0, 0, vcc
	v_add_co_u32_e32 v14, vcc, s10, v16
	v_addc_co_u32_e32 v13, vcc, 0, v13, vcc
	v_add_co_u32_e32 v16, vcc, s14, v16
	s_mov_b32 s13, 0
	s_lshl_b32 s26, s2, 2
	s_lshl_b32 s27, s2, 4
	v_addc_co_u32_e32 v15, vcc, 0, v15, vcc
	s_mov_b64 s[22:23], 0
	s_branch .LBB42_4
.LBB42_3:                               ;   in Loop: Header=BB42_4 Depth=1
	s_or_b64 exec, exec, s[0:1]
	s_add_u32 s22, s22, s26
	s_addc_u32 s23, s23, 0
	s_waitcnt vmcnt(0)
	v_pk_mov_b32 v[24:25], s[16:17], s[16:17] op_sel:[0,1]
	v_cmp_lt_i64_e32 vcc, s[22:23], v[24:25]
	v_mov_b32_e32 v24, 0x10000
	v_mov_b32_e32 v25, 0
	v_cmp_lt_u64_e64 s[0:1], s[22:23], v[24:25]
	s_and_b64 s[0:1], vcc, s[0:1]
	v_mov_b32_e32 v23, s13
	v_add_co_u32_e32 v2, vcc, s27, v2
	v_addc_co_u32_e32 v1, vcc, v1, v23, vcc
	v_add_co_u32_e32 v4, vcc, s27, v4
	v_addc_co_u32_e32 v3, vcc, v3, v23, vcc
	;; [unrolled: 2-line block ×8, first 2 shown]
	s_and_b64 vcc, exec, s[0:1]
	s_cbranch_vccz .LBB42_20
.LBB42_4:                               ; =>This Inner Loop Header: Depth=1
	v_mov_b32_e32 v23, s23
	v_add_co_u32_e32 v24, vcc, s22, v0
	v_addc_co_u32_e32 v25, vcc, 0, v23, vcc
	v_cmp_gt_u64_e32 vcc, s[20:21], v[24:25]
	v_mov_b32_e32 v23, 0
	s_and_saveexec_b64 s[2:3], vcc
	s_cbranch_execz .LBB42_6
; %bb.5:                                ;   in Loop: Header=BB42_4 Depth=1
	v_mov_b32_e32 v23, s19
	v_add_co_u32_e64 v24, s[0:1], s18, v2
	v_addc_co_u32_e64 v25, s[0:1], v1, v23, s[0:1]
	global_load_dword v23, v[24:25], off
.LBB42_6:                               ;   in Loop: Header=BB42_4 Depth=1
	s_or_b64 exec, exec, s[2:3]
	v_mov_b32_e32 v25, s23
	v_add_co_u32_e64 v24, s[0:1], s22, v21
	v_addc_co_u32_e64 v25, s[0:1], v22, v25, s[0:1]
	v_cmp_gt_u64_e64 s[0:1], s[20:21], v[24:25]
	v_mov_b32_e32 v25, 0
	s_and_saveexec_b64 s[6:7], s[0:1]
	s_cbranch_execz .LBB42_8
; %bb.7:                                ;   in Loop: Header=BB42_4 Depth=1
	v_mov_b32_e32 v25, s19
	v_add_co_u32_e64 v24, s[2:3], s18, v14
	v_addc_co_u32_e64 v25, s[2:3], v13, v25, s[2:3]
	global_load_dword v25, v[24:25], off
.LBB42_8:                               ;   in Loop: Header=BB42_4 Depth=1
	s_or_b64 exec, exec, s[6:7]
	v_mov_b32_e32 v24, s23
	v_add_co_u32_e64 v26, s[2:3], s22, v19
	v_addc_co_u32_e64 v27, s[2:3], v20, v24, s[2:3]
	v_cmp_gt_u64_e64 s[2:3], s[20:21], v[26:27]
	v_mov_b32_e32 v24, 0
	v_mov_b32_e32 v26, 0
	s_and_saveexec_b64 s[8:9], s[2:3]
	s_cbranch_execz .LBB42_10
; %bb.9:                                ;   in Loop: Header=BB42_4 Depth=1
	v_mov_b32_e32 v27, s19
	v_add_co_u32_e64 v26, s[6:7], s18, v10
	v_addc_co_u32_e64 v27, s[6:7], v9, v27, s[6:7]
	global_load_dword v26, v[26:27], off
.LBB42_10:                              ;   in Loop: Header=BB42_4 Depth=1
	s_or_b64 exec, exec, s[8:9]
	v_mov_b32_e32 v27, s23
	v_add_co_u32_e64 v28, s[6:7], s22, v17
	v_addc_co_u32_e64 v29, s[6:7], v18, v27, s[6:7]
	v_cmp_gt_u64_e64 s[6:7], s[20:21], v[28:29]
	s_and_saveexec_b64 s[24:25], s[6:7]
	s_cbranch_execnz .LBB42_15
; %bb.11:                               ;   in Loop: Header=BB42_4 Depth=1
	s_or_b64 exec, exec, s[24:25]
	s_and_saveexec_b64 s[8:9], vcc
	s_cbranch_execnz .LBB42_16
.LBB42_12:                              ;   in Loop: Header=BB42_4 Depth=1
	s_or_b64 exec, exec, s[8:9]
	s_and_saveexec_b64 s[8:9], s[0:1]
	s_cbranch_execnz .LBB42_17
.LBB42_13:                              ;   in Loop: Header=BB42_4 Depth=1
	s_or_b64 exec, exec, s[8:9]
	s_and_saveexec_b64 s[0:1], s[2:3]
	s_cbranch_execnz .LBB42_18
.LBB42_14:                              ;   in Loop: Header=BB42_4 Depth=1
	s_or_b64 exec, exec, s[0:1]
	s_and_saveexec_b64 s[0:1], s[6:7]
	s_cbranch_execz .LBB42_3
	s_branch .LBB42_19
.LBB42_15:                              ;   in Loop: Header=BB42_4 Depth=1
	v_mov_b32_e32 v24, s19
	v_add_co_u32_e64 v28, s[8:9], s18, v6
	v_addc_co_u32_e64 v29, s[8:9], v5, v24, s[8:9]
	global_load_dword v24, v[28:29], off
	s_or_b64 exec, exec, s[24:25]
	s_and_saveexec_b64 s[8:9], vcc
	s_cbranch_execz .LBB42_12
.LBB42_16:                              ;   in Loop: Header=BB42_4 Depth=1
	v_mov_b32_e32 v27, s19
	v_add_co_u32_e32 v28, vcc, s18, v4
	s_waitcnt vmcnt(0)
	v_mul_f32_e32 v23, s12, v23
	v_addc_co_u32_e32 v29, vcc, v3, v27, vcc
	global_store_dword v[28:29], v23, off
	s_or_b64 exec, exec, s[8:9]
	s_and_saveexec_b64 s[8:9], s[0:1]
	s_cbranch_execz .LBB42_13
.LBB42_17:                              ;   in Loop: Header=BB42_4 Depth=1
	s_waitcnt vmcnt(0)
	v_mul_f32_e32 v23, s12, v25
	v_mov_b32_e32 v25, s19
	v_add_co_u32_e32 v28, vcc, s18, v16
	v_addc_co_u32_e32 v29, vcc, v15, v25, vcc
	global_store_dword v[28:29], v23, off
	s_or_b64 exec, exec, s[8:9]
	s_and_saveexec_b64 s[0:1], s[2:3]
	s_cbranch_execz .LBB42_14
.LBB42_18:                              ;   in Loop: Header=BB42_4 Depth=1
	s_waitcnt vmcnt(0)
	v_mul_f32_e32 v23, s12, v26
	v_mov_b32_e32 v25, s19
	v_add_co_u32_e32 v26, vcc, s18, v12
	v_addc_co_u32_e32 v27, vcc, v11, v25, vcc
	global_store_dword v[26:27], v23, off
	s_or_b64 exec, exec, s[0:1]
	s_and_saveexec_b64 s[0:1], s[6:7]
	s_cbranch_execz .LBB42_3
.LBB42_19:                              ;   in Loop: Header=BB42_4 Depth=1
	s_waitcnt vmcnt(0)
	v_mul_f32_e32 v23, s12, v24
	v_mov_b32_e32 v25, s19
	v_add_co_u32_e32 v24, vcc, s18, v8
	v_addc_co_u32_e32 v25, vcc, v7, v25, vcc
	global_store_dword v[24:25], v23, off
	s_branch .LBB42_3
.LBB42_20:
	s_mov_b64 s[0:1], 0
.LBB42_21:
	s_andn2_b64 vcc, exec, s[0:1]
	s_cbranch_vccnz .LBB42_25
; %bb.22:
	v_mov_b32_e32 v3, 0
	v_lshlrev_b32_e32 v2, 2, v0
	s_mov_b32 s0, 0
	v_cmp_gt_i64_e32 vcc, s[16:17], v[2:3]
	s_and_saveexec_b64 s[2:3], vcc
	s_cbranch_execz .LBB42_25
; %bb.23:
	s_load_dword s1, s[4:5], 0xc5c
	v_lshlrev_b32_e32 v1, 4, v0
	v_mov_b32_e32 v4, s19
	s_mov_b32 s13, s12
	s_mov_b64 s[4:5], 0
	s_waitcnt lgkmcnt(0)
	s_and_b32 s1, s1, 0xffff
	v_add_lshl_u32 v2, v0, s1, 2
	v_add_co_u32_e32 v0, vcc, s18, v1
	v_addc_co_u32_e32 v1, vcc, 0, v4, vcc
	v_add_co_u32_e32 v0, vcc, 8, v0
	s_lshl_b32 s8, s1, 2
	v_addc_co_u32_e32 v1, vcc, 0, v1, vcc
	s_lshl_b32 s9, s1, 4
	v_mov_b32_e32 v4, s11
	v_mov_b32_e32 v5, s15
	s_mov_b64 s[6:7], 0xffff
	v_mov_b32_e32 v6, s0
	v_mov_b32_e32 v7, s0
.LBB42_24:                              ; =>This Inner Loop Header: Depth=1
	v_add_co_u32_e32 v8, vcc, s10, v0
	v_addc_co_u32_e32 v9, vcc, v4, v1, vcc
	global_load_dwordx4 v[8:11], v[8:9], off offset:-8
	v_add_co_u32_e32 v12, vcc, s14, v0
	v_addc_co_u32_e32 v13, vcc, v5, v1, vcc
	v_cmp_le_i64_e32 vcc, s[16:17], v[2:3]
	v_cmp_lt_u64_e64 s[0:1], s[6:7], v[2:3]
	v_add_co_u32_e64 v2, s[2:3], s8, v2
	v_addc_co_u32_e64 v3, s[2:3], v3, v6, s[2:3]
	s_or_b64 s[0:1], vcc, s[0:1]
	v_add_co_u32_e64 v0, s[2:3], s9, v0
	s_and_b64 s[0:1], exec, s[0:1]
	v_addc_co_u32_e64 v1, s[2:3], v1, v7, s[2:3]
	s_or_b64 s[4:5], s[0:1], s[4:5]
	s_waitcnt vmcnt(0)
	v_pk_mul_f32 v[8:9], v[8:9], s[12:13]
	v_pk_mul_f32 v[10:11], v[10:11], s[12:13]
	global_store_dwordx4 v[12:13], v[8:11], off offset:-8
	s_andn2_b64 exec, exec, s[4:5]
	s_cbranch_execnz .LBB42_24
.LBB42_25:
	s_endpgm
	.section	.rodata,"a",@progbits
	.p2align	6, 0x0
	.amdhsa_kernel _ZN2at6native12_GLOBAL__N_125multi_tensor_apply_kernelINS1_18TensorListMetadataILi2EEENS1_21BinaryOpScalarFunctorIfLi2ELi1ELi1EEEJSt10multipliesIfEfEEEvT_T0_DpT1_
		.amdhsa_group_segment_fixed_size 0
		.amdhsa_private_segment_fixed_size 0
		.amdhsa_kernarg_size 3408
		.amdhsa_user_sgpr_count 6
		.amdhsa_user_sgpr_private_segment_buffer 1
		.amdhsa_user_sgpr_dispatch_ptr 0
		.amdhsa_user_sgpr_queue_ptr 0
		.amdhsa_user_sgpr_kernarg_segment_ptr 1
		.amdhsa_user_sgpr_dispatch_id 0
		.amdhsa_user_sgpr_flat_scratch_init 0
		.amdhsa_user_sgpr_kernarg_preload_length 0
		.amdhsa_user_sgpr_kernarg_preload_offset 0
		.amdhsa_user_sgpr_private_segment_size 0
		.amdhsa_uses_dynamic_stack 0
		.amdhsa_system_sgpr_private_segment_wavefront_offset 0
		.amdhsa_system_sgpr_workgroup_id_x 1
		.amdhsa_system_sgpr_workgroup_id_y 0
		.amdhsa_system_sgpr_workgroup_id_z 0
		.amdhsa_system_sgpr_workgroup_info 0
		.amdhsa_system_vgpr_workitem_id 0
		.amdhsa_next_free_vgpr 30
		.amdhsa_next_free_sgpr 28
		.amdhsa_accum_offset 32
		.amdhsa_reserve_vcc 1
		.amdhsa_reserve_flat_scratch 0
		.amdhsa_float_round_mode_32 0
		.amdhsa_float_round_mode_16_64 0
		.amdhsa_float_denorm_mode_32 3
		.amdhsa_float_denorm_mode_16_64 3
		.amdhsa_dx10_clamp 1
		.amdhsa_ieee_mode 1
		.amdhsa_fp16_overflow 0
		.amdhsa_tg_split 0
		.amdhsa_exception_fp_ieee_invalid_op 0
		.amdhsa_exception_fp_denorm_src 0
		.amdhsa_exception_fp_ieee_div_zero 0
		.amdhsa_exception_fp_ieee_overflow 0
		.amdhsa_exception_fp_ieee_underflow 0
		.amdhsa_exception_fp_ieee_inexact 0
		.amdhsa_exception_int_div_zero 0
	.end_amdhsa_kernel
	.section	.text._ZN2at6native12_GLOBAL__N_125multi_tensor_apply_kernelINS1_18TensorListMetadataILi2EEENS1_21BinaryOpScalarFunctorIfLi2ELi1ELi1EEEJSt10multipliesIfEfEEEvT_T0_DpT1_,"axG",@progbits,_ZN2at6native12_GLOBAL__N_125multi_tensor_apply_kernelINS1_18TensorListMetadataILi2EEENS1_21BinaryOpScalarFunctorIfLi2ELi1ELi1EEEJSt10multipliesIfEfEEEvT_T0_DpT1_,comdat
.Lfunc_end42:
	.size	_ZN2at6native12_GLOBAL__N_125multi_tensor_apply_kernelINS1_18TensorListMetadataILi2EEENS1_21BinaryOpScalarFunctorIfLi2ELi1ELi1EEEJSt10multipliesIfEfEEEvT_T0_DpT1_, .Lfunc_end42-_ZN2at6native12_GLOBAL__N_125multi_tensor_apply_kernelINS1_18TensorListMetadataILi2EEENS1_21BinaryOpScalarFunctorIfLi2ELi1ELi1EEEJSt10multipliesIfEfEEEvT_T0_DpT1_
                                        ; -- End function
	.section	.AMDGPU.csdata,"",@progbits
; Kernel info:
; codeLenInByte = 1264
; NumSgprs: 32
; NumVgprs: 30
; NumAgprs: 0
; TotalNumVgprs: 30
; ScratchSize: 0
; MemoryBound: 0
; FloatMode: 240
; IeeeMode: 1
; LDSByteSize: 0 bytes/workgroup (compile time only)
; SGPRBlocks: 3
; VGPRBlocks: 3
; NumSGPRsForWavesPerEU: 32
; NumVGPRsForWavesPerEU: 30
; AccumOffset: 32
; Occupancy: 8
; WaveLimiterHint : 0
; COMPUTE_PGM_RSRC2:SCRATCH_EN: 0
; COMPUTE_PGM_RSRC2:USER_SGPR: 6
; COMPUTE_PGM_RSRC2:TRAP_HANDLER: 0
; COMPUTE_PGM_RSRC2:TGID_X_EN: 1
; COMPUTE_PGM_RSRC2:TGID_Y_EN: 0
; COMPUTE_PGM_RSRC2:TGID_Z_EN: 0
; COMPUTE_PGM_RSRC2:TIDIG_COMP_CNT: 0
; COMPUTE_PGM_RSRC3_GFX90A:ACCUM_OFFSET: 7
; COMPUTE_PGM_RSRC3_GFX90A:TG_SPLIT: 0
	.section	.text._ZN2at6native12_GLOBAL__N_125multi_tensor_apply_kernelINS1_18TensorListMetadataILi2EEENS1_21BinaryOpScalarFunctorIN3c107complexIdEELi2ELi1ELi1EEEJSt10multipliesIS8_ES8_EEEvT_T0_DpT1_,"axG",@progbits,_ZN2at6native12_GLOBAL__N_125multi_tensor_apply_kernelINS1_18TensorListMetadataILi2EEENS1_21BinaryOpScalarFunctorIN3c107complexIdEELi2ELi1ELi1EEEJSt10multipliesIS8_ES8_EEEvT_T0_DpT1_,comdat
	.globl	_ZN2at6native12_GLOBAL__N_125multi_tensor_apply_kernelINS1_18TensorListMetadataILi2EEENS1_21BinaryOpScalarFunctorIN3c107complexIdEELi2ELi1ELi1EEEJSt10multipliesIS8_ES8_EEEvT_T0_DpT1_ ; -- Begin function _ZN2at6native12_GLOBAL__N_125multi_tensor_apply_kernelINS1_18TensorListMetadataILi2EEENS1_21BinaryOpScalarFunctorIN3c107complexIdEELi2ELi1ELi1EEEJSt10multipliesIS8_ES8_EEEvT_T0_DpT1_
	.p2align	8
	.type	_ZN2at6native12_GLOBAL__N_125multi_tensor_apply_kernelINS1_18TensorListMetadataILi2EEENS1_21BinaryOpScalarFunctorIN3c107complexIdEELi2ELi1ELi1EEEJSt10multipliesIS8_ES8_EEEvT_T0_DpT1_,@function
_ZN2at6native12_GLOBAL__N_125multi_tensor_apply_kernelINS1_18TensorListMetadataILi2EEENS1_21BinaryOpScalarFunctorIN3c107complexIdEELi2ELi1ELi1EEEJSt10multipliesIS8_ES8_EEEvT_T0_DpT1_: ; @_ZN2at6native12_GLOBAL__N_125multi_tensor_apply_kernelINS1_18TensorListMetadataILi2EEENS1_21BinaryOpScalarFunctorIN3c107complexIdEELi2ELi1ELi1EEEJSt10multipliesIS8_ES8_EEEvT_T0_DpT1_
; %bb.0:
	v_mov_b32_e32 v1, s6
	global_load_ubyte v1, v1, s[4:5] offset:1536
	s_add_u32 s0, s4, s6
	s_mul_hi_u32 s1, s6, 3
	s_mul_i32 s6, s6, 3
	s_addc_u32 s2, s5, 0
	s_add_u32 s0, s0, s6
	s_addc_u32 s1, s2, s1
	s_load_dword s18, s[0:1], 0x740
	s_load_dwordx4 s[12:15], s[4:5], 0xc50
	s_mov_b32 s7, 0
	s_mov_b32 s9, s7
	;; [unrolled: 1-line block ×3, first 2 shown]
	s_waitcnt lgkmcnt(0)
	s_ashr_i32 s19, s18, 31
	s_lshl_b64 s[16:17], s[18:19], 20
	s_waitcnt vmcnt(0)
	v_readfirstlane_b32 s0, v1
	s_lshl_b32 s6, s0, 3
	s_load_dwordx2 s[2:3], s[4:5], s6 offset:0x0
	s_load_dwordx2 s[20:21], s[4:5], s6 offset:0x400
	;; [unrolled: 1-line block ×3, first 2 shown]
	s_waitcnt lgkmcnt(0)
	s_add_u32 s26, s2, s16
	s_addc_u32 s27, s3, s17
	s_add_u32 s28, s0, s16
	s_addc_u32 s29, s1, s17
	s_and_b32 s8, s26, 63
	s_and_b32 s10, s20, 3
	;; [unrolled: 1-line block ×3, first 2 shown]
	s_or_b64 s[8:9], s[8:9], s[10:11]
	s_or_b64 s[6:7], s[6:7], s[8:9]
	s_lshl_b64 s[8:9], s[18:19], 16
	s_sub_u32 s10, s20, s8
	s_subb_u32 s11, s21, s9
	s_cmp_eq_u64 s[6:7], 0
	s_mov_b64 s[6:7], -1
	s_cbranch_scc1 .LBB43_21
; %bb.1:
	v_cmp_lt_i64_e64 s[6:7], s[10:11], 1
	s_and_b64 vcc, exec, s[6:7]
	s_cbranch_vccnz .LBB43_20
; %bb.2:
	s_load_dword s6, s[4:5], 0xc6c
	v_mov_b32_e32 v2, 0x10000
	v_mov_b32_e32 v3, 0
	v_cmp_lt_u64_e32 vcc, s[10:11], v[2:3]
	v_lshl_or_b32 v2, v0, 4, 8
	s_waitcnt lgkmcnt(0)
	s_and_b32 s31, s6, 0xffff
	s_and_b64 s[6:7], vcc, exec
	v_mov_b32_e32 v6, s3
	v_add_co_u32_e32 v18, vcc, s2, v2
	v_addc_co_u32_e32 v19, vcc, 0, v6, vcc
	v_mov_b32_e32 v7, s1
	v_add_co_u32_e32 v20, vcc, s0, v2
	v_mov_b32_e32 v1, 0
	v_addc_co_u32_e32 v21, vcc, 0, v7, vcc
	v_add_lshl_u32 v8, v0, s31, 4
	v_mov_b32_e32 v3, v1
	v_add_co_u32_e32 v22, vcc, s0, v8
	v_addc_co_u32_e32 v23, vcc, 0, v7, vcc
	v_mad_u64_u32 v[4:5], s[6:7], s31, 48, v[2:3]
	v_add_co_u32_e32 v24, vcc, s2, v4
	v_addc_co_u32_e32 v25, vcc, v6, v5, vcc
	v_add_co_u32_e32 v26, vcc, s2, v8
	v_addc_co_u32_e32 v27, vcc, 0, v6, vcc
	v_add_co_u32_e32 v28, vcc, s0, v4
	s_cselect_b32 s19, s11, 0
	s_cselect_b32 s18, s10, 0x10000
	v_addc_co_u32_e32 v29, vcc, v7, v5, vcc
	s_lshl_b32 s1, s31, 5
	v_add_co_u32_e32 v2, vcc, s1, v2
	v_addc_co_u32_e64 v3, s[6:7], 0, 0, vcc
	v_add_co_u32_e32 v30, vcc, s2, v2
	s_mov_b32 s30, 0
	v_addc_co_u32_e32 v31, vcc, v6, v3, vcc
	s_lshl_b32 s20, s31, 2
	s_mov_b32 s21, s30
	v_add_co_u32_e32 v32, vcc, s0, v2
	s_lshl_b32 s33, s31, 1
	s_mov_b32 s34, s30
	s_mul_i32 s35, s31, 3
	s_mov_b32 s36, s30
	s_lshl_b32 s37, s31, 6
	s_mov_b32 s38, s30
	v_addc_co_u32_e32 v33, vcc, v7, v3, vcc
	v_pk_mov_b32 v[34:35], v[0:1], v[0:1] op_sel:[0,1]
	s_mov_b64 s[22:23], s[20:21]
	s_branch .LBB43_4
.LBB43_3:                               ;   in Loop: Header=BB43_4 Depth=1
	s_or_b64 exec, exec, s[0:1]
	s_waitcnt vmcnt(0)
	v_pk_mov_b32 v[2:3], s[10:11], s[10:11] op_sel:[0,1]
	v_cmp_lt_i64_e32 vcc, s[22:23], v[2:3]
	v_mov_b32_e32 v2, 0x10000
	v_mov_b32_e32 v3, 0
	v_cmp_lt_u64_e64 s[0:1], s[22:23], v[2:3]
	s_and_b64 s[0:1], vcc, s[0:1]
	v_mov_b32_e32 v1, s21
	v_add_co_u32_e32 v34, vcc, s20, v34
	v_addc_co_u32_e32 v35, vcc, v35, v1, vcc
	v_mov_b32_e32 v1, s38
	v_add_co_u32_e32 v18, vcc, s37, v18
	v_addc_co_u32_e32 v19, vcc, v19, v1, vcc
	v_add_co_u32_e32 v20, vcc, s37, v20
	v_addc_co_u32_e32 v21, vcc, v21, v1, vcc
	v_add_co_u32_e32 v22, vcc, s37, v22
	v_addc_co_u32_e32 v23, vcc, v23, v1, vcc
	v_add_co_u32_e32 v24, vcc, s37, v24
	v_addc_co_u32_e32 v25, vcc, v25, v1, vcc
	v_add_co_u32_e32 v26, vcc, s37, v26
	v_addc_co_u32_e32 v27, vcc, v27, v1, vcc
	v_add_co_u32_e32 v28, vcc, s37, v28
	v_addc_co_u32_e32 v29, vcc, v29, v1, vcc
	v_add_co_u32_e32 v30, vcc, s37, v30
	v_addc_co_u32_e32 v31, vcc, v31, v1, vcc
	v_add_co_u32_e32 v32, vcc, s37, v32
	s_add_u32 s22, s22, s20
	v_addc_co_u32_e32 v33, vcc, v33, v1, vcc
	s_addc_u32 s23, s23, 0
	s_and_b64 vcc, exec, s[0:1]
	s_cbranch_vccz .LBB43_20
.LBB43_4:                               ; =>This Inner Loop Header: Depth=1
	v_pk_mov_b32 v[4:5], 0, 0
	v_cmp_gt_u64_e32 vcc, s[18:19], v[34:35]
	v_pk_mov_b32 v[12:13], v[4:5], v[4:5] op_sel:[0,1]
	v_pk_mov_b32 v[10:11], v[4:5], v[4:5] op_sel:[0,1]
	s_and_saveexec_b64 s[2:3], vcc
	s_cbranch_execz .LBB43_6
; %bb.5:                                ;   in Loop: Header=BB43_4 Depth=1
	v_mov_b32_e32 v1, s17
	v_add_co_u32_e64 v2, s[0:1], s16, v18
	v_addc_co_u32_e64 v3, s[0:1], v19, v1, s[0:1]
	global_load_dwordx4 v[10:13], v[2:3], off offset:-8
.LBB43_6:                               ;   in Loop: Header=BB43_4 Depth=1
	s_or_b64 exec, exec, s[2:3]
	v_mov_b32_e32 v1, s30
	v_add_co_u32_e64 v2, s[0:1], s31, v34
	v_addc_co_u32_e64 v3, s[0:1], v1, v35, s[0:1]
	v_cmp_gt_u64_e64 s[0:1], s[18:19], v[2:3]
	v_pk_mov_b32 v[2:3], v[4:5], v[4:5] op_sel:[0,1]
	s_and_saveexec_b64 s[6:7], s[0:1]
	s_cbranch_execz .LBB43_8
; %bb.7:                                ;   in Loop: Header=BB43_4 Depth=1
	v_mov_b32_e32 v1, s17
	v_add_co_u32_e64 v2, s[2:3], s16, v26
	v_addc_co_u32_e64 v3, s[2:3], v27, v1, s[2:3]
	global_load_dwordx4 v[2:5], v[2:3], off
.LBB43_8:                               ;   in Loop: Header=BB43_4 Depth=1
	s_or_b64 exec, exec, s[6:7]
	v_mov_b32_e32 v1, s34
	v_add_co_u32_e64 v6, s[2:3], s33, v34
	v_addc_co_u32_e64 v7, s[2:3], v1, v35, s[2:3]
	v_pk_mov_b32 v[8:9], 0, 0
	v_cmp_gt_u64_e64 s[2:3], s[18:19], v[6:7]
	v_pk_mov_b32 v[16:17], v[8:9], v[8:9] op_sel:[0,1]
	v_pk_mov_b32 v[14:15], v[8:9], v[8:9] op_sel:[0,1]
	s_and_saveexec_b64 s[8:9], s[2:3]
	s_cbranch_execz .LBB43_10
; %bb.9:                                ;   in Loop: Header=BB43_4 Depth=1
	v_mov_b32_e32 v1, s17
	v_add_co_u32_e64 v6, s[6:7], s16, v30
	v_addc_co_u32_e64 v7, s[6:7], v31, v1, s[6:7]
	global_load_dwordx4 v[14:17], v[6:7], off offset:-8
.LBB43_10:                              ;   in Loop: Header=BB43_4 Depth=1
	s_or_b64 exec, exec, s[8:9]
	v_mov_b32_e32 v1, s36
	v_add_co_u32_e64 v6, s[6:7], s35, v34
	v_addc_co_u32_e64 v7, s[6:7], v1, v35, s[6:7]
	v_cmp_gt_u64_e64 s[6:7], s[18:19], v[6:7]
	v_pk_mov_b32 v[6:7], v[8:9], v[8:9] op_sel:[0,1]
	s_and_saveexec_b64 s[24:25], s[6:7]
	s_cbranch_execnz .LBB43_15
; %bb.11:                               ;   in Loop: Header=BB43_4 Depth=1
	s_or_b64 exec, exec, s[24:25]
	s_and_saveexec_b64 s[8:9], vcc
	s_cbranch_execnz .LBB43_16
.LBB43_12:                              ;   in Loop: Header=BB43_4 Depth=1
	s_or_b64 exec, exec, s[8:9]
	s_and_saveexec_b64 s[8:9], s[0:1]
	s_cbranch_execnz .LBB43_17
.LBB43_13:                              ;   in Loop: Header=BB43_4 Depth=1
	s_or_b64 exec, exec, s[8:9]
	s_and_saveexec_b64 s[0:1], s[2:3]
	s_cbranch_execnz .LBB43_18
.LBB43_14:                              ;   in Loop: Header=BB43_4 Depth=1
	s_or_b64 exec, exec, s[0:1]
	s_and_saveexec_b64 s[0:1], s[6:7]
	s_cbranch_execz .LBB43_3
	s_branch .LBB43_19
.LBB43_15:                              ;   in Loop: Header=BB43_4 Depth=1
	v_mov_b32_e32 v1, s17
	v_add_co_u32_e64 v6, s[8:9], s16, v24
	v_addc_co_u32_e64 v7, s[8:9], v25, v1, s[8:9]
	global_load_dwordx4 v[6:9], v[6:7], off offset:-8
	s_or_b64 exec, exec, s[24:25]
	s_and_saveexec_b64 s[8:9], vcc
	s_cbranch_execz .LBB43_12
.LBB43_16:                              ;   in Loop: Header=BB43_4 Depth=1
	v_mov_b32_e32 v1, s17
	v_add_co_u32_e32 v40, vcc, s16, v20
	s_waitcnt vmcnt(0)
	v_mul_f64 v[36:37], s[14:15], v[12:13]
	v_mul_f64 v[38:39], s[14:15], v[10:11]
	v_addc_co_u32_e32 v41, vcc, v21, v1, vcc
	v_fma_f64 v[36:37], s[12:13], v[10:11], -v[36:37]
	v_fmac_f64_e32 v[38:39], s[12:13], v[12:13]
	global_store_dwordx4 v[40:41], v[36:39], off offset:-8
	s_or_b64 exec, exec, s[8:9]
	s_and_saveexec_b64 s[8:9], s[0:1]
	s_cbranch_execz .LBB43_13
.LBB43_17:                              ;   in Loop: Header=BB43_4 Depth=1
	s_waitcnt vmcnt(0)
	v_mul_f64 v[10:11], s[14:15], v[4:5]
	v_fma_f64 v[10:11], s[12:13], v[2:3], -v[10:11]
	v_mul_f64 v[12:13], s[14:15], v[2:3]
	v_mov_b32_e32 v1, s17
	v_add_co_u32_e32 v2, vcc, s16, v22
	v_fmac_f64_e32 v[12:13], s[12:13], v[4:5]
	v_addc_co_u32_e32 v3, vcc, v23, v1, vcc
	global_store_dwordx4 v[2:3], v[10:13], off
	s_or_b64 exec, exec, s[8:9]
	s_and_saveexec_b64 s[0:1], s[2:3]
	s_cbranch_execz .LBB43_14
.LBB43_18:                              ;   in Loop: Header=BB43_4 Depth=1
	s_waitcnt vmcnt(0)
	v_mul_f64 v[2:3], s[14:15], v[16:17]
	v_mul_f64 v[4:5], s[14:15], v[14:15]
	v_mov_b32_e32 v1, s17
	v_add_co_u32_e32 v10, vcc, s16, v32
	v_fma_f64 v[2:3], s[12:13], v[14:15], -v[2:3]
	v_fmac_f64_e32 v[4:5], s[12:13], v[16:17]
	v_addc_co_u32_e32 v11, vcc, v33, v1, vcc
	global_store_dwordx4 v[10:11], v[2:5], off offset:-8
	s_or_b64 exec, exec, s[0:1]
	s_and_saveexec_b64 s[0:1], s[6:7]
	s_cbranch_execz .LBB43_3
.LBB43_19:                              ;   in Loop: Header=BB43_4 Depth=1
	s_waitcnt vmcnt(0)
	v_mul_f64 v[2:3], s[14:15], v[8:9]
	v_fma_f64 v[2:3], s[12:13], v[6:7], -v[2:3]
	v_mul_f64 v[4:5], s[14:15], v[6:7]
	v_mov_b32_e32 v1, s17
	v_add_co_u32_e32 v6, vcc, s16, v28
	v_fmac_f64_e32 v[4:5], s[12:13], v[8:9]
	v_addc_co_u32_e32 v7, vcc, v29, v1, vcc
	global_store_dwordx4 v[6:7], v[2:5], off offset:-8
	s_branch .LBB43_3
.LBB43_20:
	s_mov_b64 s[6:7], 0
.LBB43_21:
	s_andn2_b64 vcc, exec, s[6:7]
	s_cbranch_vccnz .LBB43_25
; %bb.22:
	v_mov_b32_e32 v3, 0
	v_lshlrev_b32_e32 v2, 2, v0
	s_mov_b32 s0, 0
	v_cmp_gt_i64_e32 vcc, s[10:11], v[2:3]
	s_and_saveexec_b64 s[2:3], vcc
	s_cbranch_execz .LBB43_25
; %bb.23:
	s_load_dword s1, s[4:5], 0xc6c
	v_lshlrev_b32_e32 v4, 6, v0
	s_mov_b64 s[4:5], 0
	s_mov_b64 s[6:7], 0xffff
	s_waitcnt lgkmcnt(0)
	s_and_b32 s1, s1, 0xffff
	v_add_lshl_u32 v2, v0, s1, 2
	s_lshl_b32 s8, s1, 2
	s_lshl_b32 s9, s1, 6
	v_mov_b32_e32 v0, s0
.LBB43_24:                              ; =>This Inner Loop Header: Depth=1
	v_mov_b32_e32 v1, s27
	v_add_co_u32_e32 v22, vcc, s26, v4
	v_addc_co_u32_e32 v23, vcc, 0, v1, vcc
	global_load_dwordx4 v[6:9], v[22:23], off
	global_load_dwordx4 v[10:13], v[22:23], off offset:16
	global_load_dwordx4 v[14:17], v[22:23], off offset:32
	;; [unrolled: 1-line block ×3, first 2 shown]
	v_cmp_le_i64_e32 vcc, s[10:11], v[2:3]
	v_cmp_lt_u64_e64 s[0:1], s[6:7], v[2:3]
	s_or_b64 s[0:1], vcc, s[0:1]
	v_add_co_u32_e64 v2, s[2:3], s8, v2
	s_add_u32 s26, s26, s9
	v_addc_co_u32_e64 v3, s[2:3], v3, v0, s[2:3]
	s_addc_u32 s27, s27, 0
	v_add_co_u32_e64 v24, s[2:3], s28, v4
	s_add_u32 s28, s28, s9
	v_mov_b32_e32 v1, s29
	s_addc_u32 s29, s29, 0
	s_and_b64 s[0:1], exec, s[0:1]
	v_addc_co_u32_e64 v25, s[2:3], 0, v1, s[2:3]
	s_or_b64 s[4:5], s[0:1], s[4:5]
	s_waitcnt vmcnt(3)
	v_mul_f64 v[26:27], s[14:15], v[8:9]
	v_mul_f64 v[22:23], s[12:13], v[8:9]
	s_waitcnt vmcnt(2)
	v_mul_f64 v[28:29], s[14:15], v[12:13]
	v_mul_f64 v[8:9], s[12:13], v[12:13]
	;; [unrolled: 3-line block ×4, first 2 shown]
	v_fma_f64 v[20:21], s[12:13], v[6:7], -v[26:27]
	v_fmac_f64_e32 v[22:23], s[14:15], v[6:7]
	v_fma_f64 v[6:7], s[12:13], v[10:11], -v[28:29]
	v_fmac_f64_e32 v[8:9], s[14:15], v[10:11]
	;; [unrolled: 2-line block ×4, first 2 shown]
	global_store_dwordx4 v[24:25], v[20:23], off
	global_store_dwordx4 v[24:25], v[6:9], off offset:16
	global_store_dwordx4 v[24:25], v[10:13], off offset:32
	;; [unrolled: 1-line block ×3, first 2 shown]
	s_andn2_b64 exec, exec, s[4:5]
	s_cbranch_execnz .LBB43_24
.LBB43_25:
	s_endpgm
	.section	.rodata,"a",@progbits
	.p2align	6, 0x0
	.amdhsa_kernel _ZN2at6native12_GLOBAL__N_125multi_tensor_apply_kernelINS1_18TensorListMetadataILi2EEENS1_21BinaryOpScalarFunctorIN3c107complexIdEELi2ELi1ELi1EEEJSt10multipliesIS8_ES8_EEEvT_T0_DpT1_
		.amdhsa_group_segment_fixed_size 0
		.amdhsa_private_segment_fixed_size 0
		.amdhsa_kernarg_size 3424
		.amdhsa_user_sgpr_count 6
		.amdhsa_user_sgpr_private_segment_buffer 1
		.amdhsa_user_sgpr_dispatch_ptr 0
		.amdhsa_user_sgpr_queue_ptr 0
		.amdhsa_user_sgpr_kernarg_segment_ptr 1
		.amdhsa_user_sgpr_dispatch_id 0
		.amdhsa_user_sgpr_flat_scratch_init 0
		.amdhsa_user_sgpr_kernarg_preload_length 0
		.amdhsa_user_sgpr_kernarg_preload_offset 0
		.amdhsa_user_sgpr_private_segment_size 0
		.amdhsa_uses_dynamic_stack 0
		.amdhsa_system_sgpr_private_segment_wavefront_offset 0
		.amdhsa_system_sgpr_workgroup_id_x 1
		.amdhsa_system_sgpr_workgroup_id_y 0
		.amdhsa_system_sgpr_workgroup_id_z 0
		.amdhsa_system_sgpr_workgroup_info 0
		.amdhsa_system_vgpr_workitem_id 0
		.amdhsa_next_free_vgpr 42
		.amdhsa_next_free_sgpr 39
		.amdhsa_accum_offset 44
		.amdhsa_reserve_vcc 1
		.amdhsa_reserve_flat_scratch 0
		.amdhsa_float_round_mode_32 0
		.amdhsa_float_round_mode_16_64 0
		.amdhsa_float_denorm_mode_32 3
		.amdhsa_float_denorm_mode_16_64 3
		.amdhsa_dx10_clamp 1
		.amdhsa_ieee_mode 1
		.amdhsa_fp16_overflow 0
		.amdhsa_tg_split 0
		.amdhsa_exception_fp_ieee_invalid_op 0
		.amdhsa_exception_fp_denorm_src 0
		.amdhsa_exception_fp_ieee_div_zero 0
		.amdhsa_exception_fp_ieee_overflow 0
		.amdhsa_exception_fp_ieee_underflow 0
		.amdhsa_exception_fp_ieee_inexact 0
		.amdhsa_exception_int_div_zero 0
	.end_amdhsa_kernel
	.section	.text._ZN2at6native12_GLOBAL__N_125multi_tensor_apply_kernelINS1_18TensorListMetadataILi2EEENS1_21BinaryOpScalarFunctorIN3c107complexIdEELi2ELi1ELi1EEEJSt10multipliesIS8_ES8_EEEvT_T0_DpT1_,"axG",@progbits,_ZN2at6native12_GLOBAL__N_125multi_tensor_apply_kernelINS1_18TensorListMetadataILi2EEENS1_21BinaryOpScalarFunctorIN3c107complexIdEELi2ELi1ELi1EEEJSt10multipliesIS8_ES8_EEEvT_T0_DpT1_,comdat
.Lfunc_end43:
	.size	_ZN2at6native12_GLOBAL__N_125multi_tensor_apply_kernelINS1_18TensorListMetadataILi2EEENS1_21BinaryOpScalarFunctorIN3c107complexIdEELi2ELi1ELi1EEEJSt10multipliesIS8_ES8_EEEvT_T0_DpT1_, .Lfunc_end43-_ZN2at6native12_GLOBAL__N_125multi_tensor_apply_kernelINS1_18TensorListMetadataILi2EEENS1_21BinaryOpScalarFunctorIN3c107complexIdEELi2ELi1ELi1EEEJSt10multipliesIS8_ES8_EEEvT_T0_DpT1_
                                        ; -- End function
	.section	.AMDGPU.csdata,"",@progbits
; Kernel info:
; codeLenInByte = 1560
; NumSgprs: 43
; NumVgprs: 42
; NumAgprs: 0
; TotalNumVgprs: 42
; ScratchSize: 0
; MemoryBound: 1
; FloatMode: 240
; IeeeMode: 1
; LDSByteSize: 0 bytes/workgroup (compile time only)
; SGPRBlocks: 5
; VGPRBlocks: 5
; NumSGPRsForWavesPerEU: 43
; NumVGPRsForWavesPerEU: 42
; AccumOffset: 44
; Occupancy: 8
; WaveLimiterHint : 0
; COMPUTE_PGM_RSRC2:SCRATCH_EN: 0
; COMPUTE_PGM_RSRC2:USER_SGPR: 6
; COMPUTE_PGM_RSRC2:TRAP_HANDLER: 0
; COMPUTE_PGM_RSRC2:TGID_X_EN: 1
; COMPUTE_PGM_RSRC2:TGID_Y_EN: 0
; COMPUTE_PGM_RSRC2:TGID_Z_EN: 0
; COMPUTE_PGM_RSRC2:TIDIG_COMP_CNT: 0
; COMPUTE_PGM_RSRC3_GFX90A:ACCUM_OFFSET: 10
; COMPUTE_PGM_RSRC3_GFX90A:TG_SPLIT: 0
	.section	.text._ZN2at6native12_GLOBAL__N_125multi_tensor_apply_kernelINS1_18TensorListMetadataILi2EEENS1_21BinaryOpScalarFunctorIN3c107complexIfEELi2ELi1ELi1EEEJSt10multipliesIS8_ES8_EEEvT_T0_DpT1_,"axG",@progbits,_ZN2at6native12_GLOBAL__N_125multi_tensor_apply_kernelINS1_18TensorListMetadataILi2EEENS1_21BinaryOpScalarFunctorIN3c107complexIfEELi2ELi1ELi1EEEJSt10multipliesIS8_ES8_EEEvT_T0_DpT1_,comdat
	.globl	_ZN2at6native12_GLOBAL__N_125multi_tensor_apply_kernelINS1_18TensorListMetadataILi2EEENS1_21BinaryOpScalarFunctorIN3c107complexIfEELi2ELi1ELi1EEEJSt10multipliesIS8_ES8_EEEvT_T0_DpT1_ ; -- Begin function _ZN2at6native12_GLOBAL__N_125multi_tensor_apply_kernelINS1_18TensorListMetadataILi2EEENS1_21BinaryOpScalarFunctorIN3c107complexIfEELi2ELi1ELi1EEEJSt10multipliesIS8_ES8_EEEvT_T0_DpT1_
	.p2align	8
	.type	_ZN2at6native12_GLOBAL__N_125multi_tensor_apply_kernelINS1_18TensorListMetadataILi2EEENS1_21BinaryOpScalarFunctorIN3c107complexIfEELi2ELi1ELi1EEEJSt10multipliesIS8_ES8_EEEvT_T0_DpT1_,@function
_ZN2at6native12_GLOBAL__N_125multi_tensor_apply_kernelINS1_18TensorListMetadataILi2EEENS1_21BinaryOpScalarFunctorIN3c107complexIfEELi2ELi1ELi1EEEJSt10multipliesIS8_ES8_EEEvT_T0_DpT1_: ; @_ZN2at6native12_GLOBAL__N_125multi_tensor_apply_kernelINS1_18TensorListMetadataILi2EEENS1_21BinaryOpScalarFunctorIN3c107complexIfEELi2ELi1ELi1EEEJSt10multipliesIS8_ES8_EEEvT_T0_DpT1_
; %bb.0:
	v_mov_b32_e32 v1, s8
	global_load_ubyte v1, v1, s[6:7] offset:1536
	s_load_dwordx2 s[0:1], s[4:5], 0x4
	v_and_b32_e32 v2, 0x3ff, v0
	s_mul_hi_u32 s2, s8, 3
	s_mul_i32 s3, s8, 3
	v_bfe_u32 v3, v0, 10, 10
	s_waitcnt lgkmcnt(0)
	s_lshr_b32 s0, s0, 16
	s_add_u32 s4, s6, s8
	s_mul_i32 s0, s0, s1
	s_addc_u32 s8, s7, 0
	v_mul_lo_u32 v4, s0, v2
	s_add_u32 s0, s4, s3
	v_mad_u32_u24 v3, v3, s1, v4
	s_addc_u32 s1, s8, s2
	s_load_dword s16, s[0:1], 0x740
	s_mov_b32 s11, 0
	s_mov_b32 s5, s11
	;; [unrolled: 1-line block ×3, first 2 shown]
	v_bfe_u32 v0, v0, 20, 10
	s_waitcnt lgkmcnt(0)
	s_ashr_i32 s17, s16, 31
	s_lshl_b64 s[12:13], s[16:17], 19
	v_add_lshl_u32 v4, v3, v0, 3
	s_waitcnt vmcnt(0)
	v_readfirstlane_b32 s0, v1
	s_lshl_b32 s4, s0, 3
	s_load_dwordx2 s[2:3], s[6:7], s4 offset:0x0
	s_load_dwordx2 s[8:9], s[6:7], 0xc50
	s_load_dwordx2 s[20:21], s[6:7], s4 offset:0x400
	s_load_dwordx2 s[0:1], s[6:7], s4 offset:0x200
	s_waitcnt lgkmcnt(0)
	s_add_u32 s19, s2, s12
	s_addc_u32 s24, s3, s13
	s_add_u32 s25, s0, s12
	s_addc_u32 s26, s1, s13
	s_and_b32 s4, s19, 31
	s_and_b32 s14, s20, 3
	;; [unrolled: 1-line block ×3, first 2 shown]
	s_or_b64 s[4:5], s[4:5], s[14:15]
	s_or_b64 s[4:5], s[10:11], s[4:5]
	s_lshl_b64 s[10:11], s[16:17], 16
	s_sub_u32 s10, s20, s10
	s_subb_u32 s11, s21, s11
	s_cmp_eq_u64 s[4:5], 0
	s_mov_b64 s[4:5], -1
	s_cbranch_scc1 .LBB44_19
; %bb.1:
	v_cmp_lt_i64_e64 s[4:5], s[10:11], 1
	s_and_b64 vcc, exec, s[4:5]
	s_cbranch_vccnz .LBB44_18
; %bb.2:
	s_load_dword s4, s[6:7], 0xc64
	v_mov_b32_e32 v6, 0x10000
	v_mov_b32_e32 v7, 0
	v_cmp_lt_u64_e32 vcc, s[10:11], v[6:7]
	v_lshlrev_b32_e32 v14, 3, v2
	s_waitcnt lgkmcnt(0)
	s_and_b32 s28, s4, 0xffff
	s_and_b64 s[4:5], vcc, exec
	v_mov_b32_e32 v1, s3
	v_add_co_u32_e32 v6, vcc, s2, v14
	v_addc_co_u32_e32 v7, vcc, 0, v1, vcc
	v_mov_b32_e32 v20, s1
	v_add_co_u32_e32 v8, vcc, s0, v14
	v_mov_b32_e32 v0, 0
	v_addc_co_u32_e32 v9, vcc, 0, v20, vcc
	s_mov_b64 s[4:5], src_shared_base
	v_mov_b32_e32 v15, v0
	v_add_co_u32_e32 v8, vcc, 4, v8
	v_mov_b32_e32 v5, s5
	v_addc_co_u32_e32 v9, vcc, 0, v9, vcc
	v_mad_u64_u32 v[12:13], s[4:5], s28, 24, v[14:15]
	v_add_co_u32_e32 v10, vcc, s2, v12
	v_addc_co_u32_e32 v11, vcc, v1, v13, vcc
	v_mov_b32_e32 v15, s1
	v_add_co_u32_e32 v12, vcc, s0, v12
	s_cselect_b32 s15, s11, 0
	s_cselect_b32 s14, s10, 0x10000
	v_addc_co_u32_e32 v13, vcc, v15, v13, vcc
	s_lshl_b32 s1, s28, 4
	v_add_co_u32_e32 v16, vcc, s1, v14
	v_addc_co_u32_e64 v17, s[4:5], 0, 0, vcc
	v_add_co_u32_e32 v14, vcc, s2, v16
	v_addc_co_u32_e32 v15, vcc, v1, v17, vcc
	v_add_co_u32_e32 v16, vcc, s0, v16
	v_addc_co_u32_e32 v17, vcc, v17, v20, vcc
	;; [unrolled: 2-line block ×3, first 2 shown]
	v_add_lshl_u32 v21, v2, s28, 3
	v_add_co_u32_e32 v18, vcc, s2, v21
	v_addc_co_u32_e32 v19, vcc, 0, v1, vcc
	v_add_co_u32_e32 v1, vcc, s0, v21
	s_mov_b32 s27, 0
	v_addc_co_u32_e32 v21, vcc, 0, v20, vcc
	v_mov_b32_e32 v3, v0
	s_lshl_b32 s16, s28, 2
	s_mov_b32 s17, s27
	v_add_co_u32_e32 v20, vcc, 4, v1
	s_lshl_b32 s29, s28, 1
	s_mov_b32 s30, s27
	s_mul_i32 s31, s28, 3
	s_mov_b32 s33, s27
	s_mov_b32 s18, s9
	s_lshl_b32 s34, s28, 5
	s_mov_b32 s35, s27
	v_addc_co_u32_e32 v21, vcc, 0, v21, vcc
	v_pk_mov_b32 v[22:23], v[2:3], v[2:3] op_sel:[0,1]
	s_mov_b64 s[20:21], s[16:17]
	s_branch .LBB44_4
.LBB44_3:                               ;   in Loop: Header=BB44_4 Depth=1
	s_or_b64 exec, exec, s[0:1]
	v_pk_mov_b32 v[24:25], s[10:11], s[10:11] op_sel:[0,1]
	v_cmp_ge_i64_e32 vcc, s[20:21], v[24:25]
	v_mov_b32_e32 v24, 0xffff
	v_mov_b32_e32 v25, 0
	v_cmp_gt_u64_e64 s[0:1], s[20:21], v[24:25]
	s_or_b64 s[0:1], vcc, s[0:1]
	v_mov_b32_e32 v1, s35
	v_add_co_u32_e32 v6, vcc, s34, v6
	v_addc_co_u32_e32 v7, vcc, v7, v1, vcc
	v_mov_b32_e32 v3, s17
	v_add_co_u32_e32 v22, vcc, s16, v22
	v_addc_co_u32_e32 v23, vcc, v23, v3, vcc
	v_add_co_u32_e32 v8, vcc, s34, v8
	v_addc_co_u32_e32 v9, vcc, v9, v1, vcc
	;; [unrolled: 2-line block ×7, first 2 shown]
	v_add_co_u32_e32 v20, vcc, s34, v20
	s_add_u32 s20, s20, s16
	v_addc_co_u32_e32 v21, vcc, v21, v1, vcc
	s_addc_u32 s21, s21, 0
	s_and_b64 vcc, exec, s[0:1]
	s_cbranch_vccnz .LBB44_18
.LBB44_4:                               ; =>This Inner Loop Header: Depth=1
	v_cmp_gt_u64_e32 vcc, s[14:15], v[22:23]
	v_mov_b32_e32 v26, 0
	v_mov_b32_e32 v27, 0
	s_and_saveexec_b64 s[2:3], vcc
	s_cbranch_execz .LBB44_6
; %bb.5:                                ;   in Loop: Header=BB44_4 Depth=1
	v_mov_b32_e32 v1, s13
	v_add_co_u32_e64 v24, s[0:1], s12, v6
	v_addc_co_u32_e64 v25, s[0:1], v7, v1, s[0:1]
	global_load_dwordx2 v[26:27], v[24:25], off
.LBB44_6:                               ;   in Loop: Header=BB44_4 Depth=1
	s_or_b64 exec, exec, s[2:3]
	v_mov_b32_e32 v1, s27
	v_add_co_u32_e64 v24, s[0:1], s28, v22
	v_addc_co_u32_e64 v25, s[0:1], v1, v23, s[0:1]
	v_cmp_gt_u64_e64 s[0:1], s[14:15], v[24:25]
	v_mov_b32_e32 v24, 0
	v_mov_b32_e32 v28, 0
	;; [unrolled: 1-line block ×3, first 2 shown]
	s_and_saveexec_b64 s[4:5], s[0:1]
	s_cbranch_execz .LBB44_8
; %bb.7:                                ;   in Loop: Header=BB44_4 Depth=1
	v_mov_b32_e32 v1, s13
	v_add_co_u32_e64 v28, s[2:3], s12, v18
	v_addc_co_u32_e64 v29, s[2:3], v19, v1, s[2:3]
	global_load_dwordx2 v[28:29], v[28:29], off
.LBB44_8:                               ;   in Loop: Header=BB44_4 Depth=1
	s_or_b64 exec, exec, s[4:5]
	v_mov_b32_e32 v1, s30
	v_add_co_u32_e64 v30, s[2:3], s29, v22
	v_addc_co_u32_e64 v31, s[2:3], v1, v23, s[2:3]
	v_cmp_gt_u64_e64 s[2:3], s[14:15], v[30:31]
	v_mov_b32_e32 v25, 0
	s_and_saveexec_b64 s[22:23], s[2:3]
	s_cbranch_execz .LBB44_10
; %bb.9:                                ;   in Loop: Header=BB44_4 Depth=1
	v_mov_b32_e32 v1, s13
	v_add_co_u32_e64 v24, s[4:5], s12, v14
	v_addc_co_u32_e64 v25, s[4:5], v15, v1, s[4:5]
	global_load_dwordx2 v[24:25], v[24:25], off
.LBB44_10:                              ;   in Loop: Header=BB44_4 Depth=1
	s_or_b64 exec, exec, s[22:23]
	v_mov_b32_e32 v1, s33
	v_add_co_u32_e64 v30, s[4:5], s31, v22
	v_addc_co_u32_e64 v31, s[4:5], v1, v23, s[4:5]
	v_mov_b32_e32 v1, v0
	ds_write_b64 v4, v[0:1]
	v_mov_b32_e32 v1, s13
	v_add_co_u32_e64 v3, s[4:5], s12, v10
	v_addc_co_u32_e64 v1, s[4:5], v11, v1, s[4:5]
	v_cmp_gt_u64_e64 s[4:5], s[14:15], v[30:31]
	v_cndmask_b32_e64 v31, v5, v1, s[4:5]
	v_cndmask_b32_e64 v30, v4, v3, s[4:5]
	flat_load_dwordx2 v[32:33], v[30:31]
	s_waitcnt vmcnt(0) lgkmcnt(0)
	v_pk_mul_f32 v[34:35], v[32:33], s[8:9] op_sel:[1,0]
	v_pk_fma_f32 v[30:31], v[32:33], s[8:9], v[34:35] op_sel:[0,0,1] op_sel_hi:[1,1,0] neg_lo:[0,0,1] neg_hi:[0,0,1]
	v_pk_fma_f32 v[32:33], v[32:33], s[8:9], v[34:35] op_sel:[0,0,1] op_sel_hi:[0,1,0]
	v_mov_b32_e32 v31, v33
	ds_write_b64 v4, v[30:31]
	s_and_saveexec_b64 s[22:23], vcc
	s_cbranch_execnz .LBB44_14
; %bb.11:                               ;   in Loop: Header=BB44_4 Depth=1
	s_or_b64 exec, exec, s[22:23]
	s_and_saveexec_b64 s[22:23], s[0:1]
	s_cbranch_execnz .LBB44_15
.LBB44_12:                              ;   in Loop: Header=BB44_4 Depth=1
	s_or_b64 exec, exec, s[22:23]
	s_and_saveexec_b64 s[0:1], s[2:3]
	s_cbranch_execnz .LBB44_16
.LBB44_13:                              ;   in Loop: Header=BB44_4 Depth=1
	s_or_b64 exec, exec, s[0:1]
	s_and_saveexec_b64 s[0:1], s[4:5]
	s_cbranch_execz .LBB44_3
	s_branch .LBB44_17
.LBB44_14:                              ;   in Loop: Header=BB44_4 Depth=1
	v_pk_mul_f32 v[34:35], v[26:27], s[8:9]
	v_mov_b32_e32 v34, v35
	v_pk_fma_f32 v[34:35], v[26:27], s[8:9], v[34:35] neg_lo:[0,0,1] neg_hi:[0,0,1]
	v_pk_mul_f32 v[36:37], v[26:27], s[18:19]
	v_mov_b32_e32 v26, v27
	v_mov_b32_e32 v1, s13
	v_add_co_u32_e32 v32, vcc, s12, v8
	v_pk_fma_f32 v[26:27], v[26:27], s[8:9], v[36:37]
	v_addc_co_u32_e32 v33, vcc, v9, v1, vcc
	v_mov_b32_e32 v35, v26
	global_store_dwordx2 v[32:33], v[34:35], off offset:-4
	s_or_b64 exec, exec, s[22:23]
	s_and_saveexec_b64 s[22:23], s[0:1]
	s_cbranch_execz .LBB44_12
.LBB44_15:                              ;   in Loop: Header=BB44_4 Depth=1
	v_pk_mul_f32 v[26:27], v[28:29], s[8:9]
	v_mov_b32_e32 v26, v27
	v_pk_fma_f32 v[26:27], v[28:29], s[8:9], v[26:27] neg_lo:[0,0,1] neg_hi:[0,0,1]
	v_pk_mul_f32 v[32:33], v[28:29], s[18:19]
	v_mov_b32_e32 v28, v29
	v_pk_fma_f32 v[28:29], v[28:29], s[8:9], v[32:33]
	v_mov_b32_e32 v1, s13
	v_add_co_u32_e32 v32, vcc, s12, v20
	v_addc_co_u32_e32 v33, vcc, v21, v1, vcc
	v_mov_b32_e32 v27, v28
	global_store_dwordx2 v[32:33], v[26:27], off offset:-4
	s_or_b64 exec, exec, s[22:23]
	s_and_saveexec_b64 s[0:1], s[2:3]
	s_cbranch_execz .LBB44_13
.LBB44_16:                              ;   in Loop: Header=BB44_4 Depth=1
	v_pk_mul_f32 v[26:27], v[24:25], s[8:9]
	v_mov_b32_e32 v26, v27
	v_pk_fma_f32 v[26:27], v[24:25], s[8:9], v[26:27] neg_lo:[0,0,1] neg_hi:[0,0,1]
	v_pk_mul_f32 v[28:29], v[24:25], s[18:19]
	v_mov_b32_e32 v24, v25
	v_pk_fma_f32 v[24:25], v[24:25], s[8:9], v[28:29]
	v_mov_b32_e32 v1, s13
	v_add_co_u32_e32 v28, vcc, s12, v16
	v_addc_co_u32_e32 v29, vcc, v17, v1, vcc
	v_mov_b32_e32 v27, v24
	global_store_dwordx2 v[28:29], v[26:27], off offset:-4
	s_or_b64 exec, exec, s[0:1]
	s_and_saveexec_b64 s[0:1], s[4:5]
	s_cbranch_execz .LBB44_3
.LBB44_17:                              ;   in Loop: Header=BB44_4 Depth=1
	v_mov_b32_e32 v1, s13
	v_add_co_u32_e32 v24, vcc, s12, v12
	v_addc_co_u32_e32 v25, vcc, v13, v1, vcc
	global_store_dwordx2 v[24:25], v[30:31], off
	s_branch .LBB44_3
.LBB44_18:
	s_mov_b64 s[4:5], 0
.LBB44_19:
	s_andn2_b64 vcc, exec, s[4:5]
	s_cbranch_vccnz .LBB44_24
; %bb.20:
	v_mov_b32_e32 v7, 0
	v_lshlrev_b32_e32 v6, 2, v2
	s_mov_b32 s0, 0
	v_cmp_gt_i64_e32 vcc, s[10:11], v[6:7]
	s_and_saveexec_b64 s[2:3], vcc
	s_cbranch_execz .LBB44_24
; %bb.21:
	s_load_dword s1, s[6:7], 0xc64
	v_lshlrev_b32_e32 v8, 5, v2
	s_mov_b64 s[4:5], 0
	s_mov_b64 s[6:7], 0xffff
	v_mov_b32_e32 v5, s0
	s_waitcnt lgkmcnt(0)
	s_and_b32 s1, s1, 0xffff
	v_add_lshl_u32 v6, v2, s1, 2
	s_lshl_b32 s12, s1, 2
	s_lshl_b32 s13, s1, 5
.LBB44_22:                              ; =>This Inner Loop Header: Depth=1
	v_mov_b32_e32 v0, s24
	v_add_co_u32_e32 v14, vcc, s19, v8
	v_addc_co_u32_e32 v15, vcc, 0, v0, vcc
	global_load_dwordx4 v[10:13], v[14:15], off offset:16
	global_load_dwordx4 v[0:3], v[14:15], off
	v_cmp_le_i64_e32 vcc, s[10:11], v[6:7]
	v_cmp_lt_u64_e64 s[0:1], s[6:7], v[6:7]
	s_or_b64 s[0:1], vcc, s[0:1]
	v_add_co_u32_e64 v6, s[2:3], s12, v6
	s_add_u32 s19, s19, s13
	v_addc_co_u32_e64 v7, s[2:3], v7, v5, s[2:3]
	s_addc_u32 s24, s24, 0
	v_mov_b32_e32 v9, s26
	v_add_co_u32_e64 v18, s[2:3], s25, v8
	s_add_u32 s25, s25, s13
	v_addc_co_u32_e64 v19, s[2:3], 0, v9, s[2:3]
	s_addc_u32 s26, s26, 0
	s_and_b64 s[0:1], exec, s[0:1]
	s_or_b64 s[4:5], s[0:1], s[4:5]
	s_waitcnt vmcnt(1)
	v_pk_mul_f32 v[20:21], v[12:13], s[8:9] op_sel:[1,0]
	s_waitcnt vmcnt(0)
	v_mul_f32_e32 v9, s9, v1
	v_mul_f32_e32 v15, s8, v1
	;; [unrolled: 1-line block ×6, first 2 shown]
	v_fma_f32 v14, v0, s8, -v9
	v_fmac_f32_e32 v15, s9, v0
	v_fma_f32 v16, v2, s8, -v16
	v_fmac_f32_e32 v17, s9, v2
	;; [unrolled: 2-line block ×3, first 2 shown]
	v_pk_fma_f32 v[2:3], v[12:13], s[8:9], v[20:21] op_sel:[0,0,1] op_sel_hi:[1,1,0] neg_lo:[0,0,1] neg_hi:[0,0,1]
	v_pk_fma_f32 v[10:11], v[12:13], s[8:9], v[20:21] op_sel:[0,0,1] op_sel_hi:[0,1,0]
	v_mov_b32_e32 v3, v11
	global_store_dwordx4 v[18:19], v[14:17], off
	global_store_dwordx4 v[18:19], v[0:3], off offset:16
	s_andn2_b64 exec, exec, s[4:5]
	s_cbranch_execnz .LBB44_22
; %bb.23:
	s_or_b64 exec, exec, s[4:5]
	ds_write_b64 v4, v[2:3]
.LBB44_24:
	s_endpgm
	.section	.rodata,"a",@progbits
	.p2align	6, 0x0
	.amdhsa_kernel _ZN2at6native12_GLOBAL__N_125multi_tensor_apply_kernelINS1_18TensorListMetadataILi2EEENS1_21BinaryOpScalarFunctorIN3c107complexIfEELi2ELi1ELi1EEEJSt10multipliesIS8_ES8_EEEvT_T0_DpT1_
		.amdhsa_group_segment_fixed_size 4096
		.amdhsa_private_segment_fixed_size 0
		.amdhsa_kernarg_size 3416
		.amdhsa_user_sgpr_count 8
		.amdhsa_user_sgpr_private_segment_buffer 1
		.amdhsa_user_sgpr_dispatch_ptr 1
		.amdhsa_user_sgpr_queue_ptr 0
		.amdhsa_user_sgpr_kernarg_segment_ptr 1
		.amdhsa_user_sgpr_dispatch_id 0
		.amdhsa_user_sgpr_flat_scratch_init 0
		.amdhsa_user_sgpr_kernarg_preload_length 0
		.amdhsa_user_sgpr_kernarg_preload_offset 0
		.amdhsa_user_sgpr_private_segment_size 0
		.amdhsa_uses_dynamic_stack 0
		.amdhsa_system_sgpr_private_segment_wavefront_offset 0
		.amdhsa_system_sgpr_workgroup_id_x 1
		.amdhsa_system_sgpr_workgroup_id_y 0
		.amdhsa_system_sgpr_workgroup_id_z 0
		.amdhsa_system_sgpr_workgroup_info 0
		.amdhsa_system_vgpr_workitem_id 2
		.amdhsa_next_free_vgpr 38
		.amdhsa_next_free_sgpr 36
		.amdhsa_accum_offset 40
		.amdhsa_reserve_vcc 1
		.amdhsa_reserve_flat_scratch 0
		.amdhsa_float_round_mode_32 0
		.amdhsa_float_round_mode_16_64 0
		.amdhsa_float_denorm_mode_32 3
		.amdhsa_float_denorm_mode_16_64 3
		.amdhsa_dx10_clamp 1
		.amdhsa_ieee_mode 1
		.amdhsa_fp16_overflow 0
		.amdhsa_tg_split 0
		.amdhsa_exception_fp_ieee_invalid_op 0
		.amdhsa_exception_fp_denorm_src 0
		.amdhsa_exception_fp_ieee_div_zero 0
		.amdhsa_exception_fp_ieee_overflow 0
		.amdhsa_exception_fp_ieee_underflow 0
		.amdhsa_exception_fp_ieee_inexact 0
		.amdhsa_exception_int_div_zero 0
	.end_amdhsa_kernel
	.section	.text._ZN2at6native12_GLOBAL__N_125multi_tensor_apply_kernelINS1_18TensorListMetadataILi2EEENS1_21BinaryOpScalarFunctorIN3c107complexIfEELi2ELi1ELi1EEEJSt10multipliesIS8_ES8_EEEvT_T0_DpT1_,"axG",@progbits,_ZN2at6native12_GLOBAL__N_125multi_tensor_apply_kernelINS1_18TensorListMetadataILi2EEENS1_21BinaryOpScalarFunctorIN3c107complexIfEELi2ELi1ELi1EEEJSt10multipliesIS8_ES8_EEEvT_T0_DpT1_,comdat
.Lfunc_end44:
	.size	_ZN2at6native12_GLOBAL__N_125multi_tensor_apply_kernelINS1_18TensorListMetadataILi2EEENS1_21BinaryOpScalarFunctorIN3c107complexIfEELi2ELi1ELi1EEEJSt10multipliesIS8_ES8_EEEvT_T0_DpT1_, .Lfunc_end44-_ZN2at6native12_GLOBAL__N_125multi_tensor_apply_kernelINS1_18TensorListMetadataILi2EEENS1_21BinaryOpScalarFunctorIN3c107complexIfEELi2ELi1ELi1EEEJSt10multipliesIS8_ES8_EEEvT_T0_DpT1_
                                        ; -- End function
	.section	.AMDGPU.csdata,"",@progbits
; Kernel info:
; codeLenInByte = 1620
; NumSgprs: 40
; NumVgprs: 38
; NumAgprs: 0
; TotalNumVgprs: 38
; ScratchSize: 0
; MemoryBound: 0
; FloatMode: 240
; IeeeMode: 1
; LDSByteSize: 4096 bytes/workgroup (compile time only)
; SGPRBlocks: 4
; VGPRBlocks: 4
; NumSGPRsForWavesPerEU: 40
; NumVGPRsForWavesPerEU: 38
; AccumOffset: 40
; Occupancy: 8
; WaveLimiterHint : 0
; COMPUTE_PGM_RSRC2:SCRATCH_EN: 0
; COMPUTE_PGM_RSRC2:USER_SGPR: 8
; COMPUTE_PGM_RSRC2:TRAP_HANDLER: 0
; COMPUTE_PGM_RSRC2:TGID_X_EN: 1
; COMPUTE_PGM_RSRC2:TGID_Y_EN: 0
; COMPUTE_PGM_RSRC2:TGID_Z_EN: 0
; COMPUTE_PGM_RSRC2:TIDIG_COMP_CNT: 2
; COMPUTE_PGM_RSRC3_GFX90A:ACCUM_OFFSET: 9
; COMPUTE_PGM_RSRC3_GFX90A:TG_SPLIT: 0
	.section	.text._ZN2at6native12_GLOBAL__N_125multi_tensor_apply_kernelINS1_18TensorListMetadataILi2EEENS1_21BinaryOpScalarFunctorIbLi2ELi1ELi1EEEJSt10multipliesIbEbEEEvT_T0_DpT1_,"axG",@progbits,_ZN2at6native12_GLOBAL__N_125multi_tensor_apply_kernelINS1_18TensorListMetadataILi2EEENS1_21BinaryOpScalarFunctorIbLi2ELi1ELi1EEEJSt10multipliesIbEbEEEvT_T0_DpT1_,comdat
	.globl	_ZN2at6native12_GLOBAL__N_125multi_tensor_apply_kernelINS1_18TensorListMetadataILi2EEENS1_21BinaryOpScalarFunctorIbLi2ELi1ELi1EEEJSt10multipliesIbEbEEEvT_T0_DpT1_ ; -- Begin function _ZN2at6native12_GLOBAL__N_125multi_tensor_apply_kernelINS1_18TensorListMetadataILi2EEENS1_21BinaryOpScalarFunctorIbLi2ELi1ELi1EEEJSt10multipliesIbEbEEEvT_T0_DpT1_
	.p2align	8
	.type	_ZN2at6native12_GLOBAL__N_125multi_tensor_apply_kernelINS1_18TensorListMetadataILi2EEENS1_21BinaryOpScalarFunctorIbLi2ELi1ELi1EEEJSt10multipliesIbEbEEEvT_T0_DpT1_,@function
_ZN2at6native12_GLOBAL__N_125multi_tensor_apply_kernelINS1_18TensorListMetadataILi2EEENS1_21BinaryOpScalarFunctorIbLi2ELi1ELi1EEEJSt10multipliesIbEbEEEvT_T0_DpT1_: ; @_ZN2at6native12_GLOBAL__N_125multi_tensor_apply_kernelINS1_18TensorListMetadataILi2EEENS1_21BinaryOpScalarFunctorIbLi2ELi1ELi1EEEJSt10multipliesIbEbEEEvT_T0_DpT1_
; %bb.0:
	v_mov_b32_e32 v1, s6
	global_load_ubyte v1, v1, s[4:5] offset:1536
	s_load_dword s0, s[4:5], 0xc48
	s_mul_i32 s2, s6, 3
	s_mul_hi_u32 s1, s6, 3
	s_waitcnt lgkmcnt(0)
	s_bitcmp1_b32 s0, 16
	s_cselect_b64 s[10:11], -1, 0
	s_add_u32 s0, s4, s6
	s_addc_u32 s3, s5, 0
	s_add_u32 s0, s0, s2
	s_addc_u32 s1, s3, s1
	s_load_dword s6, s[0:1], 0x740
	s_waitcnt vmcnt(0)
	v_readfirstlane_b32 s2, v1
	s_lshl_b32 s7, s2, 3
	s_load_dwordx2 s[0:1], s[4:5], s7 offset:0x0
	s_load_dwordx2 s[8:9], s[4:5], s7 offset:0x400
	;; [unrolled: 1-line block ×3, first 2 shown]
	s_waitcnt lgkmcnt(0)
	s_ashr_i32 s7, s6, 31
	s_lshl_b64 s[6:7], s[6:7], 16
	s_add_u32 s12, s0, s6
	s_addc_u32 s13, s1, s7
	s_add_u32 s22, s2, s6
	s_addc_u32 s23, s3, s7
	s_or_b64 s[14:15], s[8:9], s[12:13]
	s_or_b32 s14, s22, s14
	s_and_b32 s16, s14, 3
	s_sub_u32 s14, s8, s6
	s_subb_u32 s15, s9, s7
	s_cmp_eq_u32 s16, 0
	s_mov_b64 s[8:9], -1
	s_cbranch_scc1 .LBB45_21
; %bb.1:
	v_cmp_lt_i64_e64 s[8:9], s[14:15], 1
	s_and_b64 vcc, exec, s[8:9]
	s_cbranch_vccnz .LBB45_20
; %bb.2:
	s_load_dword s8, s[4:5], 0xc5c
	v_mov_b32_e32 v2, 0x10000
	v_mov_b32_e32 v3, 0
	v_cmp_lt_u64_e32 vcc, s[14:15], v[2:3]
	v_mov_b32_e32 v2, s7
	s_waitcnt lgkmcnt(0)
	s_and_b32 s18, s8, 0xffff
	s_and_b64 s[8:9], vcc, exec
	v_add_co_u32_e32 v3, vcc, s6, v0
	v_addc_co_u32_e32 v2, vcc, 0, v2, vcc
	v_mov_b32_e32 v21, s1
	v_add_co_u32_e32 v4, vcc, s0, v3
	s_cselect_b32 s17, s15, 0
	s_cselect_b32 s16, s14, 0x10000
	s_lshl_b32 s19, s18, 1
	s_mul_i32 s8, s18, 3
	s_lshl_b32 s24, s18, 2
	v_addc_co_u32_e32 v5, vcc, v21, v2, vcc
	v_mov_b32_e32 v23, s3
	v_add_co_u32_e32 v6, vcc, s2, v3
	s_add_u32 s1, s6, s8
	v_addc_co_u32_e32 v7, vcc, v23, v2, vcc
	s_addc_u32 s3, s7, 0
	v_mov_b32_e32 v8, s3
	v_add_co_u32_e32 v10, vcc, s1, v0
	v_addc_co_u32_e32 v11, vcc, 0, v8, vcc
	v_add_co_u32_e32 v8, vcc, s0, v10
	v_addc_co_u32_e32 v9, vcc, v21, v11, vcc
	;; [unrolled: 2-line block ×3, first 2 shown]
	s_add_u32 s1, s6, s19
	v_add_co_u32_e32 v12, vcc, s8, v0
	s_addc_u32 s3, s7, 0
	v_addc_co_u32_e64 v13, s[8:9], 0, 0, vcc
	v_mov_b32_e32 v14, s3
	v_add_co_u32_e32 v16, vcc, s1, v0
	v_addc_co_u32_e32 v17, vcc, 0, v14, vcc
	v_add_co_u32_e32 v14, vcc, s0, v16
	v_addc_co_u32_e32 v15, vcc, v21, v17, vcc
	;; [unrolled: 2-line block ×3, first 2 shown]
	v_add_co_u32_e32 v18, vcc, s19, v0
	v_addc_co_u32_e64 v19, s[6:7], 0, 0, vcc
	v_add_co_u32_e32 v3, vcc, s18, v3
	v_addc_co_u32_e32 v2, vcc, 0, v2, vcc
	v_add_co_u32_e32 v20, vcc, s0, v3
	v_addc_co_u32_e32 v21, vcc, v21, v2, vcc
	;; [unrolled: 2-line block ×3, first 2 shown]
	v_add_co_u32_e32 v24, vcc, s18, v0
	v_mov_b32_e32 v1, 0
	v_addc_co_u32_e64 v25, s[0:1], 0, 0, vcc
	s_mov_b64 s[18:19], 0
	v_pk_mov_b32 v[2:3], s[14:15], s[14:15] op_sel:[0,1]
	s_branch .LBB45_4
.LBB45_3:                               ;   in Loop: Header=BB45_4 Depth=1
	s_or_b64 exec, exec, s[0:1]
	s_add_u32 s18, s18, s24
	s_waitcnt vmcnt(0)
	v_mov_b32_e32 v26, 0x10000
	s_addc_u32 s19, s19, 0
	v_mov_b32_e32 v27, 0
	v_cmp_lt_i64_e32 vcc, s[18:19], v[2:3]
	v_cmp_lt_u64_e64 s[0:1], s[18:19], v[26:27]
	s_and_b64 s[0:1], vcc, s[0:1]
	s_and_b64 vcc, exec, s[0:1]
	s_cbranch_vccz .LBB45_20
.LBB45_4:                               ; =>This Inner Loop Header: Depth=1
	v_mov_b32_e32 v27, s19
	v_add_co_u32_e32 v26, vcc, s18, v0
	v_addc_co_u32_e32 v27, vcc, 0, v27, vcc
	v_cmp_gt_u64_e32 vcc, s[16:17], v[26:27]
	v_mov_b32_e32 v27, 0
	s_and_saveexec_b64 s[2:3], vcc
	s_cbranch_execz .LBB45_6
; %bb.5:                                ;   in Loop: Header=BB45_4 Depth=1
	v_mov_b32_e32 v27, s19
	v_add_co_u32_e64 v26, s[0:1], s18, v4
	v_addc_co_u32_e64 v27, s[0:1], v5, v27, s[0:1]
	global_load_ubyte v27, v[26:27], off
.LBB45_6:                               ;   in Loop: Header=BB45_4 Depth=1
	s_or_b64 exec, exec, s[2:3]
	v_mov_b32_e32 v26, s19
	v_add_co_u32_e64 v28, s[0:1], s18, v24
	v_addc_co_u32_e64 v29, s[0:1], v25, v26, s[0:1]
	v_cmp_gt_u64_e64 s[0:1], s[16:17], v[28:29]
	v_mov_b32_e32 v28, 0
	s_and_saveexec_b64 s[6:7], s[0:1]
	s_cbranch_execz .LBB45_8
; %bb.7:                                ;   in Loop: Header=BB45_4 Depth=1
	v_mov_b32_e32 v26, s19
	v_add_co_u32_e64 v28, s[2:3], s18, v20
	v_addc_co_u32_e64 v29, s[2:3], v21, v26, s[2:3]
	global_load_ubyte v28, v[28:29], off
.LBB45_8:                               ;   in Loop: Header=BB45_4 Depth=1
	s_or_b64 exec, exec, s[6:7]
	v_mov_b32_e32 v26, s19
	v_add_co_u32_e64 v30, s[2:3], s18, v18
	v_addc_co_u32_e64 v31, s[2:3], v19, v26, s[2:3]
	v_cmp_gt_u64_e64 s[2:3], s[16:17], v[30:31]
	v_mov_b32_e32 v26, 0
	v_mov_b32_e32 v29, 0
	s_and_saveexec_b64 s[8:9], s[2:3]
	s_cbranch_execz .LBB45_10
; %bb.9:                                ;   in Loop: Header=BB45_4 Depth=1
	v_mov_b32_e32 v29, s19
	v_add_co_u32_e64 v30, s[6:7], s18, v14
	v_addc_co_u32_e64 v31, s[6:7], v15, v29, s[6:7]
	global_load_ubyte v29, v[30:31], off
.LBB45_10:                              ;   in Loop: Header=BB45_4 Depth=1
	s_or_b64 exec, exec, s[8:9]
	v_mov_b32_e32 v31, s19
	v_add_co_u32_e64 v30, s[6:7], s18, v12
	v_addc_co_u32_e64 v31, s[6:7], v13, v31, s[6:7]
	v_cmp_gt_u64_e64 s[6:7], s[16:17], v[30:31]
	s_and_saveexec_b64 s[20:21], s[6:7]
	s_cbranch_execnz .LBB45_15
; %bb.11:                               ;   in Loop: Header=BB45_4 Depth=1
	s_or_b64 exec, exec, s[20:21]
	s_and_saveexec_b64 s[8:9], vcc
	s_cbranch_execnz .LBB45_16
.LBB45_12:                              ;   in Loop: Header=BB45_4 Depth=1
	s_or_b64 exec, exec, s[8:9]
	s_and_saveexec_b64 s[8:9], s[0:1]
	s_cbranch_execnz .LBB45_17
.LBB45_13:                              ;   in Loop: Header=BB45_4 Depth=1
	s_or_b64 exec, exec, s[8:9]
	s_and_saveexec_b64 s[0:1], s[2:3]
	s_cbranch_execnz .LBB45_18
.LBB45_14:                              ;   in Loop: Header=BB45_4 Depth=1
	s_or_b64 exec, exec, s[0:1]
	s_and_saveexec_b64 s[0:1], s[6:7]
	s_cbranch_execz .LBB45_3
	s_branch .LBB45_19
.LBB45_15:                              ;   in Loop: Header=BB45_4 Depth=1
	v_mov_b32_e32 v26, s19
	v_add_co_u32_e64 v30, s[8:9], s18, v8
	v_addc_co_u32_e64 v31, s[8:9], v9, v26, s[8:9]
	global_load_ubyte v26, v[30:31], off
	s_or_b64 exec, exec, s[20:21]
	s_and_saveexec_b64 s[8:9], vcc
	s_cbranch_execz .LBB45_12
.LBB45_16:                              ;   in Loop: Header=BB45_4 Depth=1
	s_waitcnt vmcnt(0)
	v_cmp_ne_u16_sdwa s[20:21], v27, v1 src0_sel:BYTE_0 src1_sel:DWORD
	s_and_b64 s[20:21], s[20:21], s[10:11]
	v_mov_b32_e32 v31, s19
	v_add_co_u32_e32 v30, vcc, s18, v6
	v_cndmask_b32_e64 v27, 0, 1, s[20:21]
	v_addc_co_u32_e32 v31, vcc, v7, v31, vcc
	global_store_byte v[30:31], v27, off
	s_or_b64 exec, exec, s[8:9]
	s_and_saveexec_b64 s[8:9], s[0:1]
	s_cbranch_execz .LBB45_13
.LBB45_17:                              ;   in Loop: Header=BB45_4 Depth=1
	s_waitcnt vmcnt(0)
	v_cmp_ne_u16_sdwa s[0:1], v28, v1 src0_sel:BYTE_0 src1_sel:DWORD
	s_and_b64 s[0:1], s[0:1], s[10:11]
	v_mov_b32_e32 v28, s19
	v_add_co_u32_e32 v30, vcc, s18, v22
	v_cndmask_b32_e64 v27, 0, 1, s[0:1]
	v_addc_co_u32_e32 v31, vcc, v23, v28, vcc
	global_store_byte v[30:31], v27, off
	s_or_b64 exec, exec, s[8:9]
	s_and_saveexec_b64 s[0:1], s[2:3]
	s_cbranch_execz .LBB45_14
.LBB45_18:                              ;   in Loop: Header=BB45_4 Depth=1
	s_waitcnt vmcnt(0)
	v_cmp_ne_u16_sdwa s[2:3], v29, v1 src0_sel:BYTE_0 src1_sel:DWORD
	s_and_b64 s[2:3], s[2:3], s[10:11]
	v_mov_b32_e32 v29, s19
	v_add_co_u32_e32 v28, vcc, s18, v16
	v_cndmask_b32_e64 v27, 0, 1, s[2:3]
	v_addc_co_u32_e32 v29, vcc, v17, v29, vcc
	global_store_byte v[28:29], v27, off
	s_or_b64 exec, exec, s[0:1]
	s_and_saveexec_b64 s[0:1], s[6:7]
	s_cbranch_execz .LBB45_3
.LBB45_19:                              ;   in Loop: Header=BB45_4 Depth=1
	s_waitcnt vmcnt(0)
	v_cmp_ne_u16_sdwa s[2:3], v26, v1 src0_sel:BYTE_0 src1_sel:DWORD
	s_and_b64 s[2:3], s[2:3], s[10:11]
	v_mov_b32_e32 v27, s19
	v_add_co_u32_e32 v26, vcc, s18, v10
	v_cndmask_b32_e64 v28, 0, 1, s[2:3]
	v_addc_co_u32_e32 v27, vcc, v11, v27, vcc
	global_store_byte v[26:27], v28, off
	s_branch .LBB45_3
.LBB45_20:
	s_mov_b64 s[8:9], 0
.LBB45_21:
	s_andn2_b64 vcc, exec, s[8:9]
	s_cbranch_vccnz .LBB45_25
; %bb.22:
	v_lshlrev_b32_e32 v0, 2, v0
	v_mov_b32_e32 v1, 0
	v_cmp_gt_i64_e32 vcc, s[14:15], v[0:1]
	s_and_saveexec_b64 s[0:1], vcc
	s_cbranch_execz .LBB45_25
; %bb.23:
	s_load_dword s0, s[4:5], 0xc5c
	s_mov_b32 s1, 0
	s_mov_b64 s[4:5], 0
	v_mov_b32_e32 v4, s13
	s_mov_b32 s8, 0xffffff
	s_waitcnt lgkmcnt(0)
	s_and_b32 s0, s0, 0xffff
	s_lshl_b32 s9, s0, 2
	v_mov_b32_e32 v5, s23
	v_mov_b32_e32 v6, 0x1000000
	;; [unrolled: 1-line block ×5, first 2 shown]
	s_mov_b64 s[6:7], 0xffff
	v_pk_mov_b32 v[2:3], v[0:1], v[0:1] op_sel:[0,1]
.LBB45_24:                              ; =>This Inner Loop Header: Depth=1
	v_add_co_u32_e32 v10, vcc, s12, v2
	v_addc_co_u32_e32 v11, vcc, v4, v3, vcc
	global_load_dword v0, v[10:11], off
	v_add_co_u32_e32 v10, vcc, s22, v2
	v_addc_co_u32_e32 v11, vcc, v5, v3, vcc
	v_add_co_u32_e32 v2, vcc, s9, v2
	v_addc_co_u32_e32 v3, vcc, v9, v3, vcc
	v_cmp_le_i64_e32 vcc, s[14:15], v[2:3]
	v_cmp_lt_u64_e64 s[0:1], s[6:7], v[2:3]
	s_or_b64 s[16:17], vcc, s[0:1]
	s_waitcnt vmcnt(0)
	v_and_b32_e32 v13, 0xff0000, v0
	v_cmp_lt_u32_e32 vcc, s8, v0
	v_and_b32_e32 v12, 0xff00, v0
	v_cmp_ne_u32_e64 s[2:3], 0, v13
	s_and_b64 vcc, vcc, s[10:11]
	v_cmp_ne_u32_sdwa s[18:19], v0, v1 src0_sel:BYTE_0 src1_sel:DWORD
	v_cmp_ne_u32_e64 s[0:1], 0, v12
	v_cndmask_b32_e32 v0, 0, v6, vcc
	s_and_b64 vcc, s[2:3], s[10:11]
	s_and_b64 s[18:19], s[18:19], s[10:11]
	v_cndmask_b32_e32 v13, 0, v7, vcc
	s_and_b64 vcc, s[0:1], s[10:11]
	v_cndmask_b32_e64 v12, 0, 1, s[18:19]
	v_cndmask_b32_e32 v14, 0, v8, vcc
	v_or_b32_e32 v0, v13, v0
	s_and_b64 s[0:1], exec, s[16:17]
	v_or3_b32 v0, v0, v14, v12
	s_or_b64 s[4:5], s[0:1], s[4:5]
	global_store_dword v[10:11], v0, off
	s_andn2_b64 exec, exec, s[4:5]
	s_cbranch_execnz .LBB45_24
.LBB45_25:
	s_endpgm
	.section	.rodata,"a",@progbits
	.p2align	6, 0x0
	.amdhsa_kernel _ZN2at6native12_GLOBAL__N_125multi_tensor_apply_kernelINS1_18TensorListMetadataILi2EEENS1_21BinaryOpScalarFunctorIbLi2ELi1ELi1EEEJSt10multipliesIbEbEEEvT_T0_DpT1_
		.amdhsa_group_segment_fixed_size 0
		.amdhsa_private_segment_fixed_size 0
		.amdhsa_kernarg_size 3408
		.amdhsa_user_sgpr_count 6
		.amdhsa_user_sgpr_private_segment_buffer 1
		.amdhsa_user_sgpr_dispatch_ptr 0
		.amdhsa_user_sgpr_queue_ptr 0
		.amdhsa_user_sgpr_kernarg_segment_ptr 1
		.amdhsa_user_sgpr_dispatch_id 0
		.amdhsa_user_sgpr_flat_scratch_init 0
		.amdhsa_user_sgpr_kernarg_preload_length 0
		.amdhsa_user_sgpr_kernarg_preload_offset 0
		.amdhsa_user_sgpr_private_segment_size 0
		.amdhsa_uses_dynamic_stack 0
		.amdhsa_system_sgpr_private_segment_wavefront_offset 0
		.amdhsa_system_sgpr_workgroup_id_x 1
		.amdhsa_system_sgpr_workgroup_id_y 0
		.amdhsa_system_sgpr_workgroup_id_z 0
		.amdhsa_system_sgpr_workgroup_info 0
		.amdhsa_system_vgpr_workitem_id 0
		.amdhsa_next_free_vgpr 32
		.amdhsa_next_free_sgpr 25
		.amdhsa_accum_offset 32
		.amdhsa_reserve_vcc 1
		.amdhsa_reserve_flat_scratch 0
		.amdhsa_float_round_mode_32 0
		.amdhsa_float_round_mode_16_64 0
		.amdhsa_float_denorm_mode_32 3
		.amdhsa_float_denorm_mode_16_64 3
		.amdhsa_dx10_clamp 1
		.amdhsa_ieee_mode 1
		.amdhsa_fp16_overflow 0
		.amdhsa_tg_split 0
		.amdhsa_exception_fp_ieee_invalid_op 0
		.amdhsa_exception_fp_denorm_src 0
		.amdhsa_exception_fp_ieee_div_zero 0
		.amdhsa_exception_fp_ieee_overflow 0
		.amdhsa_exception_fp_ieee_underflow 0
		.amdhsa_exception_fp_ieee_inexact 0
		.amdhsa_exception_int_div_zero 0
	.end_amdhsa_kernel
	.section	.text._ZN2at6native12_GLOBAL__N_125multi_tensor_apply_kernelINS1_18TensorListMetadataILi2EEENS1_21BinaryOpScalarFunctorIbLi2ELi1ELi1EEEJSt10multipliesIbEbEEEvT_T0_DpT1_,"axG",@progbits,_ZN2at6native12_GLOBAL__N_125multi_tensor_apply_kernelINS1_18TensorListMetadataILi2EEENS1_21BinaryOpScalarFunctorIbLi2ELi1ELi1EEEJSt10multipliesIbEbEEEvT_T0_DpT1_,comdat
.Lfunc_end45:
	.size	_ZN2at6native12_GLOBAL__N_125multi_tensor_apply_kernelINS1_18TensorListMetadataILi2EEENS1_21BinaryOpScalarFunctorIbLi2ELi1ELi1EEEJSt10multipliesIbEbEEEvT_T0_DpT1_, .Lfunc_end45-_ZN2at6native12_GLOBAL__N_125multi_tensor_apply_kernelINS1_18TensorListMetadataILi2EEENS1_21BinaryOpScalarFunctorIbLi2ELi1ELi1EEEJSt10multipliesIbEbEEEvT_T0_DpT1_
                                        ; -- End function
	.section	.AMDGPU.csdata,"",@progbits
; Kernel info:
; codeLenInByte = 1328
; NumSgprs: 29
; NumVgprs: 32
; NumAgprs: 0
; TotalNumVgprs: 32
; ScratchSize: 0
; MemoryBound: 0
; FloatMode: 240
; IeeeMode: 1
; LDSByteSize: 0 bytes/workgroup (compile time only)
; SGPRBlocks: 3
; VGPRBlocks: 3
; NumSGPRsForWavesPerEU: 29
; NumVGPRsForWavesPerEU: 32
; AccumOffset: 32
; Occupancy: 8
; WaveLimiterHint : 0
; COMPUTE_PGM_RSRC2:SCRATCH_EN: 0
; COMPUTE_PGM_RSRC2:USER_SGPR: 6
; COMPUTE_PGM_RSRC2:TRAP_HANDLER: 0
; COMPUTE_PGM_RSRC2:TGID_X_EN: 1
; COMPUTE_PGM_RSRC2:TGID_Y_EN: 0
; COMPUTE_PGM_RSRC2:TGID_Z_EN: 0
; COMPUTE_PGM_RSRC2:TIDIG_COMP_CNT: 0
; COMPUTE_PGM_RSRC3_GFX90A:ACCUM_OFFSET: 7
; COMPUTE_PGM_RSRC3_GFX90A:TG_SPLIT: 0
	.section	.text._ZN2at6native12_GLOBAL__N_125multi_tensor_apply_kernelINS1_18TensorListMetadataILi2EEENS1_21BinaryOpScalarFunctorIN3c104HalfELi2ELi1ELi1EEEJSt10multipliesIfEfEEEvT_T0_DpT1_,"axG",@progbits,_ZN2at6native12_GLOBAL__N_125multi_tensor_apply_kernelINS1_18TensorListMetadataILi2EEENS1_21BinaryOpScalarFunctorIN3c104HalfELi2ELi1ELi1EEEJSt10multipliesIfEfEEEvT_T0_DpT1_,comdat
	.globl	_ZN2at6native12_GLOBAL__N_125multi_tensor_apply_kernelINS1_18TensorListMetadataILi2EEENS1_21BinaryOpScalarFunctorIN3c104HalfELi2ELi1ELi1EEEJSt10multipliesIfEfEEEvT_T0_DpT1_ ; -- Begin function _ZN2at6native12_GLOBAL__N_125multi_tensor_apply_kernelINS1_18TensorListMetadataILi2EEENS1_21BinaryOpScalarFunctorIN3c104HalfELi2ELi1ELi1EEEJSt10multipliesIfEfEEEvT_T0_DpT1_
	.p2align	8
	.type	_ZN2at6native12_GLOBAL__N_125multi_tensor_apply_kernelINS1_18TensorListMetadataILi2EEENS1_21BinaryOpScalarFunctorIN3c104HalfELi2ELi1ELi1EEEJSt10multipliesIfEfEEEvT_T0_DpT1_,@function
_ZN2at6native12_GLOBAL__N_125multi_tensor_apply_kernelINS1_18TensorListMetadataILi2EEENS1_21BinaryOpScalarFunctorIN3c104HalfELi2ELi1ELi1EEEJSt10multipliesIfEfEEEvT_T0_DpT1_: ; @_ZN2at6native12_GLOBAL__N_125multi_tensor_apply_kernelINS1_18TensorListMetadataILi2EEENS1_21BinaryOpScalarFunctorIN3c104HalfELi2ELi1ELi1EEEJSt10multipliesIfEfEEEvT_T0_DpT1_
; %bb.0:
	v_mov_b32_e32 v1, s6
	global_load_ubyte v1, v1, s[4:5] offset:1536
	s_add_u32 s0, s4, s6
	s_mul_hi_u32 s2, s6, 3
	s_mul_i32 s6, s6, 3
	s_addc_u32 s7, s5, 0
	s_add_u32 s6, s0, s6
	s_addc_u32 s7, s7, s2
	s_load_dword s6, s[6:7], 0x740
	s_mov_b32 s1, 0
	s_mov_b32 s17, s1
	;; [unrolled: 1-line block ×3, first 2 shown]
	s_waitcnt lgkmcnt(0)
	s_ashr_i32 s7, s6, 31
	s_lshl_b64 s[18:19], s[6:7], 17
	s_waitcnt vmcnt(0)
	v_readfirstlane_b32 s0, v1
	s_lshl_b32 s0, s0, 3
	s_load_dwordx2 s[10:11], s[4:5], s0 offset:0x0
	s_load_dword s12, s[4:5], 0xc4c
	s_load_dwordx2 s[8:9], s[4:5], s0 offset:0x400
	s_load_dwordx2 s[14:15], s[4:5], s0 offset:0x200
	s_waitcnt lgkmcnt(0)
	s_and_b32 s0, s10, 7
	s_and_b32 s16, s8, 3
	;; [unrolled: 1-line block ×3, first 2 shown]
	s_or_b64 s[0:1], s[0:1], s[16:17]
	s_or_b64 s[0:1], s[2:3], s[0:1]
	s_lshl_b64 s[2:3], s[6:7], 16
	s_sub_u32 s16, s8, s2
	s_subb_u32 s17, s9, s3
	s_cmp_eq_u64 s[0:1], 0
	s_mov_b64 s[0:1], -1
	s_cbranch_scc1 .LBB46_21
; %bb.1:
	v_cmp_lt_i64_e64 s[0:1], s[16:17], 1
	s_and_b64 vcc, exec, s[0:1]
	s_cbranch_vccnz .LBB46_20
; %bb.2:
	s_load_dword s0, s[4:5], 0xc5c
	v_mov_b32_e32 v2, 0x10000
	v_mov_b32_e32 v3, 0
	v_cmp_lt_u64_e32 vcc, s[16:17], v[2:3]
	v_lshlrev_b32_e32 v10, 1, v0
	s_waitcnt lgkmcnt(0)
	s_and_b32 s2, s0, 0xffff
	s_and_b64 s[0:1], vcc, exec
	v_mov_b32_e32 v13, s11
	v_add_co_u32_e32 v2, vcc, s10, v10
	v_addc_co_u32_e32 v1, vcc, 0, v13, vcc
	v_mov_b32_e32 v11, 0
	v_mov_b32_e32 v15, s15
	v_add_co_u32_e32 v4, vcc, s14, v10
	v_addc_co_u32_e32 v3, vcc, 0, v15, vcc
	v_mad_u64_u32 v[8:9], s[0:1], s2, 6, v[10:11]
	v_add_co_u32_e32 v6, vcc, s10, v8
	v_addc_co_u32_e32 v5, vcc, v13, v9, vcc
	v_add_co_u32_e32 v8, vcc, s14, v8
	s_mul_i32 s6, s2, 3
	v_addc_co_u32_e32 v7, vcc, v15, v9, vcc
	s_cselect_b32 s21, s17, 0
	s_cselect_b32 s20, s16, 0x10000
	s_lshl_b32 s26, s2, 2
	v_add_co_u32_e32 v17, vcc, s6, v0
	v_addc_co_u32_e64 v18, s[0:1], 0, 0, vcc
	v_add_co_u32_e32 v11, vcc, s26, v10
	v_addc_co_u32_e64 v14, s[0:1], 0, 0, vcc
	v_add_co_u32_e32 v10, vcc, s10, v11
	v_addc_co_u32_e32 v9, vcc, v13, v14, vcc
	v_add_co_u32_e32 v12, vcc, s14, v11
	s_lshl_b32 s3, s2, 1
	v_addc_co_u32_e32 v11, vcc, v15, v14, vcc
	v_add_co_u32_e32 v19, vcc, s3, v0
	v_addc_co_u32_e64 v20, s[0:1], 0, 0, vcc
	v_add_co_u32_e32 v21, vcc, s2, v0
	v_lshlrev_b32_e32 v16, 1, v21
	v_addc_co_u32_e64 v22, s[0:1], 0, 0, vcc
	v_add_co_u32_e32 v14, vcc, s10, v16
	v_addc_co_u32_e32 v13, vcc, 0, v13, vcc
	v_add_co_u32_e32 v16, vcc, s14, v16
	s_mov_b32 s13, 0
	s_lshl_b32 s27, s2, 3
	v_addc_co_u32_e32 v15, vcc, 0, v15, vcc
	s_mov_b64 s[22:23], 0
	s_branch .LBB46_4
.LBB46_3:                               ;   in Loop: Header=BB46_4 Depth=1
	s_or_b64 exec, exec, s[0:1]
	s_add_u32 s22, s22, s26
	s_addc_u32 s23, s23, 0
	s_waitcnt vmcnt(0)
	v_pk_mov_b32 v[24:25], s[16:17], s[16:17] op_sel:[0,1]
	v_cmp_lt_i64_e32 vcc, s[22:23], v[24:25]
	v_mov_b32_e32 v24, 0x10000
	v_mov_b32_e32 v25, 0
	v_cmp_lt_u64_e64 s[0:1], s[22:23], v[24:25]
	s_and_b64 s[0:1], vcc, s[0:1]
	v_mov_b32_e32 v23, s13
	v_add_co_u32_e32 v2, vcc, s27, v2
	v_addc_co_u32_e32 v1, vcc, v1, v23, vcc
	v_add_co_u32_e32 v4, vcc, s27, v4
	v_addc_co_u32_e32 v3, vcc, v3, v23, vcc
	;; [unrolled: 2-line block ×8, first 2 shown]
	s_and_b64 vcc, exec, s[0:1]
	s_cbranch_vccz .LBB46_20
.LBB46_4:                               ; =>This Inner Loop Header: Depth=1
	v_mov_b32_e32 v23, s23
	v_add_co_u32_e32 v24, vcc, s22, v0
	v_addc_co_u32_e32 v25, vcc, 0, v23, vcc
	v_cmp_gt_u64_e32 vcc, s[20:21], v[24:25]
	v_mov_b32_e32 v23, 0
	s_and_saveexec_b64 s[2:3], vcc
	s_cbranch_execz .LBB46_6
; %bb.5:                                ;   in Loop: Header=BB46_4 Depth=1
	v_mov_b32_e32 v23, s19
	v_add_co_u32_e64 v24, s[0:1], s18, v2
	v_addc_co_u32_e64 v25, s[0:1], v1, v23, s[0:1]
	global_load_ushort v23, v[24:25], off
.LBB46_6:                               ;   in Loop: Header=BB46_4 Depth=1
	s_or_b64 exec, exec, s[2:3]
	v_mov_b32_e32 v25, s23
	v_add_co_u32_e64 v24, s[0:1], s22, v21
	v_addc_co_u32_e64 v25, s[0:1], v22, v25, s[0:1]
	v_cmp_gt_u64_e64 s[0:1], s[20:21], v[24:25]
	v_mov_b32_e32 v25, 0
	s_and_saveexec_b64 s[6:7], s[0:1]
	s_cbranch_execz .LBB46_8
; %bb.7:                                ;   in Loop: Header=BB46_4 Depth=1
	v_mov_b32_e32 v25, s19
	v_add_co_u32_e64 v24, s[2:3], s18, v14
	v_addc_co_u32_e64 v25, s[2:3], v13, v25, s[2:3]
	global_load_ushort v25, v[24:25], off
.LBB46_8:                               ;   in Loop: Header=BB46_4 Depth=1
	s_or_b64 exec, exec, s[6:7]
	v_mov_b32_e32 v24, s23
	v_add_co_u32_e64 v26, s[2:3], s22, v19
	v_addc_co_u32_e64 v27, s[2:3], v20, v24, s[2:3]
	v_cmp_gt_u64_e64 s[2:3], s[20:21], v[26:27]
	v_mov_b32_e32 v24, 0
	v_mov_b32_e32 v26, 0
	s_and_saveexec_b64 s[8:9], s[2:3]
	s_cbranch_execz .LBB46_10
; %bb.9:                                ;   in Loop: Header=BB46_4 Depth=1
	v_mov_b32_e32 v27, s19
	v_add_co_u32_e64 v26, s[6:7], s18, v10
	v_addc_co_u32_e64 v27, s[6:7], v9, v27, s[6:7]
	global_load_ushort v26, v[26:27], off
.LBB46_10:                              ;   in Loop: Header=BB46_4 Depth=1
	s_or_b64 exec, exec, s[8:9]
	v_mov_b32_e32 v27, s23
	v_add_co_u32_e64 v28, s[6:7], s22, v17
	v_addc_co_u32_e64 v29, s[6:7], v18, v27, s[6:7]
	v_cmp_gt_u64_e64 s[6:7], s[20:21], v[28:29]
	s_and_saveexec_b64 s[24:25], s[6:7]
	s_cbranch_execnz .LBB46_15
; %bb.11:                               ;   in Loop: Header=BB46_4 Depth=1
	s_or_b64 exec, exec, s[24:25]
	s_and_saveexec_b64 s[8:9], vcc
	s_cbranch_execnz .LBB46_16
.LBB46_12:                              ;   in Loop: Header=BB46_4 Depth=1
	s_or_b64 exec, exec, s[8:9]
	s_and_saveexec_b64 s[8:9], s[0:1]
	s_cbranch_execnz .LBB46_17
.LBB46_13:                              ;   in Loop: Header=BB46_4 Depth=1
	s_or_b64 exec, exec, s[8:9]
	s_and_saveexec_b64 s[0:1], s[2:3]
	s_cbranch_execnz .LBB46_18
.LBB46_14:                              ;   in Loop: Header=BB46_4 Depth=1
	s_or_b64 exec, exec, s[0:1]
	s_and_saveexec_b64 s[0:1], s[6:7]
	s_cbranch_execz .LBB46_3
	s_branch .LBB46_19
.LBB46_15:                              ;   in Loop: Header=BB46_4 Depth=1
	v_mov_b32_e32 v24, s19
	v_add_co_u32_e64 v28, s[8:9], s18, v6
	v_addc_co_u32_e64 v29, s[8:9], v5, v24, s[8:9]
	global_load_ushort v24, v[28:29], off
	s_or_b64 exec, exec, s[24:25]
	s_and_saveexec_b64 s[8:9], vcc
	s_cbranch_execz .LBB46_12
.LBB46_16:                              ;   in Loop: Header=BB46_4 Depth=1
	v_mov_b32_e32 v27, s19
	v_add_co_u32_e32 v28, vcc, s18, v4
	s_waitcnt vmcnt(0)
	v_fma_mixlo_f16 v23, v23, s12, 0 op_sel_hi:[1,0,0]
	v_addc_co_u32_e32 v29, vcc, v3, v27, vcc
	global_store_short v[28:29], v23, off
	s_or_b64 exec, exec, s[8:9]
	s_and_saveexec_b64 s[8:9], s[0:1]
	s_cbranch_execz .LBB46_13
.LBB46_17:                              ;   in Loop: Header=BB46_4 Depth=1
	s_waitcnt vmcnt(0)
	v_fma_mixlo_f16 v23, v25, s12, 0 op_sel_hi:[1,0,0]
	v_mov_b32_e32 v25, s19
	v_add_co_u32_e32 v28, vcc, s18, v16
	v_addc_co_u32_e32 v29, vcc, v15, v25, vcc
	global_store_short v[28:29], v23, off
	s_or_b64 exec, exec, s[8:9]
	s_and_saveexec_b64 s[0:1], s[2:3]
	s_cbranch_execz .LBB46_14
.LBB46_18:                              ;   in Loop: Header=BB46_4 Depth=1
	s_waitcnt vmcnt(0)
	v_fma_mixlo_f16 v23, v26, s12, 0 op_sel_hi:[1,0,0]
	v_mov_b32_e32 v25, s19
	v_add_co_u32_e32 v26, vcc, s18, v12
	v_addc_co_u32_e32 v27, vcc, v11, v25, vcc
	global_store_short v[26:27], v23, off
	s_or_b64 exec, exec, s[0:1]
	s_and_saveexec_b64 s[0:1], s[6:7]
	s_cbranch_execz .LBB46_3
.LBB46_19:                              ;   in Loop: Header=BB46_4 Depth=1
	s_waitcnt vmcnt(0)
	v_fma_mixlo_f16 v23, v24, s12, 0 op_sel_hi:[1,0,0]
	v_mov_b32_e32 v25, s19
	v_add_co_u32_e32 v24, vcc, s18, v8
	v_addc_co_u32_e32 v25, vcc, v7, v25, vcc
	global_store_short v[24:25], v23, off
	s_branch .LBB46_3
.LBB46_20:
	s_mov_b64 s[0:1], 0
.LBB46_21:
	s_andn2_b64 vcc, exec, s[0:1]
	s_cbranch_vccnz .LBB46_25
; %bb.22:
	v_mov_b32_e32 v3, 0
	v_lshlrev_b32_e32 v2, 2, v0
	s_mov_b32 s0, 0
	v_cmp_gt_i64_e32 vcc, s[16:17], v[2:3]
	s_and_saveexec_b64 s[2:3], vcc
	s_cbranch_execz .LBB46_25
; %bb.23:
	s_load_dword s1, s[4:5], 0xc5c
	v_lshlrev_b32_e32 v1, 3, v0
	v_mov_b32_e32 v2, s19
	v_add_co_u32_e32 v4, vcc, s18, v1
	s_waitcnt lgkmcnt(0)
	s_and_b32 s1, s1, 0xffff
	s_mov_b32 s13, s12
	s_mov_b32 s4, s12
	;; [unrolled: 1-line block ×3, first 2 shown]
	v_addc_co_u32_e32 v1, vcc, 0, v2, vcc
	s_lshl_b32 s18, s1, 3
	v_add_lshl_u32 v2, v0, s1, 2
	s_lshl_b32 s19, s1, 2
	s_mov_b64 s[6:7], 0
	v_mov_b32_e32 v0, s11
	v_mov_b32_e32 v5, s15
	s_mov_b64 s[8:9], 0xffff
	v_mov_b32_e32 v6, s0
	v_mov_b32_e32 v7, s0
.LBB46_24:                              ; =>This Inner Loop Header: Depth=1
	v_add_co_u32_e32 v8, vcc, s10, v4
	v_addc_co_u32_e32 v9, vcc, v0, v1, vcc
	global_load_dwordx2 v[8:9], v[8:9], off
	v_add_co_u32_e32 v10, vcc, s14, v4
	v_addc_co_u32_e32 v11, vcc, v5, v1, vcc
	v_cmp_le_i64_e32 vcc, s[16:17], v[2:3]
	v_cmp_lt_u64_e64 s[0:1], s[8:9], v[2:3]
	v_add_co_u32_e64 v4, s[2:3], s18, v4
	v_addc_co_u32_e64 v1, s[2:3], v1, v6, s[2:3]
	s_or_b64 s[0:1], vcc, s[0:1]
	v_add_co_u32_e64 v2, s[2:3], s19, v2
	s_and_b64 s[0:1], exec, s[0:1]
	v_addc_co_u32_e64 v3, s[2:3], v3, v7, s[2:3]
	s_or_b64 s[6:7], s[0:1], s[6:7]
	s_waitcnt vmcnt(0)
	v_cvt_f32_f16_e32 v12, v9
	v_cvt_f32_f16_e32 v14, v8
	v_cvt_f32_f16_sdwa v15, v8 dst_sel:DWORD dst_unused:UNUSED_PAD src0_sel:WORD_1
	v_cvt_f32_f16_sdwa v13, v9 dst_sel:DWORD dst_unused:UNUSED_PAD src0_sel:WORD_1
	v_pk_mul_f32 v[8:9], s[12:13], v[14:15]
	v_pk_mul_f32 v[12:13], s[4:5], v[12:13]
	v_cvt_f16_f32_e32 v13, v13
	v_cvt_f16_f32_e32 v12, v12
	;; [unrolled: 1-line block ×4, first 2 shown]
	v_pack_b32_f16 v9, v12, v13
	v_pack_b32_f16 v8, v8, v14
	global_store_dwordx2 v[10:11], v[8:9], off
	s_andn2_b64 exec, exec, s[6:7]
	s_cbranch_execnz .LBB46_24
.LBB46_25:
	s_endpgm
	.section	.rodata,"a",@progbits
	.p2align	6, 0x0
	.amdhsa_kernel _ZN2at6native12_GLOBAL__N_125multi_tensor_apply_kernelINS1_18TensorListMetadataILi2EEENS1_21BinaryOpScalarFunctorIN3c104HalfELi2ELi1ELi1EEEJSt10multipliesIfEfEEEvT_T0_DpT1_
		.amdhsa_group_segment_fixed_size 0
		.amdhsa_private_segment_fixed_size 0
		.amdhsa_kernarg_size 3408
		.amdhsa_user_sgpr_count 6
		.amdhsa_user_sgpr_private_segment_buffer 1
		.amdhsa_user_sgpr_dispatch_ptr 0
		.amdhsa_user_sgpr_queue_ptr 0
		.amdhsa_user_sgpr_kernarg_segment_ptr 1
		.amdhsa_user_sgpr_dispatch_id 0
		.amdhsa_user_sgpr_flat_scratch_init 0
		.amdhsa_user_sgpr_kernarg_preload_length 0
		.amdhsa_user_sgpr_kernarg_preload_offset 0
		.amdhsa_user_sgpr_private_segment_size 0
		.amdhsa_uses_dynamic_stack 0
		.amdhsa_system_sgpr_private_segment_wavefront_offset 0
		.amdhsa_system_sgpr_workgroup_id_x 1
		.amdhsa_system_sgpr_workgroup_id_y 0
		.amdhsa_system_sgpr_workgroup_id_z 0
		.amdhsa_system_sgpr_workgroup_info 0
		.amdhsa_system_vgpr_workitem_id 0
		.amdhsa_next_free_vgpr 30
		.amdhsa_next_free_sgpr 28
		.amdhsa_accum_offset 32
		.amdhsa_reserve_vcc 1
		.amdhsa_reserve_flat_scratch 0
		.amdhsa_float_round_mode_32 0
		.amdhsa_float_round_mode_16_64 0
		.amdhsa_float_denorm_mode_32 3
		.amdhsa_float_denorm_mode_16_64 3
		.amdhsa_dx10_clamp 1
		.amdhsa_ieee_mode 1
		.amdhsa_fp16_overflow 0
		.amdhsa_tg_split 0
		.amdhsa_exception_fp_ieee_invalid_op 0
		.amdhsa_exception_fp_denorm_src 0
		.amdhsa_exception_fp_ieee_div_zero 0
		.amdhsa_exception_fp_ieee_overflow 0
		.amdhsa_exception_fp_ieee_underflow 0
		.amdhsa_exception_fp_ieee_inexact 0
		.amdhsa_exception_int_div_zero 0
	.end_amdhsa_kernel
	.section	.text._ZN2at6native12_GLOBAL__N_125multi_tensor_apply_kernelINS1_18TensorListMetadataILi2EEENS1_21BinaryOpScalarFunctorIN3c104HalfELi2ELi1ELi1EEEJSt10multipliesIfEfEEEvT_T0_DpT1_,"axG",@progbits,_ZN2at6native12_GLOBAL__N_125multi_tensor_apply_kernelINS1_18TensorListMetadataILi2EEENS1_21BinaryOpScalarFunctorIN3c104HalfELi2ELi1ELi1EEEJSt10multipliesIfEfEEEvT_T0_DpT1_,comdat
.Lfunc_end46:
	.size	_ZN2at6native12_GLOBAL__N_125multi_tensor_apply_kernelINS1_18TensorListMetadataILi2EEENS1_21BinaryOpScalarFunctorIN3c104HalfELi2ELi1ELi1EEEJSt10multipliesIfEfEEEvT_T0_DpT1_, .Lfunc_end46-_ZN2at6native12_GLOBAL__N_125multi_tensor_apply_kernelINS1_18TensorListMetadataILi2EEENS1_21BinaryOpScalarFunctorIN3c104HalfELi2ELi1ELi1EEEJSt10multipliesIfEfEEEvT_T0_DpT1_
                                        ; -- End function
	.section	.AMDGPU.csdata,"",@progbits
; Kernel info:
; codeLenInByte = 1332
; NumSgprs: 32
; NumVgprs: 30
; NumAgprs: 0
; TotalNumVgprs: 30
; ScratchSize: 0
; MemoryBound: 0
; FloatMode: 240
; IeeeMode: 1
; LDSByteSize: 0 bytes/workgroup (compile time only)
; SGPRBlocks: 3
; VGPRBlocks: 3
; NumSGPRsForWavesPerEU: 32
; NumVGPRsForWavesPerEU: 30
; AccumOffset: 32
; Occupancy: 8
; WaveLimiterHint : 0
; COMPUTE_PGM_RSRC2:SCRATCH_EN: 0
; COMPUTE_PGM_RSRC2:USER_SGPR: 6
; COMPUTE_PGM_RSRC2:TRAP_HANDLER: 0
; COMPUTE_PGM_RSRC2:TGID_X_EN: 1
; COMPUTE_PGM_RSRC2:TGID_Y_EN: 0
; COMPUTE_PGM_RSRC2:TGID_Z_EN: 0
; COMPUTE_PGM_RSRC2:TIDIG_COMP_CNT: 0
; COMPUTE_PGM_RSRC3_GFX90A:ACCUM_OFFSET: 7
; COMPUTE_PGM_RSRC3_GFX90A:TG_SPLIT: 0
	.section	.text._ZN2at6native12_GLOBAL__N_125multi_tensor_apply_kernelINS1_18TensorListMetadataILi2EEENS1_21BinaryOpScalarFunctorIN3c108BFloat16ELi2ELi1ELi1EEEJSt10multipliesIfEfEEEvT_T0_DpT1_,"axG",@progbits,_ZN2at6native12_GLOBAL__N_125multi_tensor_apply_kernelINS1_18TensorListMetadataILi2EEENS1_21BinaryOpScalarFunctorIN3c108BFloat16ELi2ELi1ELi1EEEJSt10multipliesIfEfEEEvT_T0_DpT1_,comdat
	.globl	_ZN2at6native12_GLOBAL__N_125multi_tensor_apply_kernelINS1_18TensorListMetadataILi2EEENS1_21BinaryOpScalarFunctorIN3c108BFloat16ELi2ELi1ELi1EEEJSt10multipliesIfEfEEEvT_T0_DpT1_ ; -- Begin function _ZN2at6native12_GLOBAL__N_125multi_tensor_apply_kernelINS1_18TensorListMetadataILi2EEENS1_21BinaryOpScalarFunctorIN3c108BFloat16ELi2ELi1ELi1EEEJSt10multipliesIfEfEEEvT_T0_DpT1_
	.p2align	8
	.type	_ZN2at6native12_GLOBAL__N_125multi_tensor_apply_kernelINS1_18TensorListMetadataILi2EEENS1_21BinaryOpScalarFunctorIN3c108BFloat16ELi2ELi1ELi1EEEJSt10multipliesIfEfEEEvT_T0_DpT1_,@function
_ZN2at6native12_GLOBAL__N_125multi_tensor_apply_kernelINS1_18TensorListMetadataILi2EEENS1_21BinaryOpScalarFunctorIN3c108BFloat16ELi2ELi1ELi1EEEJSt10multipliesIfEfEEEvT_T0_DpT1_: ; @_ZN2at6native12_GLOBAL__N_125multi_tensor_apply_kernelINS1_18TensorListMetadataILi2EEENS1_21BinaryOpScalarFunctorIN3c108BFloat16ELi2ELi1ELi1EEEJSt10multipliesIfEfEEEvT_T0_DpT1_
; %bb.0:
	v_mov_b32_e32 v1, s6
	global_load_ubyte v1, v1, s[4:5] offset:1536
	s_add_u32 s0, s4, s6
	s_mul_hi_u32 s2, s6, 3
	s_mul_i32 s6, s6, 3
	s_addc_u32 s7, s5, 0
	s_add_u32 s6, s0, s6
	s_addc_u32 s7, s7, s2
	s_load_dword s6, s[6:7], 0x740
	s_mov_b32 s1, 0
	s_mov_b32 s15, s1
	;; [unrolled: 1-line block ×3, first 2 shown]
	s_waitcnt lgkmcnt(0)
	s_ashr_i32 s7, s6, 31
	s_lshl_b64 s[16:17], s[6:7], 17
	s_waitcnt vmcnt(0)
	v_readfirstlane_b32 s0, v1
	s_lshl_b32 s0, s0, 3
	s_load_dwordx2 s[10:11], s[4:5], s0 offset:0x0
	s_load_dword s24, s[4:5], 0xc4c
	s_load_dwordx2 s[8:9], s[4:5], s0 offset:0x400
	s_load_dwordx2 s[12:13], s[4:5], s0 offset:0x200
	s_waitcnt lgkmcnt(0)
	s_and_b32 s0, s10, 7
	s_and_b32 s14, s8, 3
	;; [unrolled: 1-line block ×3, first 2 shown]
	s_or_b64 s[0:1], s[0:1], s[14:15]
	s_or_b64 s[0:1], s[2:3], s[0:1]
	s_lshl_b64 s[2:3], s[6:7], 16
	s_sub_u32 s14, s8, s2
	s_subb_u32 s15, s9, s3
	s_cmp_eq_u64 s[0:1], 0
	s_mov_b64 s[0:1], -1
	s_cbranch_scc1 .LBB47_21
; %bb.1:
	v_cmp_lt_i64_e64 s[0:1], s[14:15], 1
	s_and_b64 vcc, exec, s[0:1]
	s_cbranch_vccnz .LBB47_20
; %bb.2:
	s_load_dword s0, s[4:5], 0xc5c
	v_mov_b32_e32 v2, 0x10000
	v_mov_b32_e32 v3, 0
	v_cmp_lt_u64_e32 vcc, s[14:15], v[2:3]
	v_lshlrev_b32_e32 v10, 1, v0
	s_waitcnt lgkmcnt(0)
	s_and_b32 s2, s0, 0xffff
	s_and_b64 s[0:1], vcc, exec
	v_mov_b32_e32 v13, s11
	v_add_co_u32_e32 v2, vcc, s10, v10
	v_addc_co_u32_e32 v1, vcc, 0, v13, vcc
	v_mov_b32_e32 v11, 0
	v_mov_b32_e32 v15, s13
	v_add_co_u32_e32 v4, vcc, s12, v10
	v_addc_co_u32_e32 v3, vcc, 0, v15, vcc
	v_mad_u64_u32 v[8:9], s[0:1], s2, 6, v[10:11]
	v_add_co_u32_e32 v6, vcc, s10, v8
	v_addc_co_u32_e32 v5, vcc, v13, v9, vcc
	v_add_co_u32_e32 v8, vcc, s12, v8
	s_mul_i32 s6, s2, 3
	v_addc_co_u32_e32 v7, vcc, v15, v9, vcc
	s_cselect_b32 s19, s15, 0
	s_cselect_b32 s18, s14, 0x10000
	s_lshl_b32 s26, s2, 2
	v_add_co_u32_e32 v17, vcc, s6, v0
	v_addc_co_u32_e64 v18, s[0:1], 0, 0, vcc
	v_add_co_u32_e32 v11, vcc, s26, v10
	v_addc_co_u32_e64 v14, s[0:1], 0, 0, vcc
	v_add_co_u32_e32 v10, vcc, s10, v11
	v_addc_co_u32_e32 v9, vcc, v13, v14, vcc
	v_add_co_u32_e32 v12, vcc, s12, v11
	s_lshl_b32 s3, s2, 1
	v_addc_co_u32_e32 v11, vcc, v15, v14, vcc
	v_add_co_u32_e32 v19, vcc, s3, v0
	v_addc_co_u32_e64 v20, s[0:1], 0, 0, vcc
	v_add_co_u32_e32 v21, vcc, s2, v0
	v_lshlrev_b32_e32 v16, 1, v21
	v_addc_co_u32_e64 v22, s[0:1], 0, 0, vcc
	v_add_co_u32_e32 v14, vcc, s10, v16
	v_addc_co_u32_e32 v13, vcc, 0, v13, vcc
	v_add_co_u32_e32 v16, vcc, s12, v16
	s_mov_b32 s25, 0
	s_lshl_b32 s27, s2, 3
	v_addc_co_u32_e32 v15, vcc, 0, v15, vcc
	s_mov_b64 s[20:21], 0
	s_movk_i32 s28, 0x7fff
	v_mov_b32_e32 v23, 0x7fc0
	s_branch .LBB47_4
.LBB47_3:                               ;   in Loop: Header=BB47_4 Depth=1
	s_or_b64 exec, exec, s[0:1]
	s_add_u32 s20, s20, s26
	s_addc_u32 s21, s21, 0
	s_waitcnt vmcnt(0)
	v_pk_mov_b32 v[24:25], s[14:15], s[14:15] op_sel:[0,1]
	v_cmp_lt_i64_e32 vcc, s[20:21], v[24:25]
	v_mov_b32_e32 v24, 0x10000
	v_mov_b32_e32 v25, 0
	v_cmp_lt_u64_e64 s[0:1], s[20:21], v[24:25]
	s_and_b64 s[0:1], vcc, s[0:1]
	v_mov_b32_e32 v24, s25
	v_add_co_u32_e32 v2, vcc, s27, v2
	v_addc_co_u32_e32 v1, vcc, v1, v24, vcc
	v_add_co_u32_e32 v4, vcc, s27, v4
	v_addc_co_u32_e32 v3, vcc, v3, v24, vcc
	;; [unrolled: 2-line block ×8, first 2 shown]
	s_and_b64 vcc, exec, s[0:1]
	s_cbranch_vccz .LBB47_20
.LBB47_4:                               ; =>This Inner Loop Header: Depth=1
	v_mov_b32_e32 v25, s21
	v_add_co_u32_e32 v24, vcc, s20, v0
	v_addc_co_u32_e32 v25, vcc, 0, v25, vcc
	v_cmp_gt_u64_e32 vcc, s[18:19], v[24:25]
	v_mov_b32_e32 v25, 0
	s_and_saveexec_b64 s[2:3], vcc
	s_cbranch_execz .LBB47_6
; %bb.5:                                ;   in Loop: Header=BB47_4 Depth=1
	v_mov_b32_e32 v25, s17
	v_add_co_u32_e64 v24, s[0:1], s16, v2
	v_addc_co_u32_e64 v25, s[0:1], v1, v25, s[0:1]
	global_load_ushort v25, v[24:25], off
.LBB47_6:                               ;   in Loop: Header=BB47_4 Depth=1
	s_or_b64 exec, exec, s[2:3]
	v_mov_b32_e32 v24, s21
	v_add_co_u32_e64 v26, s[0:1], s20, v21
	v_addc_co_u32_e64 v27, s[0:1], v22, v24, s[0:1]
	v_cmp_gt_u64_e64 s[0:1], s[18:19], v[26:27]
	v_mov_b32_e32 v26, 0
	s_and_saveexec_b64 s[6:7], s[0:1]
	s_cbranch_execz .LBB47_8
; %bb.7:                                ;   in Loop: Header=BB47_4 Depth=1
	v_mov_b32_e32 v24, s17
	v_add_co_u32_e64 v26, s[2:3], s16, v14
	v_addc_co_u32_e64 v27, s[2:3], v13, v24, s[2:3]
	global_load_ushort v26, v[26:27], off
.LBB47_8:                               ;   in Loop: Header=BB47_4 Depth=1
	s_or_b64 exec, exec, s[6:7]
	v_mov_b32_e32 v24, s21
	v_add_co_u32_e64 v28, s[2:3], s20, v19
	v_addc_co_u32_e64 v29, s[2:3], v20, v24, s[2:3]
	v_cmp_gt_u64_e64 s[2:3], s[18:19], v[28:29]
	v_mov_b32_e32 v24, 0
	v_mov_b32_e32 v27, 0
	s_and_saveexec_b64 s[8:9], s[2:3]
	s_cbranch_execz .LBB47_10
; %bb.9:                                ;   in Loop: Header=BB47_4 Depth=1
	v_mov_b32_e32 v27, s17
	v_add_co_u32_e64 v28, s[6:7], s16, v10
	v_addc_co_u32_e64 v29, s[6:7], v9, v27, s[6:7]
	global_load_ushort v27, v[28:29], off
.LBB47_10:                              ;   in Loop: Header=BB47_4 Depth=1
	s_or_b64 exec, exec, s[8:9]
	v_mov_b32_e32 v29, s21
	v_add_co_u32_e64 v28, s[6:7], s20, v17
	v_addc_co_u32_e64 v29, s[6:7], v18, v29, s[6:7]
	v_cmp_gt_u64_e64 s[6:7], s[18:19], v[28:29]
	s_and_saveexec_b64 s[22:23], s[6:7]
	s_cbranch_execnz .LBB47_15
; %bb.11:                               ;   in Loop: Header=BB47_4 Depth=1
	s_or_b64 exec, exec, s[22:23]
	s_and_saveexec_b64 s[8:9], vcc
	s_cbranch_execnz .LBB47_16
.LBB47_12:                              ;   in Loop: Header=BB47_4 Depth=1
	s_or_b64 exec, exec, s[8:9]
	s_and_saveexec_b64 s[8:9], s[0:1]
	s_cbranch_execnz .LBB47_17
.LBB47_13:                              ;   in Loop: Header=BB47_4 Depth=1
	s_or_b64 exec, exec, s[8:9]
	s_and_saveexec_b64 s[0:1], s[2:3]
	s_cbranch_execnz .LBB47_18
.LBB47_14:                              ;   in Loop: Header=BB47_4 Depth=1
	s_or_b64 exec, exec, s[0:1]
	s_and_saveexec_b64 s[0:1], s[6:7]
	s_cbranch_execz .LBB47_3
	s_branch .LBB47_19
.LBB47_15:                              ;   in Loop: Header=BB47_4 Depth=1
	v_mov_b32_e32 v24, s17
	v_add_co_u32_e64 v28, s[8:9], s16, v6
	v_addc_co_u32_e64 v29, s[8:9], v5, v24, s[8:9]
	global_load_ushort v24, v[28:29], off
	s_or_b64 exec, exec, s[22:23]
	s_and_saveexec_b64 s[8:9], vcc
	s_cbranch_execz .LBB47_12
.LBB47_16:                              ;   in Loop: Header=BB47_4 Depth=1
	s_waitcnt vmcnt(0)
	v_lshlrev_b32_e32 v25, 16, v25
	v_mul_f32_e32 v25, s24, v25
	v_mov_b32_e32 v29, s17
	v_add_co_u32_e32 v28, vcc, s16, v4
	v_bfe_u32 v30, v25, 16, 1
	v_addc_co_u32_e32 v29, vcc, v3, v29, vcc
	v_add3_u32 v30, v25, v30, s28
	v_lshrrev_b32_e32 v30, 16, v30
	v_cmp_o_f32_e32 vcc, v25, v25
	v_cndmask_b32_e32 v25, v23, v30, vcc
	global_store_short v[28:29], v25, off
	s_or_b64 exec, exec, s[8:9]
	s_and_saveexec_b64 s[8:9], s[0:1]
	s_cbranch_execz .LBB47_13
.LBB47_17:                              ;   in Loop: Header=BB47_4 Depth=1
	s_waitcnt vmcnt(0)
	v_lshlrev_b32_e32 v25, 16, v26
	v_mul_f32_e32 v25, s24, v25
	v_bfe_u32 v26, v25, 16, 1
	v_add3_u32 v26, v25, v26, s28
	v_lshrrev_b32_e32 v26, 16, v26
	v_cmp_o_f32_e32 vcc, v25, v25
	v_cndmask_b32_e32 v25, v23, v26, vcc
	v_mov_b32_e32 v26, s17
	v_add_co_u32_e32 v28, vcc, s16, v16
	v_addc_co_u32_e32 v29, vcc, v15, v26, vcc
	global_store_short v[28:29], v25, off
	s_or_b64 exec, exec, s[8:9]
	s_and_saveexec_b64 s[0:1], s[2:3]
	s_cbranch_execz .LBB47_14
.LBB47_18:                              ;   in Loop: Header=BB47_4 Depth=1
	s_waitcnt vmcnt(0)
	v_lshlrev_b32_e32 v25, 16, v27
	v_mul_f32_e32 v25, s24, v25
	v_bfe_u32 v26, v25, 16, 1
	v_add3_u32 v26, v25, v26, s28
	v_lshrrev_b32_e32 v26, 16, v26
	v_cmp_o_f32_e32 vcc, v25, v25
	v_cndmask_b32_e32 v25, v23, v26, vcc
	v_mov_b32_e32 v27, s17
	v_add_co_u32_e32 v26, vcc, s16, v12
	v_addc_co_u32_e32 v27, vcc, v11, v27, vcc
	global_store_short v[26:27], v25, off
	s_or_b64 exec, exec, s[0:1]
	s_and_saveexec_b64 s[0:1], s[6:7]
	s_cbranch_execz .LBB47_3
.LBB47_19:                              ;   in Loop: Header=BB47_4 Depth=1
	s_waitcnt vmcnt(0)
	v_lshlrev_b32_e32 v24, 16, v24
	v_mul_f32_e32 v24, s24, v24
	v_bfe_u32 v25, v24, 16, 1
	v_add3_u32 v25, v24, v25, s28
	v_lshrrev_b32_e32 v25, 16, v25
	v_cmp_o_f32_e32 vcc, v24, v24
	v_cndmask_b32_e32 v26, v23, v25, vcc
	v_mov_b32_e32 v25, s17
	v_add_co_u32_e32 v24, vcc, s16, v8
	v_addc_co_u32_e32 v25, vcc, v7, v25, vcc
	global_store_short v[24:25], v26, off
	s_branch .LBB47_3
.LBB47_20:
	s_mov_b64 s[0:1], 0
.LBB47_21:
	s_andn2_b64 vcc, exec, s[0:1]
	s_cbranch_vccnz .LBB47_25
; %bb.22:
	v_mov_b32_e32 v3, 0
	v_lshlrev_b32_e32 v2, 2, v0
	s_mov_b32 s0, 0
	v_cmp_gt_i64_e32 vcc, s[14:15], v[2:3]
	s_and_saveexec_b64 s[2:3], vcc
	s_cbranch_execz .LBB47_25
; %bb.23:
	s_load_dword s1, s[4:5], 0xc5c
	v_lshlrev_b32_e32 v1, 3, v0
	v_mov_b32_e32 v2, s17
	v_add_co_u32_e32 v4, vcc, s16, v1
	s_waitcnt lgkmcnt(0)
	s_and_b32 s1, s1, 0xffff
	v_addc_co_u32_e32 v1, vcc, 0, v2, vcc
	s_lshl_b32 s8, s1, 3
	v_add_lshl_u32 v2, v0, s1, 2
	s_lshl_b32 s9, s1, 2
	s_mov_b64 s[4:5], 0
	v_mov_b32_e32 v0, s11
	s_movk_i32 s11, 0x7fff
	v_mov_b32_e32 v5, s13
	v_mov_b32_e32 v6, 0x7fc00000
	;; [unrolled: 1-line block ×3, first 2 shown]
	s_mov_b64 s[6:7], 0xffff
	v_mov_b32_e32 v8, s0
	v_mov_b32_e32 v9, s0
.LBB47_24:                              ; =>This Inner Loop Header: Depth=1
	v_add_co_u32_e32 v10, vcc, s10, v4
	v_addc_co_u32_e32 v11, vcc, v0, v1, vcc
	global_load_dwordx2 v[10:11], v[10:11], off
	v_add_co_u32_e32 v12, vcc, s12, v4
	v_addc_co_u32_e32 v13, vcc, v5, v1, vcc
	v_cmp_le_i64_e32 vcc, s[14:15], v[2:3]
	v_cmp_lt_u64_e64 s[0:1], s[6:7], v[2:3]
	v_add_co_u32_e64 v4, s[2:3], s8, v4
	v_addc_co_u32_e64 v1, s[2:3], v1, v8, s[2:3]
	s_or_b64 s[0:1], vcc, s[0:1]
	v_add_co_u32_e64 v2, s[2:3], s9, v2
	s_and_b64 s[0:1], exec, s[0:1]
	v_addc_co_u32_e64 v3, s[2:3], v3, v9, s[2:3]
	s_or_b64 s[4:5], s[0:1], s[4:5]
	s_waitcnt vmcnt(0)
	v_lshlrev_b32_e32 v14, 16, v10
	v_and_b32_e32 v15, 0xffff0000, v10
	v_alignbit_b32 v10, v11, v10, 16
	v_and_b32_e32 v11, 0xffff0000, v11
	v_mul_f32_e32 v14, s24, v14
	v_mul_f32_e32 v15, s24, v15
	v_and_b32_e32 v10, 0xffff0000, v10
	v_mul_f32_e32 v11, s24, v11
	v_bfe_u32 v16, v14, 16, 1
	v_bfe_u32 v17, v15, 16, 1
	v_mul_f32_e32 v10, s24, v10
	v_bfe_u32 v18, v11, 16, 1
	v_add3_u32 v16, v14, v16, s11
	v_add3_u32 v17, v15, v17, s11
	v_bfe_u32 v19, v10, 16, 1
	v_add3_u32 v18, v11, v18, s11
	v_lshrrev_b32_e32 v16, 16, v16
	v_and_b32_e32 v17, 0xffff0000, v17
	v_add3_u32 v19, v10, v19, s11
	v_cmp_o_f32_e32 vcc, v15, v15
	v_cmp_o_f32_e64 s[0:1], v14, v14
	v_and_b32_e32 v18, 0xffff0000, v18
	v_cmp_o_f32_e64 s[2:3], v11, v11
	v_lshrrev_b32_e32 v11, 16, v19
	v_cndmask_b32_e32 v15, v6, v17, vcc
	v_cndmask_b32_e64 v16, v7, v16, s[0:1]
	v_cmp_o_f32_e32 vcc, v10, v10
	v_cndmask_b32_e64 v14, v6, v18, s[2:3]
	v_cndmask_b32_e32 v10, v7, v11, vcc
	v_or_b32_e32 v15, v16, v15
	v_or3_b32 v11, 0, v10, v14
	v_or3_b32 v10, v15, 0, 0
	global_store_dwordx2 v[12:13], v[10:11], off
	s_andn2_b64 exec, exec, s[4:5]
	s_cbranch_execnz .LBB47_24
.LBB47_25:
	s_endpgm
	.section	.rodata,"a",@progbits
	.p2align	6, 0x0
	.amdhsa_kernel _ZN2at6native12_GLOBAL__N_125multi_tensor_apply_kernelINS1_18TensorListMetadataILi2EEENS1_21BinaryOpScalarFunctorIN3c108BFloat16ELi2ELi1ELi1EEEJSt10multipliesIfEfEEEvT_T0_DpT1_
		.amdhsa_group_segment_fixed_size 0
		.amdhsa_private_segment_fixed_size 0
		.amdhsa_kernarg_size 3408
		.amdhsa_user_sgpr_count 6
		.amdhsa_user_sgpr_private_segment_buffer 1
		.amdhsa_user_sgpr_dispatch_ptr 0
		.amdhsa_user_sgpr_queue_ptr 0
		.amdhsa_user_sgpr_kernarg_segment_ptr 1
		.amdhsa_user_sgpr_dispatch_id 0
		.amdhsa_user_sgpr_flat_scratch_init 0
		.amdhsa_user_sgpr_kernarg_preload_length 0
		.amdhsa_user_sgpr_kernarg_preload_offset 0
		.amdhsa_user_sgpr_private_segment_size 0
		.amdhsa_uses_dynamic_stack 0
		.amdhsa_system_sgpr_private_segment_wavefront_offset 0
		.amdhsa_system_sgpr_workgroup_id_x 1
		.amdhsa_system_sgpr_workgroup_id_y 0
		.amdhsa_system_sgpr_workgroup_id_z 0
		.amdhsa_system_sgpr_workgroup_info 0
		.amdhsa_system_vgpr_workitem_id 0
		.amdhsa_next_free_vgpr 31
		.amdhsa_next_free_sgpr 29
		.amdhsa_accum_offset 32
		.amdhsa_reserve_vcc 1
		.amdhsa_reserve_flat_scratch 0
		.amdhsa_float_round_mode_32 0
		.amdhsa_float_round_mode_16_64 0
		.amdhsa_float_denorm_mode_32 3
		.amdhsa_float_denorm_mode_16_64 3
		.amdhsa_dx10_clamp 1
		.amdhsa_ieee_mode 1
		.amdhsa_fp16_overflow 0
		.amdhsa_tg_split 0
		.amdhsa_exception_fp_ieee_invalid_op 0
		.amdhsa_exception_fp_denorm_src 0
		.amdhsa_exception_fp_ieee_div_zero 0
		.amdhsa_exception_fp_ieee_overflow 0
		.amdhsa_exception_fp_ieee_underflow 0
		.amdhsa_exception_fp_ieee_inexact 0
		.amdhsa_exception_int_div_zero 0
	.end_amdhsa_kernel
	.section	.text._ZN2at6native12_GLOBAL__N_125multi_tensor_apply_kernelINS1_18TensorListMetadataILi2EEENS1_21BinaryOpScalarFunctorIN3c108BFloat16ELi2ELi1ELi1EEEJSt10multipliesIfEfEEEvT_T0_DpT1_,"axG",@progbits,_ZN2at6native12_GLOBAL__N_125multi_tensor_apply_kernelINS1_18TensorListMetadataILi2EEENS1_21BinaryOpScalarFunctorIN3c108BFloat16ELi2ELi1ELi1EEEJSt10multipliesIfEfEEEvT_T0_DpT1_,comdat
.Lfunc_end47:
	.size	_ZN2at6native12_GLOBAL__N_125multi_tensor_apply_kernelINS1_18TensorListMetadataILi2EEENS1_21BinaryOpScalarFunctorIN3c108BFloat16ELi2ELi1ELi1EEEJSt10multipliesIfEfEEEvT_T0_DpT1_, .Lfunc_end47-_ZN2at6native12_GLOBAL__N_125multi_tensor_apply_kernelINS1_18TensorListMetadataILi2EEENS1_21BinaryOpScalarFunctorIN3c108BFloat16ELi2ELi1ELi1EEEJSt10multipliesIfEfEEEvT_T0_DpT1_
                                        ; -- End function
	.section	.AMDGPU.csdata,"",@progbits
; Kernel info:
; codeLenInByte = 1600
; NumSgprs: 33
; NumVgprs: 31
; NumAgprs: 0
; TotalNumVgprs: 31
; ScratchSize: 0
; MemoryBound: 0
; FloatMode: 240
; IeeeMode: 1
; LDSByteSize: 0 bytes/workgroup (compile time only)
; SGPRBlocks: 4
; VGPRBlocks: 3
; NumSGPRsForWavesPerEU: 33
; NumVGPRsForWavesPerEU: 31
; AccumOffset: 32
; Occupancy: 8
; WaveLimiterHint : 0
; COMPUTE_PGM_RSRC2:SCRATCH_EN: 0
; COMPUTE_PGM_RSRC2:USER_SGPR: 6
; COMPUTE_PGM_RSRC2:TRAP_HANDLER: 0
; COMPUTE_PGM_RSRC2:TGID_X_EN: 1
; COMPUTE_PGM_RSRC2:TGID_Y_EN: 0
; COMPUTE_PGM_RSRC2:TGID_Z_EN: 0
; COMPUTE_PGM_RSRC2:TIDIG_COMP_CNT: 0
; COMPUTE_PGM_RSRC3_GFX90A:ACCUM_OFFSET: 7
; COMPUTE_PGM_RSRC3_GFX90A:TG_SPLIT: 0
	.section	.text._ZN2at6native12_GLOBAL__N_125multi_tensor_apply_kernelINS1_18TensorListMetadataILi1EEENS1_21BinaryOpScalarFunctorIhLi1ELi1ELi0EEEJNS1_13power_functorIhEEhEEEvT_T0_DpT1_,"axG",@progbits,_ZN2at6native12_GLOBAL__N_125multi_tensor_apply_kernelINS1_18TensorListMetadataILi1EEENS1_21BinaryOpScalarFunctorIhLi1ELi1ELi0EEEJNS1_13power_functorIhEEhEEEvT_T0_DpT1_,comdat
	.globl	_ZN2at6native12_GLOBAL__N_125multi_tensor_apply_kernelINS1_18TensorListMetadataILi1EEENS1_21BinaryOpScalarFunctorIhLi1ELi1ELi0EEEJNS1_13power_functorIhEEhEEEvT_T0_DpT1_ ; -- Begin function _ZN2at6native12_GLOBAL__N_125multi_tensor_apply_kernelINS1_18TensorListMetadataILi1EEENS1_21BinaryOpScalarFunctorIhLi1ELi1ELi0EEEJNS1_13power_functorIhEEhEEEvT_T0_DpT1_
	.p2align	8
	.type	_ZN2at6native12_GLOBAL__N_125multi_tensor_apply_kernelINS1_18TensorListMetadataILi1EEENS1_21BinaryOpScalarFunctorIhLi1ELi1ELi0EEEJNS1_13power_functorIhEEhEEEvT_T0_DpT1_,@function
_ZN2at6native12_GLOBAL__N_125multi_tensor_apply_kernelINS1_18TensorListMetadataILi1EEENS1_21BinaryOpScalarFunctorIhLi1ELi1ELi0EEEJNS1_13power_functorIhEEhEEEvT_T0_DpT1_: ; @_ZN2at6native12_GLOBAL__N_125multi_tensor_apply_kernelINS1_18TensorListMetadataILi1EEENS1_21BinaryOpScalarFunctorIhLi1ELi1ELi0EEEJNS1_13power_functorIhEEhEEEvT_T0_DpT1_
; %bb.0:
	v_mov_b32_e32 v1, s6
	global_load_ubyte v1, v1, s[4:5] offset:1760
	s_load_dword s0, s[4:5], 0xd28
	s_mul_i32 s2, s6, 3
	s_mul_hi_u32 s1, s6, 3
	s_waitcnt lgkmcnt(0)
	s_lshr_b32 s20, s0, 16
	s_add_u32 s0, s4, s6
	s_addc_u32 s3, s5, 0
	s_add_u32 s0, s0, s2
	s_addc_u32 s1, s3, s1
	s_load_dword s0, s[0:1], 0x820
	s_waitcnt vmcnt(0)
	v_readfirstlane_b32 s1, v1
	s_lshl_b32 s1, s1, 3
	s_load_dwordx2 s[2:3], s[4:5], s1 offset:0x0
	s_load_dwordx2 s[6:7], s[4:5], s1 offset:0x370
	s_waitcnt lgkmcnt(0)
	s_ashr_i32 s1, s0, 31
	s_lshl_b64 s[0:1], s[0:1], 16
	s_add_u32 s21, s2, s0
	s_addc_u32 s22, s3, s1
	s_sub_u32 s12, s6, s0
	s_subb_u32 s13, s7, s1
	s_or_b32 s0, s6, s21
	s_and_b32 s0, s0, 3
	s_cmp_eq_u32 s0, 0
	s_cbranch_scc1 .LBB48_32
; %bb.1:
	v_cmp_lt_i64_e64 s[0:1], s[12:13], 1
	s_and_b64 vcc, exec, s[0:1]
	s_cbranch_vccnz .LBB48_31
; %bb.2:
	s_load_dword s0, s[4:5], 0xd3c
	v_mov_b32_e32 v2, 0x10000
	v_mov_b32_e32 v3, 0
	v_cmp_lt_u64_e32 vcc, s[12:13], v[2:3]
	v_mov_b32_e32 v4, 0
	s_waitcnt lgkmcnt(0)
	s_and_b32 s23, s0, 0xffff
	s_and_b64 s[0:1], vcc, exec
	v_cmp_ne_u16_sdwa s[0:1], s20, v4 src0_sel:BYTE_0 src1_sel:DWORD
	s_mov_b32 s2, 0
	v_cndmask_b32_e64 v2, 0, 1, s[0:1]
	v_mov_b32_e32 v4, 0xffff
	s_cselect_b32 s15, s13, 0
	s_cselect_b32 s14, s12, 0x10000
	s_lshl_b32 s24, s23, 1
	s_mul_i32 s25, s23, 3
	s_lshl_b32 s26, s23, 2
	s_mov_b64 s[16:17], 0
	v_mov_b32_e32 v1, s2
	v_mov_b32_e32 v14, s2
	;; [unrolled: 1-line block ×3, first 2 shown]
	v_cmp_ne_u32_e64 s[0:1], 1, v2
	v_pk_mov_b32 v[2:3], s[12:13], s[12:13] op_sel:[0,1]
	v_mov_b32_e32 v5, 0
	v_mov_b32_e32 v16, 1
	s_branch .LBB48_4
.LBB48_3:                               ;   in Loop: Header=BB48_4 Depth=1
	s_or_b64 exec, exec, s[2:3]
	s_add_u32 s16, s16, s26
	s_addc_u32 s17, s17, 0
	v_cmp_ge_i64_e32 vcc, s[16:17], v[2:3]
	v_cmp_gt_u64_e64 s[2:3], s[16:17], v[4:5]
	s_or_b64 s[2:3], vcc, s[2:3]
	s_and_b64 vcc, exec, s[2:3]
	s_cbranch_vccnz .LBB48_31
.LBB48_4:                               ; =>This Loop Header: Depth=1
                                        ;     Child Loop BB48_14 Depth 2
                                        ;     Child Loop BB48_17 Depth 2
	;; [unrolled: 1-line block ×4, first 2 shown]
	v_mov_b32_e32 v7, s17
	v_add_co_u32_e32 v6, vcc, s16, v0
	v_addc_co_u32_e32 v7, vcc, 0, v7, vcc
	v_cmp_gt_u64_e64 s[2:3], s[14:15], v[6:7]
	v_mov_b32_e32 v21, 0
	s_and_saveexec_b64 s[6:7], s[2:3]
	s_cbranch_execz .LBB48_6
; %bb.5:                                ;   in Loop: Header=BB48_4 Depth=1
	v_mov_b32_e32 v9, s22
	v_add_co_u32_e32 v8, vcc, s21, v6
	v_addc_co_u32_e32 v9, vcc, v9, v7, vcc
	global_load_ubyte v21, v[8:9], off
.LBB48_6:                               ;   in Loop: Header=BB48_4 Depth=1
	s_or_b64 exec, exec, s[6:7]
	v_add_co_u32_e32 v8, vcc, s23, v6
	v_addc_co_u32_e32 v9, vcc, v7, v1, vcc
	v_cmp_gt_u64_e64 s[6:7], s[14:15], v[8:9]
	v_mov_b32_e32 v20, 0
	s_and_saveexec_b64 s[8:9], s[6:7]
	s_cbranch_execz .LBB48_8
; %bb.7:                                ;   in Loop: Header=BB48_4 Depth=1
	v_mov_b32_e32 v11, s22
	v_add_co_u32_e32 v10, vcc, s21, v8
	v_addc_co_u32_e32 v11, vcc, v11, v9, vcc
	global_load_ubyte v20, v[10:11], off
.LBB48_8:                               ;   in Loop: Header=BB48_4 Depth=1
	s_or_b64 exec, exec, s[8:9]
	v_add_co_u32_e32 v10, vcc, s24, v6
	v_addc_co_u32_e32 v11, vcc, v7, v14, vcc
	v_cmp_gt_u64_e64 s[8:9], s[14:15], v[10:11]
	v_mov_b32_e32 v17, 0
	v_mov_b32_e32 v19, 0
	s_and_saveexec_b64 s[10:11], s[8:9]
	s_cbranch_execz .LBB48_10
; %bb.9:                                ;   in Loop: Header=BB48_4 Depth=1
	v_mov_b32_e32 v13, s22
	v_add_co_u32_e32 v12, vcc, s21, v10
	v_addc_co_u32_e32 v13, vcc, v13, v11, vcc
	global_load_ubyte v19, v[12:13], off
.LBB48_10:                              ;   in Loop: Header=BB48_4 Depth=1
	s_or_b64 exec, exec, s[10:11]
	v_add_co_u32_e32 v12, vcc, s25, v6
	v_addc_co_u32_e32 v13, vcc, v7, v15, vcc
	v_cmp_gt_u64_e64 s[10:11], s[14:15], v[12:13]
	s_and_saveexec_b64 s[18:19], s[10:11]
	s_cbranch_execz .LBB48_12
; %bb.11:                               ;   in Loop: Header=BB48_4 Depth=1
	v_mov_b32_e32 v17, s22
	v_add_co_u32_e32 v22, vcc, s21, v12
	v_addc_co_u32_e32 v23, vcc, v17, v13, vcc
	global_load_ubyte v17, v[22:23], off
.LBB48_12:                              ;   in Loop: Header=BB48_4 Depth=1
	s_or_b64 exec, exec, s[18:19]
	v_mov_b32_e32 v18, 1
	s_and_b64 vcc, exec, s[0:1]
	s_cbranch_vccnz .LBB48_15
; %bb.13:                               ;   in Loop: Header=BB48_4 Depth=1
	s_mov_b32 s18, s20
.LBB48_14:                              ;   Parent Loop BB48_4 Depth=1
                                        ; =>  This Inner Loop Header: Depth=2
	s_bitcmp1_b32 s18, 0
	s_cselect_b64 vcc, -1, 0
	s_waitcnt vmcnt(0)
	v_cndmask_b32_e32 v22, 1, v21, vcc
	s_bfe_u32 s27, s18, 0x70001
	v_cmp_gt_u16_sdwa s[18:19], s18, v16 src0_sel:BYTE_0 src1_sel:DWORD
	v_mul_lo_u16_e32 v18, v22, v18
	v_mul_lo_u16_e32 v21, v21, v21
	s_and_b64 vcc, exec, s[18:19]
	s_mov_b32 s18, s27
	s_cbranch_vccnz .LBB48_14
.LBB48_15:                              ;   in Loop: Header=BB48_4 Depth=1
	s_and_b64 vcc, exec, s[0:1]
	v_mov_b32_e32 v22, 1
	s_waitcnt vmcnt(0)
	v_mov_b32_e32 v21, 1
	s_cbranch_vccnz .LBB48_20
; %bb.16:                               ;   in Loop: Header=BB48_4 Depth=1
	v_mov_b32_e32 v21, 1
	s_mov_b32 s18, s20
.LBB48_17:                              ;   Parent Loop BB48_4 Depth=1
                                        ; =>  This Inner Loop Header: Depth=2
	s_bitcmp1_b32 s18, 0
	s_cselect_b64 vcc, -1, 0
	v_cndmask_b32_e32 v22, 1, v20, vcc
	s_bfe_u32 s27, s18, 0x70001
	v_cmp_gt_u16_sdwa s[18:19], s18, v16 src0_sel:BYTE_0 src1_sel:DWORD
	v_mul_lo_u16_e32 v21, v22, v21
	v_mul_lo_u16_e32 v20, v20, v20
	s_and_b64 vcc, exec, s[18:19]
	s_mov_b32 s18, s27
	s_cbranch_vccnz .LBB48_17
; %bb.18:                               ;   in Loop: Header=BB48_4 Depth=1
	v_mov_b32_e32 v22, 1
	s_mov_b32 s18, s20
.LBB48_19:                              ;   Parent Loop BB48_4 Depth=1
                                        ; =>  This Inner Loop Header: Depth=2
	s_bitcmp1_b32 s18, 0
	s_cselect_b64 vcc, -1, 0
	v_cndmask_b32_e32 v20, 1, v19, vcc
	s_bfe_u32 s27, s18, 0x70001
	v_cmp_gt_u16_sdwa s[18:19], s18, v16 src0_sel:BYTE_0 src1_sel:DWORD
	v_mul_lo_u16_e32 v22, v20, v22
	v_mul_lo_u16_e32 v19, v19, v19
	s_and_b64 vcc, exec, s[18:19]
	s_mov_b32 s18, s27
	s_cbranch_vccnz .LBB48_19
.LBB48_20:                              ;   in Loop: Header=BB48_4 Depth=1
	v_mov_b32_e32 v19, 1
	s_and_b64 vcc, exec, s[0:1]
	s_cbranch_vccnz .LBB48_23
; %bb.21:                               ;   in Loop: Header=BB48_4 Depth=1
	s_mov_b32 s18, s20
.LBB48_22:                              ;   Parent Loop BB48_4 Depth=1
                                        ; =>  This Inner Loop Header: Depth=2
	s_bitcmp1_b32 s18, 0
	s_cselect_b64 vcc, -1, 0
	v_cndmask_b32_e32 v20, 1, v17, vcc
	s_bfe_u32 s27, s18, 0x70001
	v_cmp_gt_u16_sdwa s[18:19], s18, v16 src0_sel:BYTE_0 src1_sel:DWORD
	v_mul_lo_u16_e32 v19, v20, v19
	v_mul_lo_u16_e32 v17, v17, v17
	s_and_b64 vcc, exec, s[18:19]
	s_mov_b32 s18, s27
	s_cbranch_vccnz .LBB48_22
.LBB48_23:                              ;   in Loop: Header=BB48_4 Depth=1
	s_and_saveexec_b64 s[18:19], s[2:3]
	s_xor_b64 s[2:3], exec, s[18:19]
	s_cbranch_execnz .LBB48_27
; %bb.24:                               ;   in Loop: Header=BB48_4 Depth=1
	s_or_b64 exec, exec, s[2:3]
	s_and_saveexec_b64 s[2:3], s[6:7]
	s_cbranch_execnz .LBB48_28
.LBB48_25:                              ;   in Loop: Header=BB48_4 Depth=1
	s_or_b64 exec, exec, s[2:3]
	s_and_saveexec_b64 s[2:3], s[8:9]
	s_cbranch_execnz .LBB48_29
.LBB48_26:                              ;   in Loop: Header=BB48_4 Depth=1
	s_or_b64 exec, exec, s[2:3]
	s_and_saveexec_b64 s[2:3], s[10:11]
	s_cbranch_execz .LBB48_3
	s_branch .LBB48_30
.LBB48_27:                              ;   in Loop: Header=BB48_4 Depth=1
	v_mov_b32_e32 v17, s22
	v_add_co_u32_e32 v6, vcc, s21, v6
	v_addc_co_u32_e32 v7, vcc, v17, v7, vcc
	global_store_byte v[6:7], v18, off
	s_or_b64 exec, exec, s[2:3]
	s_and_saveexec_b64 s[2:3], s[6:7]
	s_cbranch_execz .LBB48_25
.LBB48_28:                              ;   in Loop: Header=BB48_4 Depth=1
	v_mov_b32_e32 v7, s22
	v_add_co_u32_e32 v6, vcc, s21, v8
	v_addc_co_u32_e32 v7, vcc, v7, v9, vcc
	global_store_byte v[6:7], v21, off
	s_or_b64 exec, exec, s[2:3]
	s_and_saveexec_b64 s[2:3], s[8:9]
	s_cbranch_execz .LBB48_26
.LBB48_29:                              ;   in Loop: Header=BB48_4 Depth=1
	v_mov_b32_e32 v7, s22
	v_add_co_u32_e32 v6, vcc, s21, v10
	v_addc_co_u32_e32 v7, vcc, v7, v11, vcc
	global_store_byte v[6:7], v22, off
	s_or_b64 exec, exec, s[2:3]
	s_and_saveexec_b64 s[2:3], s[10:11]
	s_cbranch_execz .LBB48_3
.LBB48_30:                              ;   in Loop: Header=BB48_4 Depth=1
	v_mov_b32_e32 v7, s22
	v_add_co_u32_e32 v6, vcc, s21, v12
	v_addc_co_u32_e32 v7, vcc, v7, v13, vcc
	global_store_byte v[6:7], v19, off
	s_branch .LBB48_3
.LBB48_31:
	s_cbranch_execz .LBB48_33
	s_branch .LBB48_46
.LBB48_32:
.LBB48_33:
	v_mov_b32_e32 v3, 0
	v_lshlrev_b32_e32 v2, 2, v0
	s_mov_b32 s2, 0
	v_cmp_gt_i64_e32 vcc, s[12:13], v[2:3]
	s_and_saveexec_b64 s[0:1], vcc
	s_cbranch_execz .LBB48_46
; %bb.34:
	s_load_dword s0, s[4:5], 0xd3c
	v_mov_b32_e32 v1, v3
	s_mov_b64 s[4:5], 0
	v_mov_b32_e32 v4, s22
	v_mov_b32_e32 v5, s2
	s_waitcnt lgkmcnt(0)
	s_and_b32 s8, s0, 0xffff
	v_cmp_ne_u16_sdwa s[0:1], s20, v3 src0_sel:BYTE_0 src1_sel:DWORD
	v_cndmask_b32_e64 v2, 0, 1, s[0:1]
	v_cmp_ne_u32_e64 s[0:1], 1, v2
	s_mov_b64 s[6:7], 0xffff
	v_mov_b32_e32 v6, 1
	v_mov_b32_e32 v7, 8
	s_branch .LBB48_36
.LBB48_35:                              ;   in Loop: Header=BB48_36 Depth=1
	s_waitcnt vmcnt(0)
	v_and_b32_e32 v10, 0xff, v11
	v_lshlrev_b32_e32 v10, 16, v10
	v_add_co_u32_e32 v0, vcc, s8, v0
	v_lshl_or_b32 v10, v12, 24, v10
	v_lshlrev_b32_sdwa v9, v7, v9 dst_sel:DWORD dst_unused:UNUSED_PAD src0_sel:DWORD src1_sel:BYTE_0
	v_and_b32_e32 v8, 0xff, v8
	v_addc_co_u32_e32 v1, vcc, v1, v5, vcc
	v_or3_b32 v10, v10, v9, v8
	v_lshlrev_b64 v[8:9], 2, v[0:1]
	v_cmp_le_i64_e32 vcc, s[12:13], v[8:9]
	v_cmp_lt_u64_e64 s[2:3], s[6:7], v[8:9]
	s_or_b64 s[2:3], vcc, s[2:3]
	s_and_b64 s[2:3], exec, s[2:3]
	s_or_b64 s[4:5], s[2:3], s[4:5]
	global_store_dword v[2:3], v10, off
	s_andn2_b64 exec, exec, s[4:5]
	s_cbranch_execz .LBB48_46
.LBB48_36:                              ; =>This Loop Header: Depth=1
                                        ;     Child Loop BB48_38 Depth 2
                                        ;     Child Loop BB48_40 Depth 2
	;; [unrolled: 1-line block ×4, first 2 shown]
	v_lshlrev_b64 v[2:3], 2, v[0:1]
	v_add_co_u32_e32 v2, vcc, s21, v2
	v_addc_co_u32_e32 v3, vcc, v4, v3, vcc
	global_load_dword v10, v[2:3], off
	s_and_b64 vcc, exec, s[0:1]
	v_mov_b32_e32 v9, 1
	v_mov_b32_e32 v8, 1
	s_cbranch_vccnz .LBB48_41
; %bb.37:                               ;   in Loop: Header=BB48_36 Depth=1
	v_mov_b32_e32 v8, 1
	s_mov_b32 s2, s20
	s_waitcnt vmcnt(0)
	v_mov_b32_e32 v9, v10
.LBB48_38:                              ;   Parent Loop BB48_36 Depth=1
                                        ; =>  This Inner Loop Header: Depth=2
	s_bitcmp1_b32 s2, 0
	s_cselect_b64 vcc, -1, 0
	v_cndmask_b32_e32 v11, 1, v9, vcc
	s_bfe_u32 s9, s2, 0x70001
	v_cmp_gt_u16_sdwa s[2:3], s2, v6 src0_sel:BYTE_0 src1_sel:DWORD
	v_mul_lo_u16_e32 v8, v11, v8
	v_mul_lo_u16_e32 v9, v9, v9
	s_and_b64 vcc, exec, s[2:3]
	s_mov_b32 s2, s9
	s_cbranch_vccnz .LBB48_38
; %bb.39:                               ;   in Loop: Header=BB48_36 Depth=1
	v_lshrrev_b32_e32 v11, 8, v10
	v_mov_b32_e32 v9, 1
	s_mov_b32 s2, s20
.LBB48_40:                              ;   Parent Loop BB48_36 Depth=1
                                        ; =>  This Inner Loop Header: Depth=2
	s_bitcmp1_b32 s2, 0
	s_cselect_b64 vcc, -1, 0
	v_cndmask_b32_e32 v12, 1, v11, vcc
	s_bfe_u32 s9, s2, 0x70001
	v_cmp_gt_u16_sdwa s[2:3], s2, v6 src0_sel:BYTE_0 src1_sel:DWORD
	v_mul_lo_u16_e32 v9, v12, v9
	v_mul_lo_u16_e32 v11, v11, v11
	s_and_b64 vcc, exec, s[2:3]
	s_mov_b32 s2, s9
	s_cbranch_vccnz .LBB48_40
.LBB48_41:                              ;   in Loop: Header=BB48_36 Depth=1
	s_and_b64 vcc, exec, s[0:1]
	v_mov_b32_e32 v12, 1
	v_mov_b32_e32 v11, 1
	s_cbranch_vccnz .LBB48_35
; %bb.42:                               ;   in Loop: Header=BB48_36 Depth=1
	s_waitcnt vmcnt(0)
	v_lshrrev_b32_e32 v12, 16, v10
	v_mov_b32_e32 v11, 1
	s_mov_b32 s2, s20
.LBB48_43:                              ;   Parent Loop BB48_36 Depth=1
                                        ; =>  This Inner Loop Header: Depth=2
	s_bitcmp1_b32 s2, 0
	s_cselect_b64 vcc, -1, 0
	v_cndmask_b32_e32 v13, 1, v12, vcc
	s_bfe_u32 s9, s2, 0x70001
	v_cmp_gt_u16_sdwa s[2:3], s2, v6 src0_sel:BYTE_0 src1_sel:DWORD
	v_mul_lo_u16_e32 v11, v13, v11
	v_mul_lo_u16_e32 v12, v12, v12
	s_and_b64 vcc, exec, s[2:3]
	s_mov_b32 s2, s9
	s_cbranch_vccnz .LBB48_43
; %bb.44:                               ;   in Loop: Header=BB48_36 Depth=1
	v_lshrrev_b32_e32 v10, 24, v10
	v_mov_b32_e32 v12, 1
	s_mov_b32 s2, s20
.LBB48_45:                              ;   Parent Loop BB48_36 Depth=1
                                        ; =>  This Inner Loop Header: Depth=2
	s_bitcmp1_b32 s2, 0
	s_cselect_b64 vcc, -1, 0
	v_cndmask_b32_e32 v13, 1, v10, vcc
	s_bfe_u32 s9, s2, 0x70001
	v_cmp_gt_u16_sdwa s[2:3], s2, v6 src0_sel:BYTE_0 src1_sel:DWORD
	v_mul_lo_u16_e32 v12, v13, v12
	v_mul_lo_u16_e32 v10, v10, v10
	s_and_b64 vcc, exec, s[2:3]
	s_mov_b32 s2, s9
	s_cbranch_vccnz .LBB48_45
	s_branch .LBB48_35
.LBB48_46:
	s_endpgm
	.section	.rodata,"a",@progbits
	.p2align	6, 0x0
	.amdhsa_kernel _ZN2at6native12_GLOBAL__N_125multi_tensor_apply_kernelINS1_18TensorListMetadataILi1EEENS1_21BinaryOpScalarFunctorIhLi1ELi1ELi0EEEJNS1_13power_functorIhEEhEEEvT_T0_DpT1_
		.amdhsa_group_segment_fixed_size 0
		.amdhsa_private_segment_fixed_size 0
		.amdhsa_kernarg_size 3632
		.amdhsa_user_sgpr_count 6
		.amdhsa_user_sgpr_private_segment_buffer 1
		.amdhsa_user_sgpr_dispatch_ptr 0
		.amdhsa_user_sgpr_queue_ptr 0
		.amdhsa_user_sgpr_kernarg_segment_ptr 1
		.amdhsa_user_sgpr_dispatch_id 0
		.amdhsa_user_sgpr_flat_scratch_init 0
		.amdhsa_user_sgpr_kernarg_preload_length 0
		.amdhsa_user_sgpr_kernarg_preload_offset 0
		.amdhsa_user_sgpr_private_segment_size 0
		.amdhsa_uses_dynamic_stack 0
		.amdhsa_system_sgpr_private_segment_wavefront_offset 0
		.amdhsa_system_sgpr_workgroup_id_x 1
		.amdhsa_system_sgpr_workgroup_id_y 0
		.amdhsa_system_sgpr_workgroup_id_z 0
		.amdhsa_system_sgpr_workgroup_info 0
		.amdhsa_system_vgpr_workitem_id 0
		.amdhsa_next_free_vgpr 24
		.amdhsa_next_free_sgpr 28
		.amdhsa_accum_offset 24
		.amdhsa_reserve_vcc 1
		.amdhsa_reserve_flat_scratch 0
		.amdhsa_float_round_mode_32 0
		.amdhsa_float_round_mode_16_64 0
		.amdhsa_float_denorm_mode_32 3
		.amdhsa_float_denorm_mode_16_64 3
		.amdhsa_dx10_clamp 1
		.amdhsa_ieee_mode 1
		.amdhsa_fp16_overflow 0
		.amdhsa_tg_split 0
		.amdhsa_exception_fp_ieee_invalid_op 0
		.amdhsa_exception_fp_denorm_src 0
		.amdhsa_exception_fp_ieee_div_zero 0
		.amdhsa_exception_fp_ieee_overflow 0
		.amdhsa_exception_fp_ieee_underflow 0
		.amdhsa_exception_fp_ieee_inexact 0
		.amdhsa_exception_int_div_zero 0
	.end_amdhsa_kernel
	.section	.text._ZN2at6native12_GLOBAL__N_125multi_tensor_apply_kernelINS1_18TensorListMetadataILi1EEENS1_21BinaryOpScalarFunctorIhLi1ELi1ELi0EEEJNS1_13power_functorIhEEhEEEvT_T0_DpT1_,"axG",@progbits,_ZN2at6native12_GLOBAL__N_125multi_tensor_apply_kernelINS1_18TensorListMetadataILi1EEENS1_21BinaryOpScalarFunctorIhLi1ELi1ELi0EEEJNS1_13power_functorIhEEhEEEvT_T0_DpT1_,comdat
.Lfunc_end48:
	.size	_ZN2at6native12_GLOBAL__N_125multi_tensor_apply_kernelINS1_18TensorListMetadataILi1EEENS1_21BinaryOpScalarFunctorIhLi1ELi1ELi0EEEJNS1_13power_functorIhEEhEEEvT_T0_DpT1_, .Lfunc_end48-_ZN2at6native12_GLOBAL__N_125multi_tensor_apply_kernelINS1_18TensorListMetadataILi1EEENS1_21BinaryOpScalarFunctorIhLi1ELi1ELi0EEEJNS1_13power_functorIhEEhEEEvT_T0_DpT1_
                                        ; -- End function
	.section	.AMDGPU.csdata,"",@progbits
; Kernel info:
; codeLenInByte = 1500
; NumSgprs: 32
; NumVgprs: 24
; NumAgprs: 0
; TotalNumVgprs: 24
; ScratchSize: 0
; MemoryBound: 0
; FloatMode: 240
; IeeeMode: 1
; LDSByteSize: 0 bytes/workgroup (compile time only)
; SGPRBlocks: 3
; VGPRBlocks: 2
; NumSGPRsForWavesPerEU: 32
; NumVGPRsForWavesPerEU: 24
; AccumOffset: 24
; Occupancy: 8
; WaveLimiterHint : 0
; COMPUTE_PGM_RSRC2:SCRATCH_EN: 0
; COMPUTE_PGM_RSRC2:USER_SGPR: 6
; COMPUTE_PGM_RSRC2:TRAP_HANDLER: 0
; COMPUTE_PGM_RSRC2:TGID_X_EN: 1
; COMPUTE_PGM_RSRC2:TGID_Y_EN: 0
; COMPUTE_PGM_RSRC2:TGID_Z_EN: 0
; COMPUTE_PGM_RSRC2:TIDIG_COMP_CNT: 0
; COMPUTE_PGM_RSRC3_GFX90A:ACCUM_OFFSET: 5
; COMPUTE_PGM_RSRC3_GFX90A:TG_SPLIT: 0
	.section	.text._ZN2at6native12_GLOBAL__N_125multi_tensor_apply_kernelINS1_18TensorListMetadataILi1EEENS1_21BinaryOpScalarFunctorIaLi1ELi1ELi0EEEJNS1_13power_functorIaEEaEEEvT_T0_DpT1_,"axG",@progbits,_ZN2at6native12_GLOBAL__N_125multi_tensor_apply_kernelINS1_18TensorListMetadataILi1EEENS1_21BinaryOpScalarFunctorIaLi1ELi1ELi0EEEJNS1_13power_functorIaEEaEEEvT_T0_DpT1_,comdat
	.globl	_ZN2at6native12_GLOBAL__N_125multi_tensor_apply_kernelINS1_18TensorListMetadataILi1EEENS1_21BinaryOpScalarFunctorIaLi1ELi1ELi0EEEJNS1_13power_functorIaEEaEEEvT_T0_DpT1_ ; -- Begin function _ZN2at6native12_GLOBAL__N_125multi_tensor_apply_kernelINS1_18TensorListMetadataILi1EEENS1_21BinaryOpScalarFunctorIaLi1ELi1ELi0EEEJNS1_13power_functorIaEEaEEEvT_T0_DpT1_
	.p2align	8
	.type	_ZN2at6native12_GLOBAL__N_125multi_tensor_apply_kernelINS1_18TensorListMetadataILi1EEENS1_21BinaryOpScalarFunctorIaLi1ELi1ELi0EEEJNS1_13power_functorIaEEaEEEvT_T0_DpT1_,@function
_ZN2at6native12_GLOBAL__N_125multi_tensor_apply_kernelINS1_18TensorListMetadataILi1EEENS1_21BinaryOpScalarFunctorIaLi1ELi1ELi0EEEJNS1_13power_functorIaEEaEEEvT_T0_DpT1_: ; @_ZN2at6native12_GLOBAL__N_125multi_tensor_apply_kernelINS1_18TensorListMetadataILi1EEENS1_21BinaryOpScalarFunctorIaLi1ELi1ELi0EEEJNS1_13power_functorIaEEaEEEvT_T0_DpT1_
; %bb.0:
	v_mov_b32_e32 v1, s6
	global_load_ubyte v1, v1, s[4:5] offset:1760
	s_load_dword s0, s[4:5], 0xd28
	s_mul_i32 s2, s6, 3
	s_mul_hi_u32 s1, s6, 3
	s_waitcnt lgkmcnt(0)
	s_lshr_b32 s26, s0, 16
	s_add_u32 s0, s4, s6
	s_addc_u32 s3, s5, 0
	s_add_u32 s0, s0, s2
	s_addc_u32 s1, s3, s1
	s_load_dword s0, s[0:1], 0x820
	s_waitcnt vmcnt(0)
	v_readfirstlane_b32 s1, v1
	s_lshl_b32 s1, s1, 3
	s_load_dwordx2 s[2:3], s[4:5], s1 offset:0x0
	s_load_dwordx2 s[6:7], s[4:5], s1 offset:0x370
	s_waitcnt lgkmcnt(0)
	s_ashr_i32 s1, s0, 31
	s_lshl_b64 s[0:1], s[0:1], 16
	s_add_u32 s27, s2, s0
	s_addc_u32 s28, s3, s1
	s_sub_u32 s14, s6, s0
	s_subb_u32 s15, s7, s1
	s_or_b32 s0, s6, s27
	s_and_b32 s0, s0, 3
	s_cmp_eq_u32 s0, 0
	s_cbranch_scc1 .LBB49_77
; %bb.1:
	v_cmp_lt_i64_e64 s[0:1], s[14:15], 1
	s_and_b64 vcc, exec, s[0:1]
	s_cbranch_vccnz .LBB49_76
; %bb.2:
	s_load_dword s0, s[4:5], 0xd3c
	v_mov_b32_e32 v2, 0x10000
	v_mov_b32_e32 v3, 0
	v_cmp_lt_u64_e32 vcc, s[14:15], v[2:3]
	v_and_b32_e64 v1, s26, 1
	s_waitcnt lgkmcnt(0)
	s_and_b32 s29, s0, 0xffff
	s_and_b64 s[0:1], vcc, exec
	s_cselect_b32 s17, s15, 0
	s_cselect_b32 s16, s14, 0x10000
	s_lshl_b32 s30, s29, 1
	s_sext_i32_i8 s0, s26
	s_cmp_gt_i32 s0, -1
	v_cmp_eq_u16_e32 vcc, 0, v1
	v_mov_b32_e32 v4, 0
	s_cselect_b64 s[18:19], -1, 0
	s_and_b64 s[0:1], vcc, exec
	v_cmp_ne_u16_sdwa s[0:1], s26, v4 src0_sel:BYTE_0 src1_sel:DWORD
	v_cndmask_b32_e64 v2, 0, 1, s[0:1]
	s_mov_b32 s2, 0
	v_cmp_ne_u32_e64 s[0:1], 1, v2
	v_cndmask_b32_e64 v2, 0, 1, s[18:19]
	s_mul_i32 s31, s29, 3
	s_cselect_b32 s33, 1, 0xff
	s_lshl_b32 s34, s29, 2
	s_mov_b64 s[20:21], 0
	v_mov_b32_e32 v1, s2
	v_mov_b32_e32 v10, s2
	;; [unrolled: 1-line block ×3, first 2 shown]
	s_movk_i32 s35, 0xfe
	v_cmp_ne_u32_e64 s[2:3], 1, v2
	v_mov_b32_e32 v12, 1
	v_mov_b32_e32 v13, 2
	;; [unrolled: 1-line block ×3, first 2 shown]
	s_branch .LBB49_4
.LBB49_3:                               ;   in Loop: Header=BB49_4 Depth=1
	s_or_b64 exec, exec, s[6:7]
	s_add_u32 s20, s20, s34
	s_addc_u32 s21, s21, 0
	v_pk_mov_b32 v[2:3], s[14:15], s[14:15] op_sel:[0,1]
	v_cmp_ge_i64_e32 vcc, s[20:21], v[2:3]
	v_mov_b32_e32 v2, 0xffff
	v_mov_b32_e32 v3, 0
	v_cmp_gt_u64_e64 s[6:7], s[20:21], v[2:3]
	s_or_b64 s[6:7], vcc, s[6:7]
	s_and_b64 vcc, exec, s[6:7]
	s_cbranch_vccnz .LBB49_76
.LBB49_4:                               ; =>This Loop Header: Depth=1
                                        ;     Child Loop BB49_15 Depth 2
                                        ;     Child Loop BB49_20 Depth 2
	;; [unrolled: 1-line block ×4, first 2 shown]
	v_mov_b32_e32 v3, s21
	v_add_co_u32_e32 v2, vcc, s20, v0
	v_addc_co_u32_e32 v3, vcc, 0, v3, vcc
	v_cmp_gt_u64_e64 s[6:7], s[16:17], v[2:3]
	s_waitcnt vmcnt(0)
	v_mov_b32_e32 v18, 0
	s_and_saveexec_b64 s[8:9], s[6:7]
	s_cbranch_execz .LBB49_6
; %bb.5:                                ;   in Loop: Header=BB49_4 Depth=1
	v_mov_b32_e32 v5, s28
	v_add_co_u32_e32 v4, vcc, s27, v2
	v_addc_co_u32_e32 v5, vcc, v5, v3, vcc
	global_load_ubyte v18, v[4:5], off
.LBB49_6:                               ;   in Loop: Header=BB49_4 Depth=1
	s_or_b64 exec, exec, s[8:9]
	v_add_co_u32_e32 v4, vcc, s29, v2
	v_addc_co_u32_e32 v5, vcc, v3, v1, vcc
	v_cmp_gt_u64_e64 s[8:9], s[16:17], v[4:5]
	v_mov_b32_e32 v19, 0
	s_and_saveexec_b64 s[10:11], s[8:9]
	s_cbranch_execz .LBB49_8
; %bb.7:                                ;   in Loop: Header=BB49_4 Depth=1
	v_mov_b32_e32 v7, s28
	v_add_co_u32_e32 v6, vcc, s27, v4
	v_addc_co_u32_e32 v7, vcc, v7, v5, vcc
	global_load_ubyte v19, v[6:7], off
.LBB49_8:                               ;   in Loop: Header=BB49_4 Depth=1
	s_or_b64 exec, exec, s[10:11]
	v_add_co_u32_e32 v6, vcc, s30, v2
	v_addc_co_u32_e32 v7, vcc, v3, v10, vcc
	v_cmp_gt_u64_e64 s[10:11], s[16:17], v[6:7]
	v_mov_b32_e32 v15, 0
	v_mov_b32_e32 v17, 0
	s_and_saveexec_b64 s[12:13], s[10:11]
	s_cbranch_execz .LBB49_10
; %bb.9:                                ;   in Loop: Header=BB49_4 Depth=1
	v_mov_b32_e32 v9, s28
	v_add_co_u32_e32 v8, vcc, s27, v6
	v_addc_co_u32_e32 v9, vcc, v9, v7, vcc
	global_load_ubyte v17, v[8:9], off
.LBB49_10:                              ;   in Loop: Header=BB49_4 Depth=1
	s_or_b64 exec, exec, s[12:13]
	v_add_co_u32_e32 v8, vcc, s31, v2
	v_addc_co_u32_e32 v9, vcc, v3, v11, vcc
	v_cmp_gt_u64_e64 s[12:13], s[16:17], v[8:9]
	s_and_saveexec_b64 s[22:23], s[12:13]
	s_cbranch_execz .LBB49_12
; %bb.11:                               ;   in Loop: Header=BB49_4 Depth=1
	v_mov_b32_e32 v15, s28
	v_add_co_u32_e32 v20, vcc, s27, v8
	v_addc_co_u32_e32 v21, vcc, v15, v9, vcc
	global_load_ubyte v15, v[20:21], off
.LBB49_12:                              ;   in Loop: Header=BB49_4 Depth=1
	s_or_b64 exec, exec, s[22:23]
	s_and_b64 vcc, exec, s[18:19]
	s_cbranch_vccz .LBB49_16
; %bb.13:                               ;   in Loop: Header=BB49_4 Depth=1
	s_and_b64 vcc, exec, s[0:1]
	s_cbranch_vccnz .LBB49_21
; %bb.14:                               ;   in Loop: Header=BB49_4 Depth=1
	v_mov_b32_e32 v21, s26
	v_mov_b32_e32 v16, 1
	s_waitcnt vmcnt(0)
	v_mov_b32_e32 v20, v18
.LBB49_15:                              ;   Parent Loop BB49_4 Depth=1
                                        ; =>  This Inner Loop Header: Depth=2
	v_and_b32_e32 v22, 1, v21
	v_cmp_eq_u32_e32 vcc, 1, v22
	v_cndmask_b32_e32 v22, 1, v20, vcc
	v_mul_lo_u16_e32 v16, v22, v16
	v_lshrrev_b16_e32 v22, 7, v21
	v_and_b32_e32 v22, 1, v22
	v_add_u16_e32 v22, v21, v22
	v_add_u16_e32 v21, 1, v21
	v_ashrrev_i16_sdwa v22, v12, sext(v22) dst_sel:DWORD dst_unused:UNUSED_PAD src0_sel:DWORD src1_sel:BYTE_0
	v_cmp_gt_u16_sdwa s[22:23], v21, v13 src0_sel:BYTE_0 src1_sel:DWORD
	v_mul_lo_u16_e32 v20, v20, v20
	s_and_b64 vcc, exec, s[22:23]
	v_mov_b32_e32 v21, v22
	s_cbranch_vccnz .LBB49_15
	s_branch .LBB49_22
.LBB49_16:                              ;   in Loop: Header=BB49_4 Depth=1
                                        ; implicit-def: $vgpr16
	s_branch .LBB49_23
.LBB49_17:                              ;   in Loop: Header=BB49_4 Depth=1
	s_and_b64 vcc, exec, s[2:3]
	s_cbranch_vccnz .LBB49_30
.LBB49_18:                              ;   in Loop: Header=BB49_4 Depth=1
	s_and_b64 vcc, exec, s[0:1]
	s_cbranch_vccnz .LBB49_35
; %bb.19:                               ;   in Loop: Header=BB49_4 Depth=1
	v_mov_b32_e32 v21, s26
	s_waitcnt vmcnt(0)
	v_mov_b32_e32 v18, 1
	v_mov_b32_e32 v20, v19
.LBB49_20:                              ;   Parent Loop BB49_4 Depth=1
                                        ; =>  This Inner Loop Header: Depth=2
	v_and_b32_e32 v22, 1, v21
	v_cmp_eq_u32_e32 vcc, 1, v22
	v_cndmask_b32_e32 v22, 1, v20, vcc
	v_mul_lo_u16_e32 v18, v22, v18
	v_lshrrev_b16_e32 v22, 7, v21
	v_and_b32_e32 v22, 1, v22
	v_add_u16_e32 v22, v21, v22
	v_add_u16_e32 v21, 1, v21
	v_ashrrev_i16_sdwa v22, v12, sext(v22) dst_sel:DWORD dst_unused:UNUSED_PAD src0_sel:DWORD src1_sel:BYTE_0
	v_cmp_lt_u16_sdwa s[22:23], v21, v14 src0_sel:BYTE_0 src1_sel:DWORD
	v_mul_lo_u16_e32 v20, v20, v20
	s_and_b64 vcc, exec, s[22:23]
	v_mov_b32_e32 v21, v22
	s_cbranch_vccz .LBB49_20
	s_branch .LBB49_36
.LBB49_21:                              ;   in Loop: Header=BB49_4 Depth=1
	v_mov_b32_e32 v16, 1
.LBB49_22:                              ;   in Loop: Header=BB49_4 Depth=1
	s_cbranch_execnz .LBB49_17
.LBB49_23:                              ;   in Loop: Header=BB49_4 Depth=1
	s_waitcnt vmcnt(0)
	v_cmp_gt_i16_sdwa s[22:23], v18, s35 src0_sel:BYTE_0 src1_sel:DWORD
	s_and_saveexec_b64 s[24:25], s[22:23]
	s_xor_b64 s[22:23], exec, s[24:25]
; %bb.24:                               ;   in Loop: Header=BB49_4 Depth=1
                                        ; implicit-def: $vgpr18
; %bb.25:                               ;   in Loop: Header=BB49_4 Depth=1
	s_or_saveexec_b64 s[22:23], s[22:23]
	v_mov_b32_e32 v16, s33
	s_xor_b64 exec, exec, s[22:23]
	s_cbranch_execz .LBB49_29
; %bb.26:                               ;   in Loop: Header=BB49_4 Depth=1
	v_cmp_ne_u16_sdwa s[36:37], v18, v12 src0_sel:BYTE_0 src1_sel:DWORD
	v_mov_b32_e32 v16, 1
	s_and_saveexec_b64 s[24:25], s[36:37]
; %bb.27:                               ;   in Loop: Header=BB49_4 Depth=1
	v_mov_b32_e32 v16, 0
; %bb.28:                               ;   in Loop: Header=BB49_4 Depth=1
	s_or_b64 exec, exec, s[24:25]
.LBB49_29:                              ;   in Loop: Header=BB49_4 Depth=1
	s_or_b64 exec, exec, s[22:23]
	s_and_b64 vcc, exec, s[2:3]
	s_cbranch_vccz .LBB49_18
.LBB49_30:                              ;   in Loop: Header=BB49_4 Depth=1
                                        ; implicit-def: $vgpr18
	s_branch .LBB49_37
.LBB49_31:                              ;   in Loop: Header=BB49_4 Depth=1
	s_and_b64 vcc, exec, s[2:3]
	s_cbranch_vccnz .LBB49_44
.LBB49_32:                              ;   in Loop: Header=BB49_4 Depth=1
	s_and_b64 vcc, exec, s[0:1]
	s_cbranch_vccnz .LBB49_49
; %bb.33:                               ;   in Loop: Header=BB49_4 Depth=1
	v_mov_b32_e32 v21, s26
	s_waitcnt vmcnt(0)
	v_mov_b32_e32 v19, 1
	v_mov_b32_e32 v20, v17
.LBB49_34:                              ;   Parent Loop BB49_4 Depth=1
                                        ; =>  This Inner Loop Header: Depth=2
	v_and_b32_e32 v22, 1, v21
	v_cmp_eq_u32_e32 vcc, 1, v22
	v_cndmask_b32_e32 v22, 1, v20, vcc
	v_mul_lo_u16_e32 v19, v22, v19
	v_lshrrev_b16_e32 v22, 7, v21
	v_and_b32_e32 v22, 1, v22
	v_add_u16_e32 v22, v21, v22
	v_add_u16_e32 v21, 1, v21
	v_ashrrev_i16_sdwa v22, v12, sext(v22) dst_sel:DWORD dst_unused:UNUSED_PAD src0_sel:DWORD src1_sel:BYTE_0
	v_cmp_lt_u16_sdwa s[22:23], v21, v14 src0_sel:BYTE_0 src1_sel:DWORD
	v_mul_lo_u16_e32 v20, v20, v20
	s_and_b64 vcc, exec, s[22:23]
	v_mov_b32_e32 v21, v22
	s_cbranch_vccz .LBB49_34
	s_branch .LBB49_50
.LBB49_35:                              ;   in Loop: Header=BB49_4 Depth=1
	s_waitcnt vmcnt(0)
	v_mov_b32_e32 v18, 1
.LBB49_36:                              ;   in Loop: Header=BB49_4 Depth=1
	s_cbranch_execnz .LBB49_31
.LBB49_37:                              ;   in Loop: Header=BB49_4 Depth=1
	s_waitcnt vmcnt(0)
	v_cmp_gt_i16_sdwa s[22:23], v19, s35 src0_sel:BYTE_0 src1_sel:DWORD
	s_and_saveexec_b64 s[24:25], s[22:23]
	s_xor_b64 s[22:23], exec, s[24:25]
; %bb.38:                               ;   in Loop: Header=BB49_4 Depth=1
                                        ; implicit-def: $vgpr19
; %bb.39:                               ;   in Loop: Header=BB49_4 Depth=1
	s_or_saveexec_b64 s[22:23], s[22:23]
	v_mov_b32_e32 v18, s33
	s_xor_b64 exec, exec, s[22:23]
	s_cbranch_execz .LBB49_43
; %bb.40:                               ;   in Loop: Header=BB49_4 Depth=1
	v_cmp_ne_u16_sdwa s[36:37], v19, v12 src0_sel:BYTE_0 src1_sel:DWORD
	v_mov_b32_e32 v18, 1
	s_and_saveexec_b64 s[24:25], s[36:37]
; %bb.41:                               ;   in Loop: Header=BB49_4 Depth=1
	v_mov_b32_e32 v18, 0
; %bb.42:                               ;   in Loop: Header=BB49_4 Depth=1
	s_or_b64 exec, exec, s[24:25]
.LBB49_43:                              ;   in Loop: Header=BB49_4 Depth=1
	s_or_b64 exec, exec, s[22:23]
	s_and_b64 vcc, exec, s[2:3]
	s_cbranch_vccz .LBB49_32
.LBB49_44:                              ;   in Loop: Header=BB49_4 Depth=1
                                        ; implicit-def: $vgpr19
	s_branch .LBB49_51
.LBB49_45:                              ;   in Loop: Header=BB49_4 Depth=1
	s_and_b64 vcc, exec, s[2:3]
	s_cbranch_vccnz .LBB49_58
.LBB49_46:                              ;   in Loop: Header=BB49_4 Depth=1
	s_and_b64 vcc, exec, s[0:1]
	s_cbranch_vccnz .LBB49_59
; %bb.47:                               ;   in Loop: Header=BB49_4 Depth=1
	v_mov_b32_e32 v21, s26
	s_waitcnt vmcnt(0)
	v_mov_b32_e32 v17, 1
	v_mov_b32_e32 v20, v15
.LBB49_48:                              ;   Parent Loop BB49_4 Depth=1
                                        ; =>  This Inner Loop Header: Depth=2
	v_and_b32_e32 v22, 1, v21
	v_cmp_eq_u32_e32 vcc, 1, v22
	v_cndmask_b32_e32 v22, 1, v20, vcc
	v_mul_lo_u16_e32 v17, v22, v17
	v_lshrrev_b16_e32 v22, 7, v21
	v_and_b32_e32 v22, 1, v22
	v_add_u16_e32 v22, v21, v22
	v_add_u16_e32 v21, 1, v21
	v_ashrrev_i16_sdwa v22, v12, sext(v22) dst_sel:DWORD dst_unused:UNUSED_PAD src0_sel:DWORD src1_sel:BYTE_0
	v_cmp_lt_u16_sdwa s[22:23], v21, v14 src0_sel:BYTE_0 src1_sel:DWORD
	v_mul_lo_u16_e32 v20, v20, v20
	s_and_b64 vcc, exec, s[22:23]
	v_mov_b32_e32 v21, v22
	s_cbranch_vccz .LBB49_48
	s_branch .LBB49_60
.LBB49_49:                              ;   in Loop: Header=BB49_4 Depth=1
	s_waitcnt vmcnt(0)
	v_mov_b32_e32 v19, 1
.LBB49_50:                              ;   in Loop: Header=BB49_4 Depth=1
	s_cbranch_execnz .LBB49_45
.LBB49_51:                              ;   in Loop: Header=BB49_4 Depth=1
	s_waitcnt vmcnt(0)
	v_cmp_gt_i16_sdwa s[22:23], v17, s35 src0_sel:BYTE_0 src1_sel:DWORD
	s_and_saveexec_b64 s[24:25], s[22:23]
	s_xor_b64 s[22:23], exec, s[24:25]
; %bb.52:                               ;   in Loop: Header=BB49_4 Depth=1
                                        ; implicit-def: $vgpr17
; %bb.53:                               ;   in Loop: Header=BB49_4 Depth=1
	s_or_saveexec_b64 s[22:23], s[22:23]
	v_mov_b32_e32 v19, s33
	s_xor_b64 exec, exec, s[22:23]
	s_cbranch_execz .LBB49_57
; %bb.54:                               ;   in Loop: Header=BB49_4 Depth=1
	v_cmp_ne_u16_sdwa s[36:37], v17, v12 src0_sel:BYTE_0 src1_sel:DWORD
	v_mov_b32_e32 v19, 1
	s_and_saveexec_b64 s[24:25], s[36:37]
; %bb.55:                               ;   in Loop: Header=BB49_4 Depth=1
	v_mov_b32_e32 v19, 0
; %bb.56:                               ;   in Loop: Header=BB49_4 Depth=1
	s_or_b64 exec, exec, s[24:25]
.LBB49_57:                              ;   in Loop: Header=BB49_4 Depth=1
	s_or_b64 exec, exec, s[22:23]
	s_and_b64 vcc, exec, s[2:3]
	s_cbranch_vccz .LBB49_46
.LBB49_58:                              ;   in Loop: Header=BB49_4 Depth=1
                                        ; implicit-def: $vgpr17
	s_branch .LBB49_61
.LBB49_59:                              ;   in Loop: Header=BB49_4 Depth=1
	s_waitcnt vmcnt(0)
	v_mov_b32_e32 v17, 1
.LBB49_60:                              ;   in Loop: Header=BB49_4 Depth=1
	s_cbranch_execnz .LBB49_68
.LBB49_61:                              ;   in Loop: Header=BB49_4 Depth=1
	s_waitcnt vmcnt(0)
	v_cmp_gt_i16_sdwa s[22:23], v15, s35 src0_sel:BYTE_0 src1_sel:DWORD
	s_and_saveexec_b64 s[24:25], s[22:23]
	s_xor_b64 s[22:23], exec, s[24:25]
; %bb.62:                               ;   in Loop: Header=BB49_4 Depth=1
                                        ; implicit-def: $vgpr15
; %bb.63:                               ;   in Loop: Header=BB49_4 Depth=1
	s_or_saveexec_b64 s[22:23], s[22:23]
	v_mov_b32_e32 v17, s33
	s_xor_b64 exec, exec, s[22:23]
	s_cbranch_execz .LBB49_67
; %bb.64:                               ;   in Loop: Header=BB49_4 Depth=1
	v_cmp_ne_u16_sdwa s[36:37], v15, v12 src0_sel:BYTE_0 src1_sel:DWORD
	v_mov_b32_e32 v17, 1
	s_and_saveexec_b64 s[24:25], s[36:37]
; %bb.65:                               ;   in Loop: Header=BB49_4 Depth=1
	v_mov_b32_e32 v17, 0
; %bb.66:                               ;   in Loop: Header=BB49_4 Depth=1
	s_or_b64 exec, exec, s[24:25]
.LBB49_67:                              ;   in Loop: Header=BB49_4 Depth=1
	s_or_b64 exec, exec, s[22:23]
.LBB49_68:                              ;   in Loop: Header=BB49_4 Depth=1
	s_and_saveexec_b64 s[22:23], s[6:7]
	s_xor_b64 s[6:7], exec, s[22:23]
	s_cbranch_execnz .LBB49_72
; %bb.69:                               ;   in Loop: Header=BB49_4 Depth=1
	s_or_b64 exec, exec, s[6:7]
	s_and_saveexec_b64 s[6:7], s[8:9]
	s_cbranch_execnz .LBB49_73
.LBB49_70:                              ;   in Loop: Header=BB49_4 Depth=1
	s_or_b64 exec, exec, s[6:7]
	s_and_saveexec_b64 s[6:7], s[10:11]
	s_cbranch_execnz .LBB49_74
.LBB49_71:                              ;   in Loop: Header=BB49_4 Depth=1
	s_or_b64 exec, exec, s[6:7]
	s_and_saveexec_b64 s[6:7], s[12:13]
	s_cbranch_execz .LBB49_3
	s_branch .LBB49_75
.LBB49_72:                              ;   in Loop: Header=BB49_4 Depth=1
	s_waitcnt vmcnt(0)
	v_mov_b32_e32 v15, s28
	v_add_co_u32_e32 v2, vcc, s27, v2
	v_addc_co_u32_e32 v3, vcc, v15, v3, vcc
	global_store_byte v[2:3], v16, off
	s_or_b64 exec, exec, s[6:7]
	s_and_saveexec_b64 s[6:7], s[8:9]
	s_cbranch_execz .LBB49_70
.LBB49_73:                              ;   in Loop: Header=BB49_4 Depth=1
	v_mov_b32_e32 v3, s28
	v_add_co_u32_e32 v2, vcc, s27, v4
	v_addc_co_u32_e32 v3, vcc, v3, v5, vcc
	s_waitcnt vmcnt(0)
	global_store_byte v[2:3], v18, off
	s_or_b64 exec, exec, s[6:7]
	s_and_saveexec_b64 s[6:7], s[10:11]
	s_cbranch_execz .LBB49_71
.LBB49_74:                              ;   in Loop: Header=BB49_4 Depth=1
	v_mov_b32_e32 v3, s28
	v_add_co_u32_e32 v2, vcc, s27, v6
	v_addc_co_u32_e32 v3, vcc, v3, v7, vcc
	s_waitcnt vmcnt(0)
	global_store_byte v[2:3], v19, off
	s_or_b64 exec, exec, s[6:7]
	s_and_saveexec_b64 s[6:7], s[12:13]
	s_cbranch_execz .LBB49_3
.LBB49_75:                              ;   in Loop: Header=BB49_4 Depth=1
	v_mov_b32_e32 v3, s28
	v_add_co_u32_e32 v2, vcc, s27, v8
	v_addc_co_u32_e32 v3, vcc, v3, v9, vcc
	s_waitcnt vmcnt(0)
	global_store_byte v[2:3], v17, off
	s_branch .LBB49_3
.LBB49_76:
	s_cbranch_execz .LBB49_78
	s_branch .LBB49_135
.LBB49_77:
.LBB49_78:
	v_mov_b32_e32 v3, 0
	v_lshlrev_b32_e32 v2, 2, v0
	s_mov_b32 s16, 0
	v_cmp_gt_i64_e32 vcc, s[14:15], v[2:3]
	s_and_saveexec_b64 s[0:1], vcc
	s_cbranch_execz .LBB49_135
; %bb.79:
	s_sext_i32_i8 s0, s26
	v_and_b32_e64 v2, s26, 1
	s_cmp_gt_i32 s0, -1
	s_load_dword s2, s[4:5], 0xd3c
	v_cmp_eq_u16_e32 vcc, 0, v2
	s_cselect_b64 s[6:7], -1, 0
	s_and_b64 s[0:1], vcc, exec
	v_cmp_ne_u16_sdwa s[0:1], s26, v3 src0_sel:BYTE_0 src1_sel:DWORD
	v_cndmask_b32_e64 v2, 0, 1, s[0:1]
	v_cmp_ne_u32_e64 s[0:1], 1, v2
	v_cndmask_b32_e64 v2, 0, 1, s[6:7]
	v_mov_b32_e32 v1, v3
	s_cselect_b32 s17, 1, 0xff
	s_waitcnt lgkmcnt(0)
	s_and_b32 s18, s2, 0xffff
	s_mov_b64 s[8:9], 0
	v_mov_b32_e32 v4, s28
	s_movk_i32 s19, 0xfe
	v_cmp_ne_u32_e64 s[2:3], 1, v2
	s_mov_b64 s[10:11], 0xffff
	v_mov_b32_e32 v5, 1
	v_mov_b32_e32 v6, 2
	;; [unrolled: 1-line block ×4, first 2 shown]
	s_branch .LBB49_83
.LBB49_80:                              ;   in Loop: Header=BB49_83 Depth=1
	s_or_b64 exec, exec, s[12:13]
.LBB49_81:                              ;   in Loop: Header=BB49_83 Depth=1
	s_or_b64 exec, exec, s[4:5]
.LBB49_82:                              ;   in Loop: Header=BB49_83 Depth=1
	v_and_b32_e32 v10, 0xff, v12
	v_lshlrev_b32_e32 v10, 16, v10
	v_lshl_or_b32 v10, v13, 24, v10
	v_lshlrev_b32_sdwa v11, v8, v11 dst_sel:DWORD dst_unused:UNUSED_PAD src0_sel:DWORD src1_sel:BYTE_0
	v_and_b32_e32 v9, 0xff, v9
	v_or3_b32 v9, v10, v11, v9
	v_mov_b32_e32 v10, s16
	v_add_co_u32_e32 v0, vcc, s18, v0
	v_addc_co_u32_e32 v1, vcc, v1, v10, vcc
	v_lshlrev_b64 v[10:11], 2, v[0:1]
	v_cmp_le_i64_e32 vcc, s[14:15], v[10:11]
	v_cmp_lt_u64_e64 s[4:5], s[10:11], v[10:11]
	s_or_b64 s[4:5], vcc, s[4:5]
	s_and_b64 s[4:5], exec, s[4:5]
	s_or_b64 s[8:9], s[4:5], s[8:9]
	global_store_dword v[2:3], v9, off
	s_andn2_b64 exec, exec, s[8:9]
	s_cbranch_execz .LBB49_135
.LBB49_83:                              ; =>This Loop Header: Depth=1
                                        ;     Child Loop BB49_86 Depth 2
                                        ;     Child Loop BB49_91 Depth 2
	;; [unrolled: 1-line block ×4, first 2 shown]
	v_lshlrev_b64 v[2:3], 2, v[0:1]
	v_add_co_u32_e32 v2, vcc, s27, v2
	v_addc_co_u32_e32 v3, vcc, v4, v3, vcc
	global_load_dword v10, v[2:3], off
	s_and_b64 vcc, exec, s[6:7]
	s_cbranch_vccz .LBB49_87
; %bb.84:                               ;   in Loop: Header=BB49_83 Depth=1
	s_and_b64 vcc, exec, s[0:1]
	s_cbranch_vccnz .LBB49_92
; %bb.85:                               ;   in Loop: Header=BB49_83 Depth=1
	v_mov_b32_e32 v12, s26
	v_mov_b32_e32 v9, 1
	s_waitcnt vmcnt(0)
	v_mov_b32_e32 v11, v10
.LBB49_86:                              ;   Parent Loop BB49_83 Depth=1
                                        ; =>  This Inner Loop Header: Depth=2
	v_and_b32_e32 v13, 1, v12
	v_cmp_eq_u32_e32 vcc, 1, v13
	v_cndmask_b32_e32 v13, 1, v11, vcc
	v_mul_lo_u16_e32 v9, v13, v9
	v_lshrrev_b16_e32 v13, 7, v12
	v_and_b32_e32 v13, 1, v13
	v_add_u16_e32 v13, v12, v13
	v_add_u16_e32 v12, 1, v12
	v_ashrrev_i16_sdwa v13, v5, sext(v13) dst_sel:DWORD dst_unused:UNUSED_PAD src0_sel:DWORD src1_sel:BYTE_0
	v_cmp_gt_u16_sdwa s[4:5], v12, v6 src0_sel:BYTE_0 src1_sel:DWORD
	v_mul_lo_u16_e32 v11, v11, v11
	s_and_b64 vcc, exec, s[4:5]
	v_mov_b32_e32 v12, v13
	s_cbranch_vccnz .LBB49_86
	s_branch .LBB49_93
.LBB49_87:                              ;   in Loop: Header=BB49_83 Depth=1
                                        ; implicit-def: $vgpr9
	s_branch .LBB49_94
.LBB49_88:                              ;   in Loop: Header=BB49_83 Depth=1
	s_and_b64 vcc, exec, s[2:3]
	s_waitcnt vmcnt(0)
	v_lshrrev_b32_e32 v12, 8, v10
	s_cbranch_vccnz .LBB49_99
.LBB49_89:                              ;   in Loop: Header=BB49_83 Depth=1
	s_and_b64 vcc, exec, s[0:1]
	s_cbranch_vccnz .LBB49_104
; %bb.90:                               ;   in Loop: Header=BB49_83 Depth=1
	v_mov_b32_e32 v14, s26
	v_mov_b32_e32 v11, 1
	;; [unrolled: 1-line block ×3, first 2 shown]
.LBB49_91:                              ;   Parent Loop BB49_83 Depth=1
                                        ; =>  This Inner Loop Header: Depth=2
	v_and_b32_e32 v15, 1, v14
	v_cmp_eq_u32_e32 vcc, 1, v15
	v_cndmask_b32_e32 v15, 1, v13, vcc
	v_mul_lo_u16_e32 v11, v15, v11
	v_lshrrev_b16_e32 v15, 7, v14
	v_and_b32_e32 v15, 1, v15
	v_add_u16_e32 v15, v14, v15
	v_add_u16_e32 v14, 1, v14
	v_ashrrev_i16_sdwa v15, v5, sext(v15) dst_sel:DWORD dst_unused:UNUSED_PAD src0_sel:DWORD src1_sel:BYTE_0
	v_cmp_lt_u16_sdwa s[4:5], v14, v7 src0_sel:BYTE_0 src1_sel:DWORD
	v_mul_lo_u16_e32 v13, v13, v13
	s_and_b64 vcc, exec, s[4:5]
	v_mov_b32_e32 v14, v15
	s_cbranch_vccz .LBB49_91
	s_branch .LBB49_105
.LBB49_92:                              ;   in Loop: Header=BB49_83 Depth=1
	v_mov_b32_e32 v9, 1
.LBB49_93:                              ;   in Loop: Header=BB49_83 Depth=1
	s_cbranch_execnz .LBB49_88
.LBB49_94:                              ;   in Loop: Header=BB49_83 Depth=1
	s_waitcnt vmcnt(0)
	v_cmp_gt_i16_sdwa s[4:5], v10, s19 src0_sel:BYTE_0 src1_sel:DWORD
	s_and_saveexec_b64 s[12:13], s[4:5]
	s_xor_b64 s[4:5], exec, s[12:13]
	s_or_saveexec_b64 s[4:5], s[4:5]
	v_mov_b32_e32 v9, s17
	s_xor_b64 exec, exec, s[4:5]
	s_cbranch_execz .LBB49_98
; %bb.95:                               ;   in Loop: Header=BB49_83 Depth=1
	v_cmp_ne_u16_sdwa s[20:21], v10, v5 src0_sel:BYTE_0 src1_sel:DWORD
	v_mov_b32_e32 v9, 1
	s_and_saveexec_b64 s[12:13], s[20:21]
; %bb.96:                               ;   in Loop: Header=BB49_83 Depth=1
	v_mov_b32_e32 v9, 0
; %bb.97:                               ;   in Loop: Header=BB49_83 Depth=1
	s_or_b64 exec, exec, s[12:13]
.LBB49_98:                              ;   in Loop: Header=BB49_83 Depth=1
	s_or_b64 exec, exec, s[4:5]
	s_and_b64 vcc, exec, s[2:3]
	v_lshrrev_b32_e32 v12, 8, v10
	s_cbranch_vccz .LBB49_89
.LBB49_99:                              ;   in Loop: Header=BB49_83 Depth=1
                                        ; implicit-def: $vgpr11
	s_branch .LBB49_106
.LBB49_100:                             ;   in Loop: Header=BB49_83 Depth=1
	s_and_b64 vcc, exec, s[2:3]
	v_lshrrev_b32_e32 v13, 16, v10
	s_cbranch_vccnz .LBB49_113
.LBB49_101:                             ;   in Loop: Header=BB49_83 Depth=1
	s_and_b64 vcc, exec, s[0:1]
	s_cbranch_vccnz .LBB49_118
; %bb.102:                              ;   in Loop: Header=BB49_83 Depth=1
	v_mov_b32_e32 v15, s26
	v_mov_b32_e32 v12, 1
	;; [unrolled: 1-line block ×3, first 2 shown]
.LBB49_103:                             ;   Parent Loop BB49_83 Depth=1
                                        ; =>  This Inner Loop Header: Depth=2
	v_and_b32_e32 v16, 1, v15
	v_cmp_eq_u32_e32 vcc, 1, v16
	v_cndmask_b32_e32 v16, 1, v14, vcc
	v_mul_lo_u16_e32 v12, v16, v12
	v_lshrrev_b16_e32 v16, 7, v15
	v_and_b32_e32 v16, 1, v16
	v_add_u16_e32 v16, v15, v16
	v_add_u16_e32 v15, 1, v15
	v_ashrrev_i16_sdwa v16, v5, sext(v16) dst_sel:DWORD dst_unused:UNUSED_PAD src0_sel:DWORD src1_sel:BYTE_0
	v_cmp_lt_u16_sdwa s[4:5], v15, v7 src0_sel:BYTE_0 src1_sel:DWORD
	v_mul_lo_u16_e32 v14, v14, v14
	s_and_b64 vcc, exec, s[4:5]
	v_mov_b32_e32 v15, v16
	s_cbranch_vccz .LBB49_103
	s_branch .LBB49_119
.LBB49_104:                             ;   in Loop: Header=BB49_83 Depth=1
	v_mov_b32_e32 v11, 1
.LBB49_105:                             ;   in Loop: Header=BB49_83 Depth=1
	s_cbranch_execnz .LBB49_100
.LBB49_106:                             ;   in Loop: Header=BB49_83 Depth=1
	v_cmp_gt_i16_sdwa s[4:5], v12, s19 src0_sel:BYTE_0 src1_sel:DWORD
	s_and_saveexec_b64 s[12:13], s[4:5]
	s_xor_b64 s[4:5], exec, s[12:13]
; %bb.107:                              ;   in Loop: Header=BB49_83 Depth=1
                                        ; implicit-def: $vgpr12
; %bb.108:                              ;   in Loop: Header=BB49_83 Depth=1
	s_or_saveexec_b64 s[4:5], s[4:5]
	v_mov_b32_e32 v11, s17
	s_xor_b64 exec, exec, s[4:5]
	s_cbranch_execz .LBB49_112
; %bb.109:                              ;   in Loop: Header=BB49_83 Depth=1
	v_cmp_ne_u16_sdwa s[20:21], v12, v5 src0_sel:BYTE_0 src1_sel:DWORD
	v_mov_b32_e32 v11, 1
	s_and_saveexec_b64 s[12:13], s[20:21]
; %bb.110:                              ;   in Loop: Header=BB49_83 Depth=1
	v_mov_b32_e32 v11, 0
; %bb.111:                              ;   in Loop: Header=BB49_83 Depth=1
	s_or_b64 exec, exec, s[12:13]
.LBB49_112:                             ;   in Loop: Header=BB49_83 Depth=1
	s_or_b64 exec, exec, s[4:5]
	s_and_b64 vcc, exec, s[2:3]
	v_lshrrev_b32_e32 v13, 16, v10
	s_cbranch_vccz .LBB49_101
.LBB49_113:                             ;   in Loop: Header=BB49_83 Depth=1
                                        ; implicit-def: $vgpr12
	s_branch .LBB49_120
.LBB49_114:                             ;   in Loop: Header=BB49_83 Depth=1
	s_and_b64 vcc, exec, s[2:3]
	v_lshrrev_b32_e32 v10, 24, v10
	s_cbranch_vccnz .LBB49_127
.LBB49_115:                             ;   in Loop: Header=BB49_83 Depth=1
	s_and_b64 vcc, exec, s[0:1]
	s_cbranch_vccnz .LBB49_128
; %bb.116:                              ;   in Loop: Header=BB49_83 Depth=1
	v_mov_b32_e32 v15, s26
	v_mov_b32_e32 v13, 1
	;; [unrolled: 1-line block ×3, first 2 shown]
.LBB49_117:                             ;   Parent Loop BB49_83 Depth=1
                                        ; =>  This Inner Loop Header: Depth=2
	v_and_b32_e32 v16, 1, v15
	v_cmp_eq_u32_e32 vcc, 1, v16
	v_cndmask_b32_e32 v16, 1, v14, vcc
	v_mul_lo_u16_e32 v13, v16, v13
	v_lshrrev_b16_e32 v16, 7, v15
	v_and_b32_e32 v16, 1, v16
	v_add_u16_e32 v16, v15, v16
	v_add_u16_e32 v15, 1, v15
	v_ashrrev_i16_sdwa v16, v5, sext(v16) dst_sel:DWORD dst_unused:UNUSED_PAD src0_sel:DWORD src1_sel:BYTE_0
	v_cmp_lt_u16_sdwa s[4:5], v15, v7 src0_sel:BYTE_0 src1_sel:DWORD
	v_mul_lo_u16_e32 v14, v14, v14
	s_and_b64 vcc, exec, s[4:5]
	v_mov_b32_e32 v15, v16
	s_cbranch_vccz .LBB49_117
	s_branch .LBB49_129
.LBB49_118:                             ;   in Loop: Header=BB49_83 Depth=1
	v_mov_b32_e32 v12, 1
.LBB49_119:                             ;   in Loop: Header=BB49_83 Depth=1
	s_cbranch_execnz .LBB49_114
.LBB49_120:                             ;   in Loop: Header=BB49_83 Depth=1
	v_cmp_gt_i16_sdwa s[4:5], v13, s19 src0_sel:BYTE_0 src1_sel:DWORD
	s_and_saveexec_b64 s[12:13], s[4:5]
	s_xor_b64 s[4:5], exec, s[12:13]
; %bb.121:                              ;   in Loop: Header=BB49_83 Depth=1
                                        ; implicit-def: $vgpr13
; %bb.122:                              ;   in Loop: Header=BB49_83 Depth=1
	s_or_saveexec_b64 s[4:5], s[4:5]
	v_mov_b32_e32 v12, s17
	s_xor_b64 exec, exec, s[4:5]
	s_cbranch_execz .LBB49_126
; %bb.123:                              ;   in Loop: Header=BB49_83 Depth=1
	v_cmp_ne_u16_sdwa s[20:21], v13, v5 src0_sel:BYTE_0 src1_sel:DWORD
	v_mov_b32_e32 v12, 1
	s_and_saveexec_b64 s[12:13], s[20:21]
; %bb.124:                              ;   in Loop: Header=BB49_83 Depth=1
	v_mov_b32_e32 v12, 0
; %bb.125:                              ;   in Loop: Header=BB49_83 Depth=1
	s_or_b64 exec, exec, s[12:13]
.LBB49_126:                             ;   in Loop: Header=BB49_83 Depth=1
	s_or_b64 exec, exec, s[4:5]
	s_and_b64 vcc, exec, s[2:3]
	v_lshrrev_b32_e32 v10, 24, v10
	s_cbranch_vccz .LBB49_115
.LBB49_127:                             ;   in Loop: Header=BB49_83 Depth=1
                                        ; implicit-def: $vgpr13
	s_branch .LBB49_130
.LBB49_128:                             ;   in Loop: Header=BB49_83 Depth=1
	v_mov_b32_e32 v13, 1
.LBB49_129:                             ;   in Loop: Header=BB49_83 Depth=1
	s_cbranch_execnz .LBB49_82
.LBB49_130:                             ;   in Loop: Header=BB49_83 Depth=1
	v_cmp_lt_i16_e32 vcc, s19, v10
	s_and_saveexec_b64 s[4:5], vcc
	s_xor_b64 s[4:5], exec, s[4:5]
; %bb.131:                              ;   in Loop: Header=BB49_83 Depth=1
                                        ; implicit-def: $vgpr10
; %bb.132:                              ;   in Loop: Header=BB49_83 Depth=1
	s_or_saveexec_b64 s[4:5], s[4:5]
	v_mov_b32_e32 v13, s17
	s_xor_b64 exec, exec, s[4:5]
	s_cbranch_execz .LBB49_81
; %bb.133:                              ;   in Loop: Header=BB49_83 Depth=1
	v_cmp_ne_u16_e32 vcc, 1, v10
	v_mov_b32_e32 v13, 1
	s_and_saveexec_b64 s[12:13], vcc
	s_cbranch_execz .LBB49_80
; %bb.134:                              ;   in Loop: Header=BB49_83 Depth=1
	v_mov_b32_e32 v13, 0
	s_branch .LBB49_80
.LBB49_135:
	s_endpgm
	.section	.rodata,"a",@progbits
	.p2align	6, 0x0
	.amdhsa_kernel _ZN2at6native12_GLOBAL__N_125multi_tensor_apply_kernelINS1_18TensorListMetadataILi1EEENS1_21BinaryOpScalarFunctorIaLi1ELi1ELi0EEEJNS1_13power_functorIaEEaEEEvT_T0_DpT1_
		.amdhsa_group_segment_fixed_size 0
		.amdhsa_private_segment_fixed_size 0
		.amdhsa_kernarg_size 3632
		.amdhsa_user_sgpr_count 6
		.amdhsa_user_sgpr_private_segment_buffer 1
		.amdhsa_user_sgpr_dispatch_ptr 0
		.amdhsa_user_sgpr_queue_ptr 0
		.amdhsa_user_sgpr_kernarg_segment_ptr 1
		.amdhsa_user_sgpr_dispatch_id 0
		.amdhsa_user_sgpr_flat_scratch_init 0
		.amdhsa_user_sgpr_kernarg_preload_length 0
		.amdhsa_user_sgpr_kernarg_preload_offset 0
		.amdhsa_user_sgpr_private_segment_size 0
		.amdhsa_uses_dynamic_stack 0
		.amdhsa_system_sgpr_private_segment_wavefront_offset 0
		.amdhsa_system_sgpr_workgroup_id_x 1
		.amdhsa_system_sgpr_workgroup_id_y 0
		.amdhsa_system_sgpr_workgroup_id_z 0
		.amdhsa_system_sgpr_workgroup_info 0
		.amdhsa_system_vgpr_workitem_id 0
		.amdhsa_next_free_vgpr 23
		.amdhsa_next_free_sgpr 38
		.amdhsa_accum_offset 24
		.amdhsa_reserve_vcc 1
		.amdhsa_reserve_flat_scratch 0
		.amdhsa_float_round_mode_32 0
		.amdhsa_float_round_mode_16_64 0
		.amdhsa_float_denorm_mode_32 3
		.amdhsa_float_denorm_mode_16_64 3
		.amdhsa_dx10_clamp 1
		.amdhsa_ieee_mode 1
		.amdhsa_fp16_overflow 0
		.amdhsa_tg_split 0
		.amdhsa_exception_fp_ieee_invalid_op 0
		.amdhsa_exception_fp_denorm_src 0
		.amdhsa_exception_fp_ieee_div_zero 0
		.amdhsa_exception_fp_ieee_overflow 0
		.amdhsa_exception_fp_ieee_underflow 0
		.amdhsa_exception_fp_ieee_inexact 0
		.amdhsa_exception_int_div_zero 0
	.end_amdhsa_kernel
	.section	.text._ZN2at6native12_GLOBAL__N_125multi_tensor_apply_kernelINS1_18TensorListMetadataILi1EEENS1_21BinaryOpScalarFunctorIaLi1ELi1ELi0EEEJNS1_13power_functorIaEEaEEEvT_T0_DpT1_,"axG",@progbits,_ZN2at6native12_GLOBAL__N_125multi_tensor_apply_kernelINS1_18TensorListMetadataILi1EEENS1_21BinaryOpScalarFunctorIaLi1ELi1ELi0EEEJNS1_13power_functorIaEEaEEEvT_T0_DpT1_,comdat
.Lfunc_end49:
	.size	_ZN2at6native12_GLOBAL__N_125multi_tensor_apply_kernelINS1_18TensorListMetadataILi1EEENS1_21BinaryOpScalarFunctorIaLi1ELi1ELi0EEEJNS1_13power_functorIaEEaEEEvT_T0_DpT1_, .Lfunc_end49-_ZN2at6native12_GLOBAL__N_125multi_tensor_apply_kernelINS1_18TensorListMetadataILi1EEENS1_21BinaryOpScalarFunctorIaLi1ELi1ELi0EEEJNS1_13power_functorIaEEaEEEvT_T0_DpT1_
                                        ; -- End function
	.section	.AMDGPU.csdata,"",@progbits
; Kernel info:
; codeLenInByte = 2568
; NumSgprs: 42
; NumVgprs: 23
; NumAgprs: 0
; TotalNumVgprs: 23
; ScratchSize: 0
; MemoryBound: 0
; FloatMode: 240
; IeeeMode: 1
; LDSByteSize: 0 bytes/workgroup (compile time only)
; SGPRBlocks: 5
; VGPRBlocks: 2
; NumSGPRsForWavesPerEU: 42
; NumVGPRsForWavesPerEU: 23
; AccumOffset: 24
; Occupancy: 8
; WaveLimiterHint : 0
; COMPUTE_PGM_RSRC2:SCRATCH_EN: 0
; COMPUTE_PGM_RSRC2:USER_SGPR: 6
; COMPUTE_PGM_RSRC2:TRAP_HANDLER: 0
; COMPUTE_PGM_RSRC2:TGID_X_EN: 1
; COMPUTE_PGM_RSRC2:TGID_Y_EN: 0
; COMPUTE_PGM_RSRC2:TGID_Z_EN: 0
; COMPUTE_PGM_RSRC2:TIDIG_COMP_CNT: 0
; COMPUTE_PGM_RSRC3_GFX90A:ACCUM_OFFSET: 5
; COMPUTE_PGM_RSRC3_GFX90A:TG_SPLIT: 0
	.section	.text._ZN2at6native12_GLOBAL__N_125multi_tensor_apply_kernelINS1_18TensorListMetadataILi1EEENS1_21BinaryOpScalarFunctorIiLi1ELi1ELi0EEEJNS1_13power_functorIiEEiEEEvT_T0_DpT1_,"axG",@progbits,_ZN2at6native12_GLOBAL__N_125multi_tensor_apply_kernelINS1_18TensorListMetadataILi1EEENS1_21BinaryOpScalarFunctorIiLi1ELi1ELi0EEEJNS1_13power_functorIiEEiEEEvT_T0_DpT1_,comdat
	.globl	_ZN2at6native12_GLOBAL__N_125multi_tensor_apply_kernelINS1_18TensorListMetadataILi1EEENS1_21BinaryOpScalarFunctorIiLi1ELi1ELi0EEEJNS1_13power_functorIiEEiEEEvT_T0_DpT1_ ; -- Begin function _ZN2at6native12_GLOBAL__N_125multi_tensor_apply_kernelINS1_18TensorListMetadataILi1EEENS1_21BinaryOpScalarFunctorIiLi1ELi1ELi0EEEJNS1_13power_functorIiEEiEEEvT_T0_DpT1_
	.p2align	8
	.type	_ZN2at6native12_GLOBAL__N_125multi_tensor_apply_kernelINS1_18TensorListMetadataILi1EEENS1_21BinaryOpScalarFunctorIiLi1ELi1ELi0EEEJNS1_13power_functorIiEEiEEEvT_T0_DpT1_,@function
_ZN2at6native12_GLOBAL__N_125multi_tensor_apply_kernelINS1_18TensorListMetadataILi1EEENS1_21BinaryOpScalarFunctorIiLi1ELi1ELi0EEEJNS1_13power_functorIiEEiEEEvT_T0_DpT1_: ; @_ZN2at6native12_GLOBAL__N_125multi_tensor_apply_kernelINS1_18TensorListMetadataILi1EEENS1_21BinaryOpScalarFunctorIiLi1ELi1ELi0EEEJNS1_13power_functorIiEEiEEEvT_T0_DpT1_
; %bb.0:
	v_mov_b32_e32 v1, s6
	global_load_ubyte v1, v1, s[4:5] offset:1760
	s_add_u32 s0, s4, s6
	s_mul_hi_u32 s1, s6, 3
	s_mul_i32 s6, s6, 3
	s_addc_u32 s2, s5, 0
	s_add_u32 s0, s0, s6
	s_addc_u32 s1, s2, s1
	s_load_dword s0, s[0:1], 0x820
	s_mov_b32 s9, 0
	s_waitcnt vmcnt(0)
	v_readfirstlane_b32 s1, v1
	s_lshl_b32 s1, s1, 3
	s_load_dwordx2 s[2:3], s[4:5], s1 offset:0x0
	s_load_dword s28, s[4:5], 0xd2c
	s_load_dwordx2 s[6:7], s[4:5], s1 offset:0x370
	s_waitcnt lgkmcnt(0)
	s_ashr_i32 s1, s0, 31
	s_lshl_b64 s[10:11], s[0:1], 18
	s_add_u32 s29, s2, s10
	s_addc_u32 s30, s3, s11
	s_and_b32 s8, s29, 15
	s_lshl_b64 s[0:1], s[0:1], 16
	s_sub_u32 s14, s6, s0
	s_subb_u32 s15, s7, s1
	s_and_b32 s0, s6, 3
	s_mov_b32 s1, s9
	s_or_b64 s[0:1], s[8:9], s[0:1]
	s_cmp_eq_u64 s[0:1], 0
	s_cbranch_scc1 .LBB50_81
; %bb.1:
	v_cmp_lt_i64_e64 s[0:1], s[14:15], 1
	s_and_b64 vcc, exec, s[0:1]
	s_cbranch_vccnz .LBB50_80
; %bb.2:
	s_load_dword s0, s[4:5], 0xd3c
	v_mov_b32_e32 v2, 0x10000
	v_mov_b32_e32 v3, 0
	v_cmp_lt_u64_e32 vcc, s[14:15], v[2:3]
	s_mov_b32 s2, 0
	s_waitcnt lgkmcnt(0)
	s_and_b32 s31, s0, 0xffff
	s_and_b64 s[0:1], vcc, exec
	s_cselect_b32 s17, s15, 0
	s_cselect_b32 s16, s14, 0x10000
	s_lshl_b32 s33, s31, 1
	s_cmp_gt_i32 s28, -1
	s_cselect_b64 s[18:19], -1, 0
	s_cmp_lg_u32 s28, 0
	s_cselect_b64 s[0:1], -1, 0
	s_bitcmp0_b32 s28, 0
	v_cndmask_b32_e64 v2, 0, 1, s[0:1]
	v_cndmask_b32_e64 v3, 0, 1, s[18:19]
	s_mul_i32 s34, s31, 3
	s_cselect_b32 s35, 1, -1
	s_lshl_b32 s36, s31, 2
	s_mov_b64 s[20:21], 0
	v_mov_b32_e32 v1, s2
	v_mov_b32_e32 v10, s2
	;; [unrolled: 1-line block ×3, first 2 shown]
	v_cmp_ne_u32_e64 s[0:1], 1, v2
	v_cmp_ne_u32_e64 s[2:3], 1, v3
	s_branch .LBB50_4
.LBB50_3:                               ;   in Loop: Header=BB50_4 Depth=1
	s_or_b64 exec, exec, s[6:7]
	s_add_u32 s20, s20, s36
	s_addc_u32 s21, s21, 0
	v_pk_mov_b32 v[2:3], s[14:15], s[14:15] op_sel:[0,1]
	v_cmp_ge_i64_e32 vcc, s[20:21], v[2:3]
	v_mov_b32_e32 v2, 0xffff
	v_mov_b32_e32 v3, 0
	v_cmp_gt_u64_e64 s[6:7], s[20:21], v[2:3]
	s_or_b64 s[6:7], vcc, s[6:7]
	s_and_b64 vcc, exec, s[6:7]
	s_cbranch_vccnz .LBB50_80
.LBB50_4:                               ; =>This Loop Header: Depth=1
                                        ;     Child Loop BB50_15 Depth 2
                                        ;     Child Loop BB50_20 Depth 2
	;; [unrolled: 1-line block ×4, first 2 shown]
	v_mov_b32_e32 v2, s21
	v_add_co_u32_e32 v8, vcc, s20, v0
	v_addc_co_u32_e32 v9, vcc, 0, v2, vcc
	v_cmp_gt_u64_e64 s[6:7], s[16:17], v[8:9]
	v_lshlrev_b64 v[2:3], 2, v[8:9]
	s_waitcnt vmcnt(0)
	v_mov_b32_e32 v15, 0
	s_and_saveexec_b64 s[8:9], s[6:7]
	s_cbranch_execz .LBB50_6
; %bb.5:                                ;   in Loop: Header=BB50_4 Depth=1
	v_mov_b32_e32 v5, s30
	v_add_co_u32_e32 v4, vcc, s29, v2
	v_addc_co_u32_e32 v5, vcc, v5, v3, vcc
	global_load_dword v15, v[4:5], off
.LBB50_6:                               ;   in Loop: Header=BB50_4 Depth=1
	s_or_b64 exec, exec, s[8:9]
	v_add_co_u32_e32 v4, vcc, s31, v8
	v_addc_co_u32_e32 v5, vcc, v9, v1, vcc
	v_cmp_gt_u64_e64 s[8:9], s[16:17], v[4:5]
	v_lshlrev_b64 v[4:5], 2, v[4:5]
	v_mov_b32_e32 v16, 0
	s_and_saveexec_b64 s[10:11], s[8:9]
	s_cbranch_execz .LBB50_8
; %bb.7:                                ;   in Loop: Header=BB50_4 Depth=1
	v_mov_b32_e32 v7, s30
	v_add_co_u32_e32 v6, vcc, s29, v4
	v_addc_co_u32_e32 v7, vcc, v7, v5, vcc
	global_load_dword v16, v[6:7], off
.LBB50_8:                               ;   in Loop: Header=BB50_4 Depth=1
	s_or_b64 exec, exec, s[10:11]
	v_add_co_u32_e32 v6, vcc, s33, v8
	v_addc_co_u32_e32 v7, vcc, v9, v10, vcc
	v_cmp_gt_u64_e64 s[10:11], s[16:17], v[6:7]
	v_mov_b32_e32 v12, 0
	v_lshlrev_b64 v[6:7], 2, v[6:7]
	v_mov_b32_e32 v14, 0
	s_and_saveexec_b64 s[12:13], s[10:11]
	s_cbranch_execz .LBB50_10
; %bb.9:                                ;   in Loop: Header=BB50_4 Depth=1
	v_mov_b32_e32 v13, s30
	v_add_co_u32_e32 v18, vcc, s29, v6
	v_addc_co_u32_e32 v19, vcc, v13, v7, vcc
	global_load_dword v14, v[18:19], off
.LBB50_10:                              ;   in Loop: Header=BB50_4 Depth=1
	s_or_b64 exec, exec, s[12:13]
	v_add_co_u32_e32 v8, vcc, s34, v8
	v_addc_co_u32_e32 v9, vcc, v9, v11, vcc
	v_cmp_gt_u64_e64 s[12:13], s[16:17], v[8:9]
	v_lshlrev_b64 v[8:9], 2, v[8:9]
	s_and_saveexec_b64 s[22:23], s[12:13]
	s_cbranch_execz .LBB50_12
; %bb.11:                               ;   in Loop: Header=BB50_4 Depth=1
	v_mov_b32_e32 v13, s30
	v_add_co_u32_e32 v12, vcc, s29, v8
	v_addc_co_u32_e32 v13, vcc, v13, v9, vcc
	global_load_dword v12, v[12:13], off
.LBB50_12:                              ;   in Loop: Header=BB50_4 Depth=1
	s_or_b64 exec, exec, s[22:23]
	s_and_b64 vcc, exec, s[18:19]
	s_cbranch_vccz .LBB50_32
; %bb.13:                               ;   in Loop: Header=BB50_4 Depth=1
	s_and_b64 vcc, exec, s[0:1]
	v_mov_b32_e32 v13, 1
	s_cbranch_vccnz .LBB50_16
; %bb.14:                               ;   in Loop: Header=BB50_4 Depth=1
	v_mov_b32_e32 v13, 1
	s_mov_b32 s22, s28
	s_waitcnt vmcnt(0)
	v_mov_b32_e32 v17, v15
.LBB50_15:                              ;   Parent Loop BB50_4 Depth=1
                                        ; =>  This Inner Loop Header: Depth=2
	s_bitcmp1_b32 s22, 0
	s_cselect_b64 vcc, -1, 0
	v_cndmask_b32_e32 v18, 1, v17, vcc
	s_lshr_b32 s23, s22, 1
	v_mul_lo_u32 v13, v18, v13
	v_mul_lo_u32 v17, v17, v17
	s_cmp_gt_u32 s22, 1
	s_mov_b32 s22, s23
	s_cbranch_scc1 .LBB50_15
.LBB50_16:                              ;   in Loop: Header=BB50_4 Depth=1
	s_cbranch_execz .LBB50_33
; %bb.17:                               ;   in Loop: Header=BB50_4 Depth=1
	s_and_b64 vcc, exec, s[2:3]
	s_cbranch_vccnz .LBB50_39
.LBB50_18:                              ;   in Loop: Header=BB50_4 Depth=1
	s_and_b64 vcc, exec, s[0:1]
	s_waitcnt vmcnt(0)
	v_mov_b32_e32 v15, 1
	s_cbranch_vccnz .LBB50_21
; %bb.19:                               ;   in Loop: Header=BB50_4 Depth=1
	v_mov_b32_e32 v15, 1
	s_mov_b32 s22, s28
	v_mov_b32_e32 v17, v16
.LBB50_20:                              ;   Parent Loop BB50_4 Depth=1
                                        ; =>  This Inner Loop Header: Depth=2
	s_bitcmp1_b32 s22, 0
	s_cselect_b64 vcc, -1, 0
	v_cndmask_b32_e32 v18, 1, v17, vcc
	s_lshr_b32 s23, s22, 1
	v_mul_lo_u32 v15, v18, v15
	v_mul_lo_u32 v17, v17, v17
	s_cmp_lt_u32 s22, 2
	s_mov_b32 s22, s23
	s_cbranch_scc0 .LBB50_20
.LBB50_21:                              ;   in Loop: Header=BB50_4 Depth=1
	s_cbranch_execz .LBB50_40
; %bb.22:                               ;   in Loop: Header=BB50_4 Depth=1
	s_and_b64 vcc, exec, s[2:3]
	s_cbranch_vccnz .LBB50_46
.LBB50_23:                              ;   in Loop: Header=BB50_4 Depth=1
	s_and_b64 vcc, exec, s[0:1]
	s_waitcnt vmcnt(0)
	v_mov_b32_e32 v16, 1
	s_cbranch_vccnz .LBB50_26
; %bb.24:                               ;   in Loop: Header=BB50_4 Depth=1
	v_mov_b32_e32 v16, 1
	s_mov_b32 s22, s28
	v_mov_b32_e32 v17, v14
.LBB50_25:                              ;   Parent Loop BB50_4 Depth=1
                                        ; =>  This Inner Loop Header: Depth=2
	s_bitcmp1_b32 s22, 0
	s_cselect_b64 vcc, -1, 0
	v_cndmask_b32_e32 v18, 1, v17, vcc
	s_lshr_b32 s23, s22, 1
	v_mul_lo_u32 v16, v18, v16
	v_mul_lo_u32 v17, v17, v17
	s_cmp_lt_u32 s22, 2
	s_mov_b32 s22, s23
	s_cbranch_scc0 .LBB50_25
.LBB50_26:                              ;   in Loop: Header=BB50_4 Depth=1
	s_cbranch_execz .LBB50_47
; %bb.27:                               ;   in Loop: Header=BB50_4 Depth=1
	s_and_b64 vcc, exec, s[2:3]
	s_cbranch_vccnz .LBB50_53
.LBB50_28:                              ;   in Loop: Header=BB50_4 Depth=1
	s_and_b64 vcc, exec, s[0:1]
	s_waitcnt vmcnt(0)
	v_mov_b32_e32 v14, 1
	s_cbranch_vccnz .LBB50_31
; %bb.29:                               ;   in Loop: Header=BB50_4 Depth=1
	v_mov_b32_e32 v14, 1
	s_mov_b32 s22, s28
	v_mov_b32_e32 v17, v12
.LBB50_30:                              ;   Parent Loop BB50_4 Depth=1
                                        ; =>  This Inner Loop Header: Depth=2
	s_bitcmp1_b32 s22, 0
	s_cselect_b64 vcc, -1, 0
	v_cndmask_b32_e32 v18, 1, v17, vcc
	s_lshr_b32 s23, s22, 1
	v_mul_lo_u32 v14, v18, v14
	v_mul_lo_u32 v17, v17, v17
	s_cmp_lt_u32 s22, 2
	s_mov_b32 s22, s23
	s_cbranch_scc0 .LBB50_30
.LBB50_31:                              ;   in Loop: Header=BB50_4 Depth=1
	s_cbranch_execz .LBB50_54
	s_branch .LBB50_60
.LBB50_32:                              ;   in Loop: Header=BB50_4 Depth=1
                                        ; implicit-def: $vgpr13
.LBB50_33:                              ;   in Loop: Header=BB50_4 Depth=1
	s_waitcnt vmcnt(0)
	v_cmp_lt_i32_e32 vcc, 0, v15
	s_mov_b64 s[22:23], 0
	s_mov_b64 s[24:25], 0
	s_and_saveexec_b64 s[26:27], vcc
	s_xor_b64 s[26:27], exec, s[26:27]
	s_cbranch_execnz .LBB50_68
; %bb.34:                               ;   in Loop: Header=BB50_4 Depth=1
	s_andn2_saveexec_b64 s[26:27], s[26:27]
	s_cbranch_execnz .LBB50_69
.LBB50_35:                              ;   in Loop: Header=BB50_4 Depth=1
	s_or_b64 exec, exec, s[26:27]
	s_and_saveexec_b64 s[26:27], s[24:25]
	s_xor_b64 s[24:25], exec, s[26:27]
	s_cbranch_execnz .LBB50_70
.LBB50_36:                              ;   in Loop: Header=BB50_4 Depth=1
	s_or_b64 exec, exec, s[24:25]
	s_and_saveexec_b64 s[24:25], s[22:23]
.LBB50_37:                              ;   in Loop: Header=BB50_4 Depth=1
	v_mov_b32_e32 v15, s35
.LBB50_38:                              ;   in Loop: Header=BB50_4 Depth=1
	s_or_b64 exec, exec, s[24:25]
	v_mov_b32_e32 v13, v15
	s_and_b64 vcc, exec, s[2:3]
	s_cbranch_vccz .LBB50_18
.LBB50_39:                              ;   in Loop: Header=BB50_4 Depth=1
                                        ; implicit-def: $vgpr15
.LBB50_40:                              ;   in Loop: Header=BB50_4 Depth=1
	s_waitcnt vmcnt(0)
	v_cmp_lt_i32_e32 vcc, 0, v16
	s_mov_b64 s[22:23], 0
	s_mov_b64 s[24:25], 0
	s_and_saveexec_b64 s[26:27], vcc
	s_xor_b64 s[26:27], exec, s[26:27]
	s_cbranch_execnz .LBB50_71
; %bb.41:                               ;   in Loop: Header=BB50_4 Depth=1
	s_andn2_saveexec_b64 s[26:27], s[26:27]
	s_cbranch_execnz .LBB50_72
.LBB50_42:                              ;   in Loop: Header=BB50_4 Depth=1
	s_or_b64 exec, exec, s[26:27]
	s_and_saveexec_b64 s[26:27], s[24:25]
	s_xor_b64 s[24:25], exec, s[26:27]
	s_cbranch_execnz .LBB50_73
.LBB50_43:                              ;   in Loop: Header=BB50_4 Depth=1
	s_or_b64 exec, exec, s[24:25]
	s_and_saveexec_b64 s[24:25], s[22:23]
.LBB50_44:                              ;   in Loop: Header=BB50_4 Depth=1
	v_mov_b32_e32 v16, s35
.LBB50_45:                              ;   in Loop: Header=BB50_4 Depth=1
	s_or_b64 exec, exec, s[24:25]
	v_mov_b32_e32 v15, v16
	s_and_b64 vcc, exec, s[2:3]
	s_cbranch_vccz .LBB50_23
.LBB50_46:                              ;   in Loop: Header=BB50_4 Depth=1
                                        ; implicit-def: $vgpr16
.LBB50_47:                              ;   in Loop: Header=BB50_4 Depth=1
	s_waitcnt vmcnt(0)
	v_cmp_lt_i32_e32 vcc, 0, v14
	s_mov_b64 s[22:23], 0
	s_mov_b64 s[24:25], 0
	s_and_saveexec_b64 s[26:27], vcc
	s_xor_b64 s[26:27], exec, s[26:27]
	s_cbranch_execnz .LBB50_74
; %bb.48:                               ;   in Loop: Header=BB50_4 Depth=1
	s_andn2_saveexec_b64 s[26:27], s[26:27]
	s_cbranch_execnz .LBB50_75
.LBB50_49:                              ;   in Loop: Header=BB50_4 Depth=1
	s_or_b64 exec, exec, s[26:27]
	s_and_saveexec_b64 s[26:27], s[24:25]
	s_xor_b64 s[24:25], exec, s[26:27]
	s_cbranch_execnz .LBB50_76
.LBB50_50:                              ;   in Loop: Header=BB50_4 Depth=1
	s_or_b64 exec, exec, s[24:25]
	s_and_saveexec_b64 s[24:25], s[22:23]
.LBB50_51:                              ;   in Loop: Header=BB50_4 Depth=1
	v_mov_b32_e32 v14, s35
.LBB50_52:                              ;   in Loop: Header=BB50_4 Depth=1
	s_or_b64 exec, exec, s[24:25]
	v_mov_b32_e32 v16, v14
	s_and_b64 vcc, exec, s[2:3]
	s_cbranch_vccz .LBB50_28
.LBB50_53:                              ;   in Loop: Header=BB50_4 Depth=1
                                        ; implicit-def: $vgpr14
.LBB50_54:                              ;   in Loop: Header=BB50_4 Depth=1
	s_waitcnt vmcnt(0)
	v_cmp_lt_i32_e32 vcc, 0, v12
	s_mov_b64 s[22:23], 0
	s_mov_b64 s[24:25], 0
	s_and_saveexec_b64 s[26:27], vcc
	s_xor_b64 s[26:27], exec, s[26:27]
	s_cbranch_execnz .LBB50_77
; %bb.55:                               ;   in Loop: Header=BB50_4 Depth=1
	s_andn2_saveexec_b64 s[26:27], s[26:27]
	s_cbranch_execnz .LBB50_78
.LBB50_56:                              ;   in Loop: Header=BB50_4 Depth=1
	s_or_b64 exec, exec, s[26:27]
	s_and_saveexec_b64 s[26:27], s[24:25]
	s_xor_b64 s[24:25], exec, s[26:27]
	s_cbranch_execnz .LBB50_79
.LBB50_57:                              ;   in Loop: Header=BB50_4 Depth=1
	s_or_b64 exec, exec, s[24:25]
	s_and_saveexec_b64 s[24:25], s[22:23]
.LBB50_58:                              ;   in Loop: Header=BB50_4 Depth=1
	v_mov_b32_e32 v12, s35
.LBB50_59:                              ;   in Loop: Header=BB50_4 Depth=1
	s_or_b64 exec, exec, s[24:25]
	v_mov_b32_e32 v14, v12
.LBB50_60:                              ;   in Loop: Header=BB50_4 Depth=1
	s_and_saveexec_b64 s[22:23], s[6:7]
	s_xor_b64 s[6:7], exec, s[22:23]
	s_cbranch_execnz .LBB50_64
; %bb.61:                               ;   in Loop: Header=BB50_4 Depth=1
	s_or_b64 exec, exec, s[6:7]
	s_and_saveexec_b64 s[6:7], s[8:9]
	s_cbranch_execnz .LBB50_65
.LBB50_62:                              ;   in Loop: Header=BB50_4 Depth=1
	s_or_b64 exec, exec, s[6:7]
	s_and_saveexec_b64 s[6:7], s[10:11]
	s_cbranch_execnz .LBB50_66
.LBB50_63:                              ;   in Loop: Header=BB50_4 Depth=1
	s_or_b64 exec, exec, s[6:7]
	s_and_saveexec_b64 s[6:7], s[12:13]
	s_cbranch_execz .LBB50_3
	s_branch .LBB50_67
.LBB50_64:                              ;   in Loop: Header=BB50_4 Depth=1
	s_waitcnt vmcnt(0)
	v_mov_b32_e32 v12, s30
	v_add_co_u32_e32 v2, vcc, s29, v2
	v_addc_co_u32_e32 v3, vcc, v12, v3, vcc
	global_store_dword v[2:3], v13, off
	s_or_b64 exec, exec, s[6:7]
	s_and_saveexec_b64 s[6:7], s[8:9]
	s_cbranch_execz .LBB50_62
.LBB50_65:                              ;   in Loop: Header=BB50_4 Depth=1
	v_mov_b32_e32 v3, s30
	v_add_co_u32_e32 v2, vcc, s29, v4
	v_addc_co_u32_e32 v3, vcc, v3, v5, vcc
	s_waitcnt vmcnt(0)
	global_store_dword v[2:3], v15, off
	s_or_b64 exec, exec, s[6:7]
	s_and_saveexec_b64 s[6:7], s[10:11]
	s_cbranch_execz .LBB50_63
.LBB50_66:                              ;   in Loop: Header=BB50_4 Depth=1
	v_mov_b32_e32 v3, s30
	v_add_co_u32_e32 v2, vcc, s29, v6
	v_addc_co_u32_e32 v3, vcc, v3, v7, vcc
	s_waitcnt vmcnt(0)
	global_store_dword v[2:3], v16, off
	s_or_b64 exec, exec, s[6:7]
	s_and_saveexec_b64 s[6:7], s[12:13]
	s_cbranch_execz .LBB50_3
.LBB50_67:                              ;   in Loop: Header=BB50_4 Depth=1
	v_mov_b32_e32 v3, s30
	v_add_co_u32_e32 v2, vcc, s29, v8
	v_addc_co_u32_e32 v3, vcc, v3, v9, vcc
	s_waitcnt vmcnt(0)
	global_store_dword v[2:3], v14, off
	s_branch .LBB50_3
.LBB50_68:                              ;   in Loop: Header=BB50_4 Depth=1
	v_cmp_ne_u32_e32 vcc, 1, v15
	s_and_b64 s[24:25], vcc, exec
	s_andn2_saveexec_b64 s[26:27], s[26:27]
	s_cbranch_execz .LBB50_35
.LBB50_69:                              ;   in Loop: Header=BB50_4 Depth=1
	v_cmp_ne_u32_e32 vcc, -1, v15
	s_andn2_b64 s[24:25], s[24:25], exec
	s_and_b64 s[38:39], vcc, exec
	s_mov_b64 s[22:23], exec
	s_or_b64 s[24:25], s[24:25], s[38:39]
                                        ; implicit-def: $vgpr15
	s_or_b64 exec, exec, s[26:27]
	s_and_saveexec_b64 s[26:27], s[24:25]
	s_xor_b64 s[24:25], exec, s[26:27]
	s_cbranch_execz .LBB50_36
.LBB50_70:                              ;   in Loop: Header=BB50_4 Depth=1
	v_mov_b32_e32 v15, 0
	s_andn2_b64 s[22:23], s[22:23], exec
	s_or_b64 exec, exec, s[24:25]
	s_and_saveexec_b64 s[24:25], s[22:23]
	s_cbranch_execnz .LBB50_37
	s_branch .LBB50_38
.LBB50_71:                              ;   in Loop: Header=BB50_4 Depth=1
	v_cmp_ne_u32_e32 vcc, 1, v16
	s_and_b64 s[24:25], vcc, exec
	s_andn2_saveexec_b64 s[26:27], s[26:27]
	s_cbranch_execz .LBB50_42
.LBB50_72:                              ;   in Loop: Header=BB50_4 Depth=1
	v_cmp_ne_u32_e32 vcc, -1, v16
	s_andn2_b64 s[24:25], s[24:25], exec
	s_and_b64 s[38:39], vcc, exec
	s_mov_b64 s[22:23], exec
	s_or_b64 s[24:25], s[24:25], s[38:39]
                                        ; implicit-def: $vgpr16
	s_or_b64 exec, exec, s[26:27]
	s_and_saveexec_b64 s[26:27], s[24:25]
	s_xor_b64 s[24:25], exec, s[26:27]
	s_cbranch_execz .LBB50_43
.LBB50_73:                              ;   in Loop: Header=BB50_4 Depth=1
	v_mov_b32_e32 v16, 0
	s_andn2_b64 s[22:23], s[22:23], exec
	s_or_b64 exec, exec, s[24:25]
	s_and_saveexec_b64 s[24:25], s[22:23]
	s_cbranch_execnz .LBB50_44
	s_branch .LBB50_45
.LBB50_74:                              ;   in Loop: Header=BB50_4 Depth=1
	v_cmp_ne_u32_e32 vcc, 1, v14
	s_and_b64 s[24:25], vcc, exec
	s_andn2_saveexec_b64 s[26:27], s[26:27]
	s_cbranch_execz .LBB50_49
.LBB50_75:                              ;   in Loop: Header=BB50_4 Depth=1
	v_cmp_ne_u32_e32 vcc, -1, v14
	s_andn2_b64 s[24:25], s[24:25], exec
	s_and_b64 s[38:39], vcc, exec
	s_mov_b64 s[22:23], exec
	s_or_b64 s[24:25], s[24:25], s[38:39]
                                        ; implicit-def: $vgpr14
	s_or_b64 exec, exec, s[26:27]
	s_and_saveexec_b64 s[26:27], s[24:25]
	s_xor_b64 s[24:25], exec, s[26:27]
	s_cbranch_execz .LBB50_50
.LBB50_76:                              ;   in Loop: Header=BB50_4 Depth=1
	v_mov_b32_e32 v14, 0
	s_andn2_b64 s[22:23], s[22:23], exec
	s_or_b64 exec, exec, s[24:25]
	s_and_saveexec_b64 s[24:25], s[22:23]
	s_cbranch_execnz .LBB50_51
	s_branch .LBB50_52
.LBB50_77:                              ;   in Loop: Header=BB50_4 Depth=1
	v_cmp_ne_u32_e32 vcc, 1, v12
	s_and_b64 s[24:25], vcc, exec
	s_andn2_saveexec_b64 s[26:27], s[26:27]
	s_cbranch_execz .LBB50_56
.LBB50_78:                              ;   in Loop: Header=BB50_4 Depth=1
	v_cmp_ne_u32_e32 vcc, -1, v12
	s_andn2_b64 s[24:25], s[24:25], exec
	s_and_b64 s[38:39], vcc, exec
	s_mov_b64 s[22:23], exec
	s_or_b64 s[24:25], s[24:25], s[38:39]
                                        ; implicit-def: $vgpr12
	s_or_b64 exec, exec, s[26:27]
	s_and_saveexec_b64 s[26:27], s[24:25]
	s_xor_b64 s[24:25], exec, s[26:27]
	s_cbranch_execz .LBB50_57
.LBB50_79:                              ;   in Loop: Header=BB50_4 Depth=1
	v_mov_b32_e32 v12, 0
	s_andn2_b64 s[22:23], s[22:23], exec
	s_or_b64 exec, exec, s[24:25]
	s_and_saveexec_b64 s[24:25], s[22:23]
	s_cbranch_execnz .LBB50_58
	s_branch .LBB50_59
.LBB50_80:
	s_cbranch_execz .LBB50_82
	s_branch .LBB50_145
.LBB50_81:
.LBB50_82:
	v_mov_b32_e32 v3, 0
	v_lshlrev_b32_e32 v2, 2, v0
	s_mov_b32 s18, 0
	v_cmp_gt_i64_e32 vcc, s[14:15], v[2:3]
	s_and_saveexec_b64 s[0:1], vcc
	s_cbranch_execz .LBB50_145
; %bb.83:
	s_load_dword s2, s[4:5], 0xd3c
	s_cmp_gt_i32 s28, -1
	s_cselect_b64 s[6:7], -1, 0
	s_cmp_lg_u32 s28, 0
	s_cselect_b64 s[0:1], -1, 0
	v_mov_b32_e32 v1, v3
	s_bitcmp0_b32 s28, 0
	v_cndmask_b32_e64 v2, 0, 1, s[0:1]
	v_cndmask_b32_e64 v3, 0, 1, s[6:7]
	s_cselect_b32 s19, 1, -1
	s_waitcnt lgkmcnt(0)
	s_and_b32 s20, s2, 0xffff
	s_mov_b64 s[8:9], 0
	s_waitcnt vmcnt(0)
	v_mov_b32_e32 v12, s30
	v_cmp_ne_u32_e64 s[0:1], 1, v3
	s_mov_b64 s[10:11], 0xffff
	v_cmp_ne_u32_e64 s[2:3], 1, v2
	s_branch .LBB50_86
.LBB50_84:                              ;   in Loop: Header=BB50_86 Depth=1
	s_or_b64 exec, exec, s[12:13]
	v_mov_b32_e32 v9, v5
.LBB50_85:                              ;   in Loop: Header=BB50_86 Depth=1
	s_waitcnt vmcnt(0)
	v_mov_b32_e32 v2, s18
	v_add_co_u32_e32 v0, vcc, s20, v0
	v_addc_co_u32_e32 v1, vcc, v1, v2, vcc
	v_lshlrev_b64 v[2:3], 2, v[0:1]
	v_cmp_le_i64_e32 vcc, s[14:15], v[2:3]
	v_cmp_lt_u64_e64 s[4:5], s[10:11], v[2:3]
	s_or_b64 s[4:5], vcc, s[4:5]
	s_and_b64 s[4:5], exec, s[4:5]
	s_or_b64 s[8:9], s[4:5], s[8:9]
	global_store_dwordx4 v[10:11], v[6:9], off
	s_andn2_b64 exec, exec, s[8:9]
	s_cbranch_execz .LBB50_145
.LBB50_86:                              ; =>This Loop Header: Depth=1
                                        ;     Child Loop BB50_89 Depth 2
                                        ;     Child Loop BB50_94 Depth 2
	;; [unrolled: 1-line block ×4, first 2 shown]
	v_lshlrev_b64 v[2:3], 4, v[0:1]
	v_add_co_u32_e32 v10, vcc, s29, v2
	v_addc_co_u32_e32 v11, vcc, v12, v3, vcc
	global_load_dwordx4 v[2:5], v[10:11], off
	s_and_b64 vcc, exec, s[6:7]
	s_cbranch_vccz .LBB50_106
; %bb.87:                               ;   in Loop: Header=BB50_86 Depth=1
	s_and_b64 vcc, exec, s[2:3]
	v_mov_b32_e32 v6, 1
	s_cbranch_vccnz .LBB50_90
; %bb.88:                               ;   in Loop: Header=BB50_86 Depth=1
	v_mov_b32_e32 v6, 1
	s_mov_b32 s4, s28
	s_waitcnt vmcnt(0)
	v_mov_b32_e32 v7, v2
.LBB50_89:                              ;   Parent Loop BB50_86 Depth=1
                                        ; =>  This Inner Loop Header: Depth=2
	s_bitcmp1_b32 s4, 0
	s_cselect_b64 vcc, -1, 0
	v_cndmask_b32_e32 v8, 1, v7, vcc
	s_lshr_b32 s5, s4, 1
	v_mul_lo_u32 v6, v8, v6
	v_mul_lo_u32 v7, v7, v7
	s_cmp_gt_u32 s4, 1
	s_mov_b32 s4, s5
	s_cbranch_scc1 .LBB50_89
.LBB50_90:                              ;   in Loop: Header=BB50_86 Depth=1
	s_cbranch_execz .LBB50_107
; %bb.91:                               ;   in Loop: Header=BB50_86 Depth=1
	s_and_b64 vcc, exec, s[0:1]
	s_cbranch_vccnz .LBB50_113
.LBB50_92:                              ;   in Loop: Header=BB50_86 Depth=1
	s_and_b64 vcc, exec, s[2:3]
	v_mov_b32_e32 v7, 1
	s_cbranch_vccnz .LBB50_95
; %bb.93:                               ;   in Loop: Header=BB50_86 Depth=1
	v_mov_b32_e32 v7, 1
	s_mov_b32 s4, s28
	s_waitcnt vmcnt(0)
	v_mov_b32_e32 v2, v3
.LBB50_94:                              ;   Parent Loop BB50_86 Depth=1
                                        ; =>  This Inner Loop Header: Depth=2
	s_bitcmp1_b32 s4, 0
	s_cselect_b64 vcc, -1, 0
	v_cndmask_b32_e32 v8, 1, v2, vcc
	s_lshr_b32 s5, s4, 1
	v_mul_lo_u32 v7, v8, v7
	v_mul_lo_u32 v2, v2, v2
	s_cmp_lt_u32 s4, 2
	s_mov_b32 s4, s5
	s_cbranch_scc0 .LBB50_94
.LBB50_95:                              ;   in Loop: Header=BB50_86 Depth=1
	s_cbranch_execz .LBB50_114
; %bb.96:                               ;   in Loop: Header=BB50_86 Depth=1
	s_and_b64 vcc, exec, s[0:1]
	s_cbranch_vccnz .LBB50_120
.LBB50_97:                              ;   in Loop: Header=BB50_86 Depth=1
	s_and_b64 vcc, exec, s[2:3]
	v_mov_b32_e32 v8, 1
	s_cbranch_vccnz .LBB50_100
; %bb.98:                               ;   in Loop: Header=BB50_86 Depth=1
	v_mov_b32_e32 v8, 1
	s_mov_b32 s4, s28
	s_waitcnt vmcnt(0)
	v_mov_b32_e32 v2, v4
.LBB50_99:                              ;   Parent Loop BB50_86 Depth=1
                                        ; =>  This Inner Loop Header: Depth=2
	s_bitcmp1_b32 s4, 0
	s_cselect_b64 vcc, -1, 0
	v_cndmask_b32_e32 v3, 1, v2, vcc
	s_lshr_b32 s5, s4, 1
	v_mul_lo_u32 v8, v3, v8
	v_mul_lo_u32 v2, v2, v2
	s_cmp_lt_u32 s4, 2
	s_mov_b32 s4, s5
	s_cbranch_scc0 .LBB50_99
.LBB50_100:                             ;   in Loop: Header=BB50_86 Depth=1
	s_cbranch_execz .LBB50_121
; %bb.101:                              ;   in Loop: Header=BB50_86 Depth=1
	s_and_b64 vcc, exec, s[0:1]
	s_cbranch_vccnz .LBB50_127
.LBB50_102:                             ;   in Loop: Header=BB50_86 Depth=1
	s_and_b64 vcc, exec, s[2:3]
	v_mov_b32_e32 v9, 1
	s_cbranch_vccnz .LBB50_105
; %bb.103:                              ;   in Loop: Header=BB50_86 Depth=1
	v_mov_b32_e32 v9, 1
	s_mov_b32 s4, s28
	s_waitcnt vmcnt(0)
	v_mov_b32_e32 v2, v5
.LBB50_104:                             ;   Parent Loop BB50_86 Depth=1
                                        ; =>  This Inner Loop Header: Depth=2
	s_bitcmp1_b32 s4, 0
	s_cselect_b64 vcc, -1, 0
	v_cndmask_b32_e32 v3, 1, v2, vcc
	s_lshr_b32 s5, s4, 1
	v_mul_lo_u32 v9, v3, v9
	v_mul_lo_u32 v2, v2, v2
	s_cmp_lt_u32 s4, 2
	s_mov_b32 s4, s5
	s_cbranch_scc0 .LBB50_104
.LBB50_105:                             ;   in Loop: Header=BB50_86 Depth=1
	s_cbranch_execnz .LBB50_85
	s_branch .LBB50_128
.LBB50_106:                             ;   in Loop: Header=BB50_86 Depth=1
                                        ; implicit-def: $vgpr6
.LBB50_107:                             ;   in Loop: Header=BB50_86 Depth=1
	s_waitcnt vmcnt(0)
	v_cmp_lt_i32_e32 vcc, 0, v2
	s_mov_b64 s[4:5], 0
	s_mov_b64 s[12:13], 0
	s_and_saveexec_b64 s[16:17], vcc
	s_xor_b64 s[16:17], exec, s[16:17]
	s_cbranch_execnz .LBB50_132
; %bb.108:                              ;   in Loop: Header=BB50_86 Depth=1
	s_andn2_saveexec_b64 s[16:17], s[16:17]
	s_cbranch_execnz .LBB50_133
.LBB50_109:                             ;   in Loop: Header=BB50_86 Depth=1
	s_or_b64 exec, exec, s[16:17]
	s_and_saveexec_b64 s[16:17], s[12:13]
	s_xor_b64 s[12:13], exec, s[16:17]
	s_cbranch_execnz .LBB50_134
.LBB50_110:                             ;   in Loop: Header=BB50_86 Depth=1
	s_or_b64 exec, exec, s[12:13]
	s_and_saveexec_b64 s[12:13], s[4:5]
.LBB50_111:                             ;   in Loop: Header=BB50_86 Depth=1
	v_mov_b32_e32 v2, s19
.LBB50_112:                             ;   in Loop: Header=BB50_86 Depth=1
	s_or_b64 exec, exec, s[12:13]
	v_mov_b32_e32 v6, v2
	s_and_b64 vcc, exec, s[0:1]
	s_cbranch_vccz .LBB50_92
.LBB50_113:                             ;   in Loop: Header=BB50_86 Depth=1
.LBB50_114:                             ;   in Loop: Header=BB50_86 Depth=1
	s_waitcnt vmcnt(0)
	v_cmp_lt_i32_e32 vcc, 0, v3
	s_mov_b64 s[4:5], 0
	s_mov_b64 s[12:13], 0
	s_and_saveexec_b64 s[16:17], vcc
	s_xor_b64 s[16:17], exec, s[16:17]
	s_cbranch_execnz .LBB50_135
; %bb.115:                              ;   in Loop: Header=BB50_86 Depth=1
	s_andn2_saveexec_b64 s[16:17], s[16:17]
	s_cbranch_execnz .LBB50_136
.LBB50_116:                             ;   in Loop: Header=BB50_86 Depth=1
	s_or_b64 exec, exec, s[16:17]
	s_and_saveexec_b64 s[16:17], s[12:13]
	s_xor_b64 s[12:13], exec, s[16:17]
	s_cbranch_execnz .LBB50_137
.LBB50_117:                             ;   in Loop: Header=BB50_86 Depth=1
	s_or_b64 exec, exec, s[12:13]
	s_and_saveexec_b64 s[12:13], s[4:5]
.LBB50_118:                             ;   in Loop: Header=BB50_86 Depth=1
	v_mov_b32_e32 v3, s19
.LBB50_119:                             ;   in Loop: Header=BB50_86 Depth=1
	s_or_b64 exec, exec, s[12:13]
	v_mov_b32_e32 v7, v3
	s_and_b64 vcc, exec, s[0:1]
	s_cbranch_vccz .LBB50_97
.LBB50_120:                             ;   in Loop: Header=BB50_86 Depth=1
.LBB50_121:                             ;   in Loop: Header=BB50_86 Depth=1
	s_waitcnt vmcnt(0)
	v_cmp_lt_i32_e32 vcc, 0, v4
	s_mov_b64 s[4:5], 0
	s_mov_b64 s[12:13], 0
	s_and_saveexec_b64 s[16:17], vcc
	s_xor_b64 s[16:17], exec, s[16:17]
	s_cbranch_execnz .LBB50_138
; %bb.122:                              ;   in Loop: Header=BB50_86 Depth=1
	s_andn2_saveexec_b64 s[16:17], s[16:17]
	s_cbranch_execnz .LBB50_139
.LBB50_123:                             ;   in Loop: Header=BB50_86 Depth=1
	s_or_b64 exec, exec, s[16:17]
	s_and_saveexec_b64 s[16:17], s[12:13]
	s_xor_b64 s[12:13], exec, s[16:17]
	s_cbranch_execnz .LBB50_140
.LBB50_124:                             ;   in Loop: Header=BB50_86 Depth=1
	s_or_b64 exec, exec, s[12:13]
	s_and_saveexec_b64 s[12:13], s[4:5]
.LBB50_125:                             ;   in Loop: Header=BB50_86 Depth=1
	v_mov_b32_e32 v4, s19
.LBB50_126:                             ;   in Loop: Header=BB50_86 Depth=1
	s_or_b64 exec, exec, s[12:13]
	v_mov_b32_e32 v8, v4
	s_and_b64 vcc, exec, s[0:1]
	s_cbranch_vccz .LBB50_102
.LBB50_127:                             ;   in Loop: Header=BB50_86 Depth=1
.LBB50_128:                             ;   in Loop: Header=BB50_86 Depth=1
	s_waitcnt vmcnt(0)
	v_cmp_lt_i32_e32 vcc, 0, v5
	s_mov_b64 s[4:5], 0
	s_mov_b64 s[12:13], 0
	s_and_saveexec_b64 s[16:17], vcc
	s_xor_b64 s[16:17], exec, s[16:17]
	s_cbranch_execnz .LBB50_141
; %bb.129:                              ;   in Loop: Header=BB50_86 Depth=1
	s_andn2_saveexec_b64 s[16:17], s[16:17]
	s_cbranch_execnz .LBB50_142
.LBB50_130:                             ;   in Loop: Header=BB50_86 Depth=1
	s_or_b64 exec, exec, s[16:17]
	s_and_saveexec_b64 s[16:17], s[12:13]
	s_xor_b64 s[12:13], exec, s[16:17]
	s_cbranch_execnz .LBB50_143
.LBB50_131:                             ;   in Loop: Header=BB50_86 Depth=1
	s_or_b64 exec, exec, s[12:13]
	s_and_saveexec_b64 s[12:13], s[4:5]
	s_cbranch_execz .LBB50_84
	s_branch .LBB50_144
.LBB50_132:                             ;   in Loop: Header=BB50_86 Depth=1
	v_cmp_ne_u32_e32 vcc, 1, v2
	s_and_b64 s[12:13], vcc, exec
	s_andn2_saveexec_b64 s[16:17], s[16:17]
	s_cbranch_execz .LBB50_109
.LBB50_133:                             ;   in Loop: Header=BB50_86 Depth=1
	v_cmp_ne_u32_e32 vcc, -1, v2
	s_andn2_b64 s[12:13], s[12:13], exec
	s_and_b64 s[22:23], vcc, exec
	s_mov_b64 s[4:5], exec
	s_or_b64 s[12:13], s[12:13], s[22:23]
	s_or_b64 exec, exec, s[16:17]
	s_and_saveexec_b64 s[16:17], s[12:13]
	s_xor_b64 s[12:13], exec, s[16:17]
	s_cbranch_execz .LBB50_110
.LBB50_134:                             ;   in Loop: Header=BB50_86 Depth=1
	v_mov_b32_e32 v2, 0
	s_andn2_b64 s[4:5], s[4:5], exec
	s_or_b64 exec, exec, s[12:13]
	s_and_saveexec_b64 s[12:13], s[4:5]
	s_cbranch_execnz .LBB50_111
	s_branch .LBB50_112
.LBB50_135:                             ;   in Loop: Header=BB50_86 Depth=1
	v_cmp_ne_u32_e32 vcc, 1, v3
	s_and_b64 s[12:13], vcc, exec
	s_andn2_saveexec_b64 s[16:17], s[16:17]
	s_cbranch_execz .LBB50_116
.LBB50_136:                             ;   in Loop: Header=BB50_86 Depth=1
	v_cmp_ne_u32_e32 vcc, -1, v3
	s_andn2_b64 s[12:13], s[12:13], exec
	s_and_b64 s[22:23], vcc, exec
	s_mov_b64 s[4:5], exec
	s_or_b64 s[12:13], s[12:13], s[22:23]
	s_or_b64 exec, exec, s[16:17]
	s_and_saveexec_b64 s[16:17], s[12:13]
	s_xor_b64 s[12:13], exec, s[16:17]
	s_cbranch_execz .LBB50_117
.LBB50_137:                             ;   in Loop: Header=BB50_86 Depth=1
	v_mov_b32_e32 v3, 0
	s_andn2_b64 s[4:5], s[4:5], exec
	s_or_b64 exec, exec, s[12:13]
	s_and_saveexec_b64 s[12:13], s[4:5]
	s_cbranch_execnz .LBB50_118
	s_branch .LBB50_119
.LBB50_138:                             ;   in Loop: Header=BB50_86 Depth=1
	v_cmp_ne_u32_e32 vcc, 1, v4
	s_and_b64 s[12:13], vcc, exec
	s_andn2_saveexec_b64 s[16:17], s[16:17]
	s_cbranch_execz .LBB50_123
.LBB50_139:                             ;   in Loop: Header=BB50_86 Depth=1
	v_cmp_ne_u32_e32 vcc, -1, v4
	s_andn2_b64 s[12:13], s[12:13], exec
	s_and_b64 s[22:23], vcc, exec
	s_mov_b64 s[4:5], exec
	s_or_b64 s[12:13], s[12:13], s[22:23]
	s_or_b64 exec, exec, s[16:17]
	s_and_saveexec_b64 s[16:17], s[12:13]
	s_xor_b64 s[12:13], exec, s[16:17]
	s_cbranch_execz .LBB50_124
.LBB50_140:                             ;   in Loop: Header=BB50_86 Depth=1
	v_mov_b32_e32 v4, 0
	s_andn2_b64 s[4:5], s[4:5], exec
	s_or_b64 exec, exec, s[12:13]
	s_and_saveexec_b64 s[12:13], s[4:5]
	s_cbranch_execnz .LBB50_125
	s_branch .LBB50_126
.LBB50_141:                             ;   in Loop: Header=BB50_86 Depth=1
	v_cmp_ne_u32_e32 vcc, 1, v5
	s_and_b64 s[12:13], vcc, exec
	s_andn2_saveexec_b64 s[16:17], s[16:17]
	s_cbranch_execz .LBB50_130
.LBB50_142:                             ;   in Loop: Header=BB50_86 Depth=1
	v_cmp_ne_u32_e32 vcc, -1, v5
	s_andn2_b64 s[12:13], s[12:13], exec
	s_and_b64 s[22:23], vcc, exec
	s_mov_b64 s[4:5], exec
	s_or_b64 s[12:13], s[12:13], s[22:23]
                                        ; implicit-def: $vgpr5
	s_or_b64 exec, exec, s[16:17]
	s_and_saveexec_b64 s[16:17], s[12:13]
	s_xor_b64 s[12:13], exec, s[16:17]
	s_cbranch_execz .LBB50_131
.LBB50_143:                             ;   in Loop: Header=BB50_86 Depth=1
	v_mov_b32_e32 v5, 0
	s_andn2_b64 s[4:5], s[4:5], exec
	s_or_b64 exec, exec, s[12:13]
	s_and_saveexec_b64 s[12:13], s[4:5]
	s_cbranch_execz .LBB50_84
.LBB50_144:                             ;   in Loop: Header=BB50_86 Depth=1
	v_mov_b32_e32 v5, s19
	s_branch .LBB50_84
.LBB50_145:
	s_endpgm
	.section	.rodata,"a",@progbits
	.p2align	6, 0x0
	.amdhsa_kernel _ZN2at6native12_GLOBAL__N_125multi_tensor_apply_kernelINS1_18TensorListMetadataILi1EEENS1_21BinaryOpScalarFunctorIiLi1ELi1ELi0EEEJNS1_13power_functorIiEEiEEEvT_T0_DpT1_
		.amdhsa_group_segment_fixed_size 0
		.amdhsa_private_segment_fixed_size 0
		.amdhsa_kernarg_size 3632
		.amdhsa_user_sgpr_count 6
		.amdhsa_user_sgpr_private_segment_buffer 1
		.amdhsa_user_sgpr_dispatch_ptr 0
		.amdhsa_user_sgpr_queue_ptr 0
		.amdhsa_user_sgpr_kernarg_segment_ptr 1
		.amdhsa_user_sgpr_dispatch_id 0
		.amdhsa_user_sgpr_flat_scratch_init 0
		.amdhsa_user_sgpr_kernarg_preload_length 0
		.amdhsa_user_sgpr_kernarg_preload_offset 0
		.amdhsa_user_sgpr_private_segment_size 0
		.amdhsa_uses_dynamic_stack 0
		.amdhsa_system_sgpr_private_segment_wavefront_offset 0
		.amdhsa_system_sgpr_workgroup_id_x 1
		.amdhsa_system_sgpr_workgroup_id_y 0
		.amdhsa_system_sgpr_workgroup_id_z 0
		.amdhsa_system_sgpr_workgroup_info 0
		.amdhsa_system_vgpr_workitem_id 0
		.amdhsa_next_free_vgpr 20
		.amdhsa_next_free_sgpr 40
		.amdhsa_accum_offset 20
		.amdhsa_reserve_vcc 1
		.amdhsa_reserve_flat_scratch 0
		.amdhsa_float_round_mode_32 0
		.amdhsa_float_round_mode_16_64 0
		.amdhsa_float_denorm_mode_32 3
		.amdhsa_float_denorm_mode_16_64 3
		.amdhsa_dx10_clamp 1
		.amdhsa_ieee_mode 1
		.amdhsa_fp16_overflow 0
		.amdhsa_tg_split 0
		.amdhsa_exception_fp_ieee_invalid_op 0
		.amdhsa_exception_fp_denorm_src 0
		.amdhsa_exception_fp_ieee_div_zero 0
		.amdhsa_exception_fp_ieee_overflow 0
		.amdhsa_exception_fp_ieee_underflow 0
		.amdhsa_exception_fp_ieee_inexact 0
		.amdhsa_exception_int_div_zero 0
	.end_amdhsa_kernel
	.section	.text._ZN2at6native12_GLOBAL__N_125multi_tensor_apply_kernelINS1_18TensorListMetadataILi1EEENS1_21BinaryOpScalarFunctorIiLi1ELi1ELi0EEEJNS1_13power_functorIiEEiEEEvT_T0_DpT1_,"axG",@progbits,_ZN2at6native12_GLOBAL__N_125multi_tensor_apply_kernelINS1_18TensorListMetadataILi1EEENS1_21BinaryOpScalarFunctorIiLi1ELi1ELi0EEEJNS1_13power_functorIiEEiEEEvT_T0_DpT1_,comdat
.Lfunc_end50:
	.size	_ZN2at6native12_GLOBAL__N_125multi_tensor_apply_kernelINS1_18TensorListMetadataILi1EEENS1_21BinaryOpScalarFunctorIiLi1ELi1ELi0EEEJNS1_13power_functorIiEEiEEEvT_T0_DpT1_, .Lfunc_end50-_ZN2at6native12_GLOBAL__N_125multi_tensor_apply_kernelINS1_18TensorListMetadataILi1EEENS1_21BinaryOpScalarFunctorIiLi1ELi1ELi0EEEJNS1_13power_functorIiEEiEEEvT_T0_DpT1_
                                        ; -- End function
	.section	.AMDGPU.csdata,"",@progbits
; Kernel info:
; codeLenInByte = 2940
; NumSgprs: 44
; NumVgprs: 20
; NumAgprs: 0
; TotalNumVgprs: 20
; ScratchSize: 0
; MemoryBound: 1
; FloatMode: 240
; IeeeMode: 1
; LDSByteSize: 0 bytes/workgroup (compile time only)
; SGPRBlocks: 5
; VGPRBlocks: 2
; NumSGPRsForWavesPerEU: 44
; NumVGPRsForWavesPerEU: 20
; AccumOffset: 20
; Occupancy: 8
; WaveLimiterHint : 0
; COMPUTE_PGM_RSRC2:SCRATCH_EN: 0
; COMPUTE_PGM_RSRC2:USER_SGPR: 6
; COMPUTE_PGM_RSRC2:TRAP_HANDLER: 0
; COMPUTE_PGM_RSRC2:TGID_X_EN: 1
; COMPUTE_PGM_RSRC2:TGID_Y_EN: 0
; COMPUTE_PGM_RSRC2:TGID_Z_EN: 0
; COMPUTE_PGM_RSRC2:TIDIG_COMP_CNT: 0
; COMPUTE_PGM_RSRC3_GFX90A:ACCUM_OFFSET: 4
; COMPUTE_PGM_RSRC3_GFX90A:TG_SPLIT: 0
	.section	.text._ZN2at6native12_GLOBAL__N_125multi_tensor_apply_kernelINS1_18TensorListMetadataILi1EEENS1_21BinaryOpScalarFunctorIlLi1ELi1ELi0EEEJNS1_13power_functorIlEElEEEvT_T0_DpT1_,"axG",@progbits,_ZN2at6native12_GLOBAL__N_125multi_tensor_apply_kernelINS1_18TensorListMetadataILi1EEENS1_21BinaryOpScalarFunctorIlLi1ELi1ELi0EEEJNS1_13power_functorIlEElEEEvT_T0_DpT1_,comdat
	.globl	_ZN2at6native12_GLOBAL__N_125multi_tensor_apply_kernelINS1_18TensorListMetadataILi1EEENS1_21BinaryOpScalarFunctorIlLi1ELi1ELi0EEEJNS1_13power_functorIlEElEEEvT_T0_DpT1_ ; -- Begin function _ZN2at6native12_GLOBAL__N_125multi_tensor_apply_kernelINS1_18TensorListMetadataILi1EEENS1_21BinaryOpScalarFunctorIlLi1ELi1ELi0EEEJNS1_13power_functorIlEElEEEvT_T0_DpT1_
	.p2align	8
	.type	_ZN2at6native12_GLOBAL__N_125multi_tensor_apply_kernelINS1_18TensorListMetadataILi1EEENS1_21BinaryOpScalarFunctorIlLi1ELi1ELi0EEEJNS1_13power_functorIlEElEEEvT_T0_DpT1_,@function
_ZN2at6native12_GLOBAL__N_125multi_tensor_apply_kernelINS1_18TensorListMetadataILi1EEENS1_21BinaryOpScalarFunctorIlLi1ELi1ELi0EEEJNS1_13power_functorIlEElEEEvT_T0_DpT1_: ; @_ZN2at6native12_GLOBAL__N_125multi_tensor_apply_kernelINS1_18TensorListMetadataILi1EEENS1_21BinaryOpScalarFunctorIlLi1ELi1ELi0EEEJNS1_13power_functorIlEElEEEvT_T0_DpT1_
; %bb.0:
	v_mov_b32_e32 v1, s6
	global_load_ubyte v1, v1, s[4:5] offset:1760
	s_add_u32 s0, s4, s6
	s_mul_hi_u32 s1, s6, 3
	s_mul_i32 s6, s6, 3
	s_addc_u32 s2, s5, 0
	s_add_u32 s0, s0, s6
	s_addc_u32 s1, s2, s1
	s_load_dword s0, s[0:1], 0x820
	s_mov_b32 s9, 0
	s_waitcnt vmcnt(0)
	v_readfirstlane_b32 s1, v1
	s_lshl_b32 s1, s1, 3
	s_load_dwordx2 s[2:3], s[4:5], s1 offset:0x0
	s_load_dwordx2 s[16:17], s[4:5], 0xd30
	s_load_dwordx2 s[6:7], s[4:5], s1 offset:0x370
	s_waitcnt lgkmcnt(0)
	s_ashr_i32 s1, s0, 31
	s_lshl_b64 s[10:11], s[0:1], 19
	s_add_u32 s33, s2, s10
	s_addc_u32 s34, s3, s11
	s_and_b32 s8, s33, 31
	s_lshl_b64 s[0:1], s[0:1], 16
	s_sub_u32 s18, s6, s0
	s_subb_u32 s19, s7, s1
	s_and_b32 s0, s6, 3
	s_mov_b32 s1, s9
	s_or_b64 s[0:1], s[8:9], s[0:1]
	s_cmp_eq_u64 s[0:1], 0
	s_cbranch_scc1 .LBB51_81
; %bb.1:
	v_cmp_lt_i64_e64 s[0:1], s[18:19], 1
	s_and_b64 vcc, exec, s[0:1]
	s_cbranch_vccnz .LBB51_80
; %bb.2:
	s_load_dword s0, s[4:5], 0xd44
	v_mov_b32_e32 v2, 0x10000
	v_mov_b32_e32 v3, 0
	v_cmp_lt_u64_e32 vcc, s[18:19], v[2:3]
	s_mov_b32 s6, 0
	s_waitcnt lgkmcnt(0)
	s_and_b32 s35, s0, 0xffff
	s_and_b64 s[0:1], vcc, exec
	s_cselect_b32 s21, s19, 0
	s_cselect_b32 s20, s18, 0x10000
	s_lshl_b32 s36, s35, 1
	s_cmp_lg_u64 s[16:17], 0
	s_cselect_b64 s[0:1], -1, 0
	s_and_b32 s2, s16, 1
	s_mov_b32 s3, s6
	s_cmp_eq_u64 s[2:3], 0
	v_cndmask_b32_e64 v2, 0, 1, s[0:1]
	s_mul_i32 s37, s35, 3
	v_cmp_gt_i64_e64 s[22:23], s[16:17], -1
	s_mov_b64 s[24:25], 0
	s_cselect_b32 s27, 0, -1
	s_cselect_b32 s26, 1, -1
	s_lshl_b32 s38, s35, 2
	v_mov_b32_e32 v1, s6
	v_mov_b32_e32 v22, s6
	v_mov_b32_e32 v23, s6
	v_cmp_ne_u32_e64 s[0:1], 1, v2
	s_branch .LBB51_4
.LBB51_3:                               ;   in Loop: Header=BB51_4 Depth=1
	s_or_b64 exec, exec, s[2:3]
	s_add_u32 s24, s24, s38
	s_addc_u32 s25, s25, 0
	v_pk_mov_b32 v[2:3], s[18:19], s[18:19] op_sel:[0,1]
	v_cmp_ge_i64_e32 vcc, s[24:25], v[2:3]
	v_mov_b32_e32 v2, 0xffff
	v_mov_b32_e32 v3, 0
	v_cmp_gt_u64_e64 s[2:3], s[24:25], v[2:3]
	s_or_b64 s[2:3], vcc, s[2:3]
	s_and_b64 vcc, exec, s[2:3]
	s_cbranch_vccnz .LBB51_80
.LBB51_4:                               ; =>This Loop Header: Depth=1
                                        ;     Child Loop BB51_15 Depth 2
                                        ;     Child Loop BB51_20 Depth 2
	;; [unrolled: 1-line block ×4, first 2 shown]
	v_mov_b32_e32 v2, s25
	v_add_co_u32_e32 v8, vcc, s24, v0
	v_addc_co_u32_e32 v9, vcc, 0, v2, vcc
	v_pk_mov_b32 v[18:19], 0, 0
	v_cmp_gt_u64_e64 s[2:3], s[20:21], v[8:9]
	v_lshlrev_b64 v[2:3], 3, v[8:9]
	v_pk_mov_b32 v[16:17], v[18:19], v[18:19] op_sel:[0,1]
	s_and_saveexec_b64 s[6:7], s[2:3]
	s_cbranch_execz .LBB51_6
; %bb.5:                                ;   in Loop: Header=BB51_4 Depth=1
	v_mov_b32_e32 v5, s34
	v_add_co_u32_e32 v4, vcc, s33, v2
	v_addc_co_u32_e32 v5, vcc, v5, v3, vcc
	global_load_dwordx2 v[16:17], v[4:5], off
.LBB51_6:                               ;   in Loop: Header=BB51_4 Depth=1
	s_or_b64 exec, exec, s[6:7]
	v_add_co_u32_e32 v4, vcc, s35, v8
	v_addc_co_u32_e32 v5, vcc, v9, v1, vcc
	v_cmp_gt_u64_e64 s[6:7], s[20:21], v[4:5]
	v_lshlrev_b64 v[4:5], 3, v[4:5]
	s_and_saveexec_b64 s[8:9], s[6:7]
	s_cbranch_execz .LBB51_8
; %bb.7:                                ;   in Loop: Header=BB51_4 Depth=1
	v_mov_b32_e32 v7, s34
	v_add_co_u32_e32 v6, vcc, s33, v4
	v_addc_co_u32_e32 v7, vcc, v7, v5, vcc
	global_load_dwordx2 v[18:19], v[6:7], off
.LBB51_8:                               ;   in Loop: Header=BB51_4 Depth=1
	s_or_b64 exec, exec, s[8:9]
	v_add_co_u32_e32 v6, vcc, s36, v8
	v_addc_co_u32_e32 v7, vcc, v9, v22, vcc
	v_pk_mov_b32 v[10:11], 0, 0
	v_cmp_gt_u64_e64 s[8:9], s[20:21], v[6:7]
	v_lshlrev_b64 v[6:7], 3, v[6:7]
	v_pk_mov_b32 v[14:15], v[10:11], v[10:11] op_sel:[0,1]
	s_and_saveexec_b64 s[10:11], s[8:9]
	s_cbranch_execz .LBB51_10
; %bb.9:                                ;   in Loop: Header=BB51_4 Depth=1
	v_mov_b32_e32 v13, s34
	v_add_co_u32_e32 v12, vcc, s33, v6
	v_addc_co_u32_e32 v13, vcc, v13, v7, vcc
	global_load_dwordx2 v[14:15], v[12:13], off
.LBB51_10:                              ;   in Loop: Header=BB51_4 Depth=1
	s_or_b64 exec, exec, s[10:11]
	v_add_co_u32_e32 v8, vcc, s37, v8
	v_addc_co_u32_e32 v9, vcc, v9, v23, vcc
	v_cmp_gt_u64_e64 s[10:11], s[20:21], v[8:9]
	v_lshlrev_b64 v[8:9], 3, v[8:9]
	s_and_saveexec_b64 s[12:13], s[10:11]
	s_cbranch_execz .LBB51_12
; %bb.11:                               ;   in Loop: Header=BB51_4 Depth=1
	v_mov_b32_e32 v11, s34
	v_add_co_u32_e32 v10, vcc, s33, v8
	v_addc_co_u32_e32 v11, vcc, v11, v9, vcc
	global_load_dwordx2 v[10:11], v[10:11], off
.LBB51_12:                              ;   in Loop: Header=BB51_4 Depth=1
	s_or_b64 exec, exec, s[12:13]
	s_and_b64 vcc, exec, s[22:23]
	s_cbranch_vccz .LBB51_32
; %bb.13:                               ;   in Loop: Header=BB51_4 Depth=1
	v_mov_b32_e32 v12, 1
	v_mov_b32_e32 v13, 0
	s_and_b64 vcc, exec, s[0:1]
	s_cbranch_vccnz .LBB51_16
; %bb.14:                               ;   in Loop: Header=BB51_4 Depth=1
	s_mov_b64 s[14:15], s[16:17]
	s_waitcnt vmcnt(0)
	v_pk_mov_b32 v[20:21], v[16:17], v[16:17] op_sel:[0,1]
.LBB51_15:                              ;   Parent Loop BB51_4 Depth=1
                                        ; =>  This Inner Loop Header: Depth=2
	s_bitcmp1_b32 s14, 0
	s_cselect_b64 vcc, -1, 0
	v_cmp_gt_u64_e64 s[12:13], s[14:15], 1
	v_cndmask_b32_e32 v25, 1, v20, vcc
	v_cndmask_b32_e32 v26, 0, v21, vcc
	v_mul_lo_u32 v24, v20, v21
	s_and_b64 s[12:13], exec, s[12:13]
	v_mul_lo_u32 v27, v25, v13
	v_mad_u64_u32 v[20:21], s[28:29], v20, v20, 0
	v_mul_lo_u32 v26, v26, v12
	v_mad_u64_u32 v[12:13], s[28:29], v25, v12, 0
	s_lshr_b64 s[14:15], s[14:15], 1
	v_add3_u32 v21, v21, v24, v24
	v_add3_u32 v13, v13, v27, v26
	s_mov_b64 vcc, s[12:13]
	s_cbranch_vccnz .LBB51_15
.LBB51_16:                              ;   in Loop: Header=BB51_4 Depth=1
	s_cbranch_execz .LBB51_33
; %bb.17:                               ;   in Loop: Header=BB51_4 Depth=1
	s_waitcnt vmcnt(0)
	v_cndmask_b32_e64 v16, 0, 1, s[22:23]
	v_cmp_ne_u32_e64 s[12:13], 1, v16
	s_andn2_b64 vcc, exec, s[22:23]
	s_cbranch_vccnz .LBB51_39
.LBB51_18:                              ;   in Loop: Header=BB51_4 Depth=1
	v_mov_b32_e32 v16, 1
	v_mov_b32_e32 v17, 0
	s_and_b64 vcc, exec, s[0:1]
	s_cbranch_vccnz .LBB51_21
; %bb.19:                               ;   in Loop: Header=BB51_4 Depth=1
	s_mov_b64 s[28:29], s[16:17]
	v_pk_mov_b32 v[20:21], v[18:19], v[18:19] op_sel:[0,1]
.LBB51_20:                              ;   Parent Loop BB51_4 Depth=1
                                        ; =>  This Inner Loop Header: Depth=2
	s_bitcmp1_b32 s28, 0
	s_cselect_b64 vcc, -1, 0
	v_cmp_lt_u64_e64 s[14:15], s[28:29], 2
	v_cndmask_b32_e32 v25, 1, v20, vcc
	v_cndmask_b32_e32 v26, 0, v21, vcc
	v_mul_lo_u32 v24, v20, v21
	s_and_b64 s[14:15], exec, s[14:15]
	v_mul_lo_u32 v27, v25, v17
	v_mad_u64_u32 v[20:21], s[30:31], v20, v20, 0
	v_mul_lo_u32 v26, v26, v16
	v_mad_u64_u32 v[16:17], s[30:31], v25, v16, 0
	s_lshr_b64 s[28:29], s[28:29], 1
	v_add3_u32 v21, v21, v24, v24
	v_add3_u32 v17, v17, v27, v26
	s_mov_b64 vcc, s[14:15]
	s_cbranch_vccz .LBB51_20
.LBB51_21:                              ;   in Loop: Header=BB51_4 Depth=1
	s_cbranch_execz .LBB51_40
; %bb.22:                               ;   in Loop: Header=BB51_4 Depth=1
	s_and_b64 vcc, exec, s[12:13]
	s_cbranch_vccnz .LBB51_46
.LBB51_23:                              ;   in Loop: Header=BB51_4 Depth=1
	v_mov_b32_e32 v18, 1
	v_mov_b32_e32 v19, 0
	s_and_b64 vcc, exec, s[0:1]
	s_cbranch_vccnz .LBB51_26
; %bb.24:                               ;   in Loop: Header=BB51_4 Depth=1
	s_mov_b64 s[28:29], s[16:17]
	v_pk_mov_b32 v[20:21], v[14:15], v[14:15] op_sel:[0,1]
.LBB51_25:                              ;   Parent Loop BB51_4 Depth=1
                                        ; =>  This Inner Loop Header: Depth=2
	s_bitcmp1_b32 s28, 0
	s_cselect_b64 vcc, -1, 0
	v_cmp_lt_u64_e64 s[14:15], s[28:29], 2
	v_cndmask_b32_e32 v25, 1, v20, vcc
	v_cndmask_b32_e32 v26, 0, v21, vcc
	v_mul_lo_u32 v24, v20, v21
	s_and_b64 s[14:15], exec, s[14:15]
	v_mul_lo_u32 v27, v25, v19
	v_mad_u64_u32 v[20:21], s[30:31], v20, v20, 0
	v_mul_lo_u32 v26, v26, v18
	v_mad_u64_u32 v[18:19], s[30:31], v25, v18, 0
	s_lshr_b64 s[28:29], s[28:29], 1
	v_add3_u32 v21, v21, v24, v24
	v_add3_u32 v19, v19, v27, v26
	s_mov_b64 vcc, s[14:15]
	s_cbranch_vccz .LBB51_25
.LBB51_26:                              ;   in Loop: Header=BB51_4 Depth=1
	s_cbranch_execz .LBB51_47
; %bb.27:                               ;   in Loop: Header=BB51_4 Depth=1
	s_and_b64 vcc, exec, s[12:13]
	s_cbranch_vccnz .LBB51_53
.LBB51_28:                              ;   in Loop: Header=BB51_4 Depth=1
	v_mov_b32_e32 v14, 1
	v_mov_b32_e32 v15, 0
	s_and_b64 vcc, exec, s[0:1]
	s_cbranch_vccnz .LBB51_31
; %bb.29:                               ;   in Loop: Header=BB51_4 Depth=1
	s_mov_b64 s[14:15], s[16:17]
	v_pk_mov_b32 v[20:21], v[10:11], v[10:11] op_sel:[0,1]
.LBB51_30:                              ;   Parent Loop BB51_4 Depth=1
                                        ; =>  This Inner Loop Header: Depth=2
	s_bitcmp1_b32 s14, 0
	s_cselect_b64 vcc, -1, 0
	v_cmp_lt_u64_e64 s[12:13], s[14:15], 2
	v_cndmask_b32_e32 v25, 1, v20, vcc
	v_cndmask_b32_e32 v26, 0, v21, vcc
	v_mul_lo_u32 v24, v20, v21
	s_and_b64 s[12:13], exec, s[12:13]
	v_mul_lo_u32 v27, v25, v15
	v_mad_u64_u32 v[20:21], s[28:29], v20, v20, 0
	v_mul_lo_u32 v26, v26, v14
	v_mad_u64_u32 v[14:15], s[28:29], v25, v14, 0
	s_lshr_b64 s[14:15], s[14:15], 1
	v_add3_u32 v21, v21, v24, v24
	v_add3_u32 v15, v15, v27, v26
	s_mov_b64 vcc, s[12:13]
	s_cbranch_vccz .LBB51_30
.LBB51_31:                              ;   in Loop: Header=BB51_4 Depth=1
	s_cbranch_execz .LBB51_54
	s_branch .LBB51_60
.LBB51_32:                              ;   in Loop: Header=BB51_4 Depth=1
                                        ; implicit-def: $vgpr12_vgpr13
.LBB51_33:                              ;   in Loop: Header=BB51_4 Depth=1
	s_waitcnt vmcnt(0)
	v_cmp_lt_i64_e32 vcc, 0, v[16:17]
	s_mov_b64 s[12:13], 0
	s_mov_b64 s[14:15], 0
	s_and_saveexec_b64 s[28:29], vcc
	s_xor_b64 s[28:29], exec, s[28:29]
	s_cbranch_execnz .LBB51_68
; %bb.34:                               ;   in Loop: Header=BB51_4 Depth=1
	s_andn2_saveexec_b64 s[28:29], s[28:29]
	s_cbranch_execnz .LBB51_69
.LBB51_35:                              ;   in Loop: Header=BB51_4 Depth=1
	s_or_b64 exec, exec, s[28:29]
	s_and_saveexec_b64 s[28:29], s[14:15]
	s_xor_b64 s[14:15], exec, s[28:29]
	s_cbranch_execnz .LBB51_70
.LBB51_36:                              ;   in Loop: Header=BB51_4 Depth=1
	s_or_b64 exec, exec, s[14:15]
	s_and_saveexec_b64 s[14:15], s[12:13]
.LBB51_37:                              ;   in Loop: Header=BB51_4 Depth=1
	v_pk_mov_b32 v[16:17], s[26:27], s[26:27] op_sel:[0,1]
.LBB51_38:                              ;   in Loop: Header=BB51_4 Depth=1
	s_or_b64 exec, exec, s[14:15]
	v_pk_mov_b32 v[12:13], v[16:17], v[16:17] op_sel:[0,1]
	v_cndmask_b32_e64 v16, 0, 1, s[22:23]
	v_cmp_ne_u32_e64 s[12:13], 1, v16
	s_andn2_b64 vcc, exec, s[22:23]
	s_cbranch_vccz .LBB51_18
.LBB51_39:                              ;   in Loop: Header=BB51_4 Depth=1
                                        ; implicit-def: $vgpr16_vgpr17
.LBB51_40:                              ;   in Loop: Header=BB51_4 Depth=1
	v_cmp_lt_i64_e32 vcc, 0, v[18:19]
	s_mov_b64 s[14:15], 0
	s_mov_b64 s[28:29], 0
	s_and_saveexec_b64 s[30:31], vcc
	s_xor_b64 s[30:31], exec, s[30:31]
	s_cbranch_execnz .LBB51_71
; %bb.41:                               ;   in Loop: Header=BB51_4 Depth=1
	s_andn2_saveexec_b64 s[30:31], s[30:31]
	s_cbranch_execnz .LBB51_72
.LBB51_42:                              ;   in Loop: Header=BB51_4 Depth=1
	s_or_b64 exec, exec, s[30:31]
	s_and_saveexec_b64 s[30:31], s[28:29]
	s_xor_b64 s[28:29], exec, s[30:31]
	s_cbranch_execnz .LBB51_73
.LBB51_43:                              ;   in Loop: Header=BB51_4 Depth=1
	s_or_b64 exec, exec, s[28:29]
	s_and_saveexec_b64 s[28:29], s[14:15]
.LBB51_44:                              ;   in Loop: Header=BB51_4 Depth=1
	v_pk_mov_b32 v[18:19], s[26:27], s[26:27] op_sel:[0,1]
.LBB51_45:                              ;   in Loop: Header=BB51_4 Depth=1
	s_or_b64 exec, exec, s[28:29]
	v_pk_mov_b32 v[16:17], v[18:19], v[18:19] op_sel:[0,1]
	s_and_b64 vcc, exec, s[12:13]
	s_cbranch_vccz .LBB51_23
.LBB51_46:                              ;   in Loop: Header=BB51_4 Depth=1
                                        ; implicit-def: $vgpr18_vgpr19
.LBB51_47:                              ;   in Loop: Header=BB51_4 Depth=1
	v_cmp_lt_i64_e32 vcc, 0, v[14:15]
	s_mov_b64 s[14:15], 0
	s_mov_b64 s[28:29], 0
	s_and_saveexec_b64 s[30:31], vcc
	s_xor_b64 s[30:31], exec, s[30:31]
	s_cbranch_execnz .LBB51_74
; %bb.48:                               ;   in Loop: Header=BB51_4 Depth=1
	s_andn2_saveexec_b64 s[30:31], s[30:31]
	s_cbranch_execnz .LBB51_75
.LBB51_49:                              ;   in Loop: Header=BB51_4 Depth=1
	s_or_b64 exec, exec, s[30:31]
	s_and_saveexec_b64 s[30:31], s[28:29]
	s_xor_b64 s[28:29], exec, s[30:31]
	s_cbranch_execnz .LBB51_76
.LBB51_50:                              ;   in Loop: Header=BB51_4 Depth=1
	s_or_b64 exec, exec, s[28:29]
	s_and_saveexec_b64 s[28:29], s[14:15]
.LBB51_51:                              ;   in Loop: Header=BB51_4 Depth=1
	v_pk_mov_b32 v[14:15], s[26:27], s[26:27] op_sel:[0,1]
.LBB51_52:                              ;   in Loop: Header=BB51_4 Depth=1
	s_or_b64 exec, exec, s[28:29]
	v_pk_mov_b32 v[18:19], v[14:15], v[14:15] op_sel:[0,1]
	s_and_b64 vcc, exec, s[12:13]
	s_cbranch_vccz .LBB51_28
.LBB51_53:                              ;   in Loop: Header=BB51_4 Depth=1
                                        ; implicit-def: $vgpr14_vgpr15
.LBB51_54:                              ;   in Loop: Header=BB51_4 Depth=1
	v_cmp_lt_i64_e32 vcc, 0, v[10:11]
	s_mov_b64 s[12:13], 0
	s_mov_b64 s[14:15], 0
	s_and_saveexec_b64 s[28:29], vcc
	s_xor_b64 s[28:29], exec, s[28:29]
	s_cbranch_execnz .LBB51_77
; %bb.55:                               ;   in Loop: Header=BB51_4 Depth=1
	s_andn2_saveexec_b64 s[28:29], s[28:29]
	s_cbranch_execnz .LBB51_78
.LBB51_56:                              ;   in Loop: Header=BB51_4 Depth=1
	s_or_b64 exec, exec, s[28:29]
	s_and_saveexec_b64 s[28:29], s[14:15]
	s_xor_b64 s[14:15], exec, s[28:29]
	s_cbranch_execnz .LBB51_79
.LBB51_57:                              ;   in Loop: Header=BB51_4 Depth=1
	s_or_b64 exec, exec, s[14:15]
	s_and_saveexec_b64 s[14:15], s[12:13]
.LBB51_58:                              ;   in Loop: Header=BB51_4 Depth=1
	v_pk_mov_b32 v[10:11], s[26:27], s[26:27] op_sel:[0,1]
.LBB51_59:                              ;   in Loop: Header=BB51_4 Depth=1
	s_or_b64 exec, exec, s[14:15]
	v_pk_mov_b32 v[14:15], v[10:11], v[10:11] op_sel:[0,1]
.LBB51_60:                              ;   in Loop: Header=BB51_4 Depth=1
	s_and_saveexec_b64 s[12:13], s[2:3]
	s_xor_b64 s[2:3], exec, s[12:13]
	s_cbranch_execnz .LBB51_64
; %bb.61:                               ;   in Loop: Header=BB51_4 Depth=1
	s_or_b64 exec, exec, s[2:3]
	s_and_saveexec_b64 s[2:3], s[6:7]
	s_cbranch_execnz .LBB51_65
.LBB51_62:                              ;   in Loop: Header=BB51_4 Depth=1
	s_or_b64 exec, exec, s[2:3]
	s_and_saveexec_b64 s[2:3], s[8:9]
	s_cbranch_execnz .LBB51_66
.LBB51_63:                              ;   in Loop: Header=BB51_4 Depth=1
	s_or_b64 exec, exec, s[2:3]
	s_and_saveexec_b64 s[2:3], s[10:11]
	s_cbranch_execz .LBB51_3
	s_branch .LBB51_67
.LBB51_64:                              ;   in Loop: Header=BB51_4 Depth=1
	v_mov_b32_e32 v10, s34
	v_add_co_u32_e32 v2, vcc, s33, v2
	v_addc_co_u32_e32 v3, vcc, v10, v3, vcc
	global_store_dwordx2 v[2:3], v[12:13], off
	s_or_b64 exec, exec, s[2:3]
	s_and_saveexec_b64 s[2:3], s[6:7]
	s_cbranch_execz .LBB51_62
.LBB51_65:                              ;   in Loop: Header=BB51_4 Depth=1
	v_mov_b32_e32 v3, s34
	v_add_co_u32_e32 v2, vcc, s33, v4
	v_addc_co_u32_e32 v3, vcc, v3, v5, vcc
	global_store_dwordx2 v[2:3], v[16:17], off
	s_or_b64 exec, exec, s[2:3]
	s_and_saveexec_b64 s[2:3], s[8:9]
	s_cbranch_execz .LBB51_63
.LBB51_66:                              ;   in Loop: Header=BB51_4 Depth=1
	v_mov_b32_e32 v3, s34
	v_add_co_u32_e32 v2, vcc, s33, v6
	v_addc_co_u32_e32 v3, vcc, v3, v7, vcc
	global_store_dwordx2 v[2:3], v[18:19], off
	s_or_b64 exec, exec, s[2:3]
	s_and_saveexec_b64 s[2:3], s[10:11]
	s_cbranch_execz .LBB51_3
.LBB51_67:                              ;   in Loop: Header=BB51_4 Depth=1
	v_mov_b32_e32 v3, s34
	v_add_co_u32_e32 v2, vcc, s33, v8
	v_addc_co_u32_e32 v3, vcc, v3, v9, vcc
	global_store_dwordx2 v[2:3], v[14:15], off
	s_branch .LBB51_3
.LBB51_68:                              ;   in Loop: Header=BB51_4 Depth=1
	v_cmp_ne_u64_e32 vcc, 1, v[16:17]
	s_and_b64 s[14:15], vcc, exec
	s_andn2_saveexec_b64 s[28:29], s[28:29]
	s_cbranch_execz .LBB51_35
.LBB51_69:                              ;   in Loop: Header=BB51_4 Depth=1
	v_cmp_ne_u64_e32 vcc, -1, v[16:17]
	s_andn2_b64 s[14:15], s[14:15], exec
	s_and_b64 s[30:31], vcc, exec
	s_mov_b64 s[12:13], exec
	s_or_b64 s[14:15], s[14:15], s[30:31]
                                        ; implicit-def: $vgpr16_vgpr17
	s_or_b64 exec, exec, s[28:29]
	s_and_saveexec_b64 s[28:29], s[14:15]
	s_xor_b64 s[14:15], exec, s[28:29]
	s_cbranch_execz .LBB51_36
.LBB51_70:                              ;   in Loop: Header=BB51_4 Depth=1
	v_pk_mov_b32 v[16:17], 0, 0
	s_andn2_b64 s[12:13], s[12:13], exec
	s_or_b64 exec, exec, s[14:15]
	s_and_saveexec_b64 s[14:15], s[12:13]
	s_cbranch_execnz .LBB51_37
	s_branch .LBB51_38
.LBB51_71:                              ;   in Loop: Header=BB51_4 Depth=1
	v_cmp_ne_u64_e32 vcc, 1, v[18:19]
	s_and_b64 s[28:29], vcc, exec
	s_andn2_saveexec_b64 s[30:31], s[30:31]
	s_cbranch_execz .LBB51_42
.LBB51_72:                              ;   in Loop: Header=BB51_4 Depth=1
	v_cmp_ne_u64_e32 vcc, -1, v[18:19]
	s_andn2_b64 s[28:29], s[28:29], exec
	s_and_b64 s[40:41], vcc, exec
	s_mov_b64 s[14:15], exec
	s_or_b64 s[28:29], s[28:29], s[40:41]
                                        ; implicit-def: $vgpr18_vgpr19
	s_or_b64 exec, exec, s[30:31]
	s_and_saveexec_b64 s[30:31], s[28:29]
	s_xor_b64 s[28:29], exec, s[30:31]
	s_cbranch_execz .LBB51_43
.LBB51_73:                              ;   in Loop: Header=BB51_4 Depth=1
	v_pk_mov_b32 v[18:19], 0, 0
	s_andn2_b64 s[14:15], s[14:15], exec
	s_or_b64 exec, exec, s[28:29]
	s_and_saveexec_b64 s[28:29], s[14:15]
	s_cbranch_execnz .LBB51_44
	s_branch .LBB51_45
.LBB51_74:                              ;   in Loop: Header=BB51_4 Depth=1
	v_cmp_ne_u64_e32 vcc, 1, v[14:15]
	s_and_b64 s[28:29], vcc, exec
	s_andn2_saveexec_b64 s[30:31], s[30:31]
	s_cbranch_execz .LBB51_49
.LBB51_75:                              ;   in Loop: Header=BB51_4 Depth=1
	v_cmp_ne_u64_e32 vcc, -1, v[14:15]
	s_andn2_b64 s[28:29], s[28:29], exec
	s_and_b64 s[40:41], vcc, exec
	s_mov_b64 s[14:15], exec
	s_or_b64 s[28:29], s[28:29], s[40:41]
                                        ; implicit-def: $vgpr14_vgpr15
	s_or_b64 exec, exec, s[30:31]
	s_and_saveexec_b64 s[30:31], s[28:29]
	s_xor_b64 s[28:29], exec, s[30:31]
	s_cbranch_execz .LBB51_50
.LBB51_76:                              ;   in Loop: Header=BB51_4 Depth=1
	v_pk_mov_b32 v[14:15], 0, 0
	s_andn2_b64 s[14:15], s[14:15], exec
	s_or_b64 exec, exec, s[28:29]
	s_and_saveexec_b64 s[28:29], s[14:15]
	s_cbranch_execnz .LBB51_51
	s_branch .LBB51_52
.LBB51_77:                              ;   in Loop: Header=BB51_4 Depth=1
	v_cmp_ne_u64_e32 vcc, 1, v[10:11]
	s_and_b64 s[14:15], vcc, exec
	s_andn2_saveexec_b64 s[28:29], s[28:29]
	s_cbranch_execz .LBB51_56
.LBB51_78:                              ;   in Loop: Header=BB51_4 Depth=1
	v_cmp_ne_u64_e32 vcc, -1, v[10:11]
	s_andn2_b64 s[14:15], s[14:15], exec
	s_and_b64 s[30:31], vcc, exec
	s_mov_b64 s[12:13], exec
	s_or_b64 s[14:15], s[14:15], s[30:31]
                                        ; implicit-def: $vgpr10_vgpr11
	s_or_b64 exec, exec, s[28:29]
	s_and_saveexec_b64 s[28:29], s[14:15]
	s_xor_b64 s[14:15], exec, s[28:29]
	s_cbranch_execz .LBB51_57
.LBB51_79:                              ;   in Loop: Header=BB51_4 Depth=1
	v_pk_mov_b32 v[10:11], 0, 0
	s_andn2_b64 s[12:13], s[12:13], exec
	s_or_b64 exec, exec, s[14:15]
	s_and_saveexec_b64 s[14:15], s[12:13]
	s_cbranch_execnz .LBB51_58
	s_branch .LBB51_59
.LBB51_80:
	s_cbranch_execz .LBB51_82
	s_branch .LBB51_145
.LBB51_81:
.LBB51_82:
	v_mov_b32_e32 v3, 0
	v_lshlrev_b32_e32 v2, 2, v0
	s_mov_b32 s7, 0
	v_cmp_gt_i64_e32 vcc, s[18:19], v[2:3]
	s_and_saveexec_b64 s[0:1], vcc
	s_cbranch_execz .LBB51_145
; %bb.83:
	s_load_dword s2, s[4:5], 0xd44
	s_cmp_lg_u64 s[16:17], 0
	s_cselect_b64 s[0:1], -1, 0
	s_and_b32 s6, s16, 1
	s_cmp_eq_u64 s[6:7], 0
	v_cndmask_b32_e64 v2, 0, 1, s[0:1]
	v_mov_b32_e32 v1, v3
	v_cmp_gt_i64_e64 s[8:9], s[16:17], -1
	s_mov_b64 s[10:11], 0
	s_cselect_b32 s13, 0, -1
	s_cselect_b32 s12, 1, -1
	s_waitcnt lgkmcnt(0)
	s_and_b32 s6, s2, 0xffff
	v_mov_b32_e32 v16, s34
	v_cmp_ne_u32_e64 s[0:1], 1, v2
	s_mov_b64 s[14:15], 0xffff
	s_branch .LBB51_86
.LBB51_84:                              ;   in Loop: Header=BB51_86 Depth=1
	s_or_b64 exec, exec, s[4:5]
	v_pk_mov_b32 v[12:13], v[4:5], v[4:5] op_sel:[0,1]
.LBB51_85:                              ;   in Loop: Header=BB51_86 Depth=1
	v_mov_b32_e32 v2, s7
	v_add_co_u32_e32 v0, vcc, s6, v0
	v_addc_co_u32_e32 v1, vcc, v1, v2, vcc
	v_lshlrev_b64 v[2:3], 2, v[0:1]
	v_cmp_le_i64_e32 vcc, s[18:19], v[2:3]
	v_cmp_lt_u64_e64 s[2:3], s[14:15], v[2:3]
	s_or_b64 s[2:3], vcc, s[2:3]
	s_and_b64 s[2:3], exec, s[2:3]
	s_or_b64 s[10:11], s[2:3], s[10:11]
	global_store_dwordx4 v[14:15], v[6:9], off
	global_store_dwordx4 v[14:15], v[10:13], off offset:16
	s_andn2_b64 exec, exec, s[10:11]
	s_cbranch_execz .LBB51_145
.LBB51_86:                              ; =>This Loop Header: Depth=1
                                        ;     Child Loop BB51_105 Depth 2
                                        ;     Child Loop BB51_91 Depth 2
	;; [unrolled: 1-line block ×4, first 2 shown]
	v_lshlrev_b64 v[2:3], 5, v[0:1]
	v_add_co_u32_e32 v14, vcc, s33, v2
	v_addc_co_u32_e32 v15, vcc, v16, v3, vcc
	global_load_dwordx4 v[2:5], v[14:15], off offset:16
	global_load_dwordx4 v[8:11], v[14:15], off
	s_and_b64 vcc, exec, s[8:9]
	s_mov_b64 s[2:3], -1
                                        ; implicit-def: $vgpr6_vgpr7
	s_cbranch_vccnz .LBB51_103
; %bb.87:                               ;   in Loop: Header=BB51_86 Depth=1
	s_andn2_b64 vcc, exec, s[2:3]
	s_cbranch_vccz .LBB51_107
.LBB51_88:                              ;   in Loop: Header=BB51_86 Depth=1
	s_waitcnt vmcnt(0)
	v_cndmask_b32_e64 v8, 0, 1, s[8:9]
	v_cmp_ne_u32_e64 s[2:3], 1, v8
	s_andn2_b64 vcc, exec, s[8:9]
	s_cbranch_vccnz .LBB51_113
.LBB51_89:                              ;   in Loop: Header=BB51_86 Depth=1
	v_mov_b32_e32 v8, 1
	v_mov_b32_e32 v9, 0
	s_and_b64 vcc, exec, s[0:1]
	s_cbranch_vccnz .LBB51_92
; %bb.90:                               ;   in Loop: Header=BB51_86 Depth=1
	s_mov_b64 s[20:21], s[16:17]
	v_pk_mov_b32 v[12:13], v[10:11], v[10:11] op_sel:[0,1]
.LBB51_91:                              ;   Parent Loop BB51_86 Depth=1
                                        ; =>  This Inner Loop Header: Depth=2
	s_bitcmp1_b32 s20, 0
	s_cselect_b64 vcc, -1, 0
	v_cmp_lt_u64_e64 s[4:5], s[20:21], 2
	v_cndmask_b32_e32 v18, 1, v12, vcc
	v_cndmask_b32_e32 v19, 0, v13, vcc
	v_mul_lo_u32 v17, v12, v13
	s_and_b64 s[4:5], exec, s[4:5]
	v_mul_lo_u32 v20, v18, v9
	v_mad_u64_u32 v[12:13], s[22:23], v12, v12, 0
	v_mul_lo_u32 v19, v19, v8
	v_mad_u64_u32 v[8:9], s[22:23], v18, v8, 0
	s_lshr_b64 s[20:21], s[20:21], 1
	v_add3_u32 v13, v13, v17, v17
	v_add3_u32 v9, v9, v20, v19
	s_mov_b64 vcc, s[4:5]
	s_cbranch_vccz .LBB51_91
.LBB51_92:                              ;   in Loop: Header=BB51_86 Depth=1
	s_cbranch_execz .LBB51_114
; %bb.93:                               ;   in Loop: Header=BB51_86 Depth=1
	s_and_b64 vcc, exec, s[2:3]
	s_cbranch_vccnz .LBB51_120
.LBB51_94:                              ;   in Loop: Header=BB51_86 Depth=1
	v_mov_b32_e32 v10, 1
	v_mov_b32_e32 v11, 0
	s_and_b64 vcc, exec, s[0:1]
	s_cbranch_vccnz .LBB51_97
; %bb.95:                               ;   in Loop: Header=BB51_86 Depth=1
	s_mov_b64 s[20:21], s[16:17]
	v_pk_mov_b32 v[12:13], v[2:3], v[2:3] op_sel:[0,1]
.LBB51_96:                              ;   Parent Loop BB51_86 Depth=1
                                        ; =>  This Inner Loop Header: Depth=2
	s_bitcmp1_b32 s20, 0
	s_cselect_b64 vcc, -1, 0
	v_cmp_lt_u64_e64 s[4:5], s[20:21], 2
	v_cndmask_b32_e32 v18, 1, v12, vcc
	v_cndmask_b32_e32 v19, 0, v13, vcc
	v_mul_lo_u32 v17, v12, v13
	s_and_b64 s[4:5], exec, s[4:5]
	v_mul_lo_u32 v20, v18, v11
	v_mad_u64_u32 v[12:13], s[22:23], v12, v12, 0
	v_mul_lo_u32 v19, v19, v10
	v_mad_u64_u32 v[10:11], s[22:23], v18, v10, 0
	s_lshr_b64 s[20:21], s[20:21], 1
	v_add3_u32 v13, v13, v17, v17
	v_add3_u32 v11, v11, v20, v19
	s_mov_b64 vcc, s[4:5]
	s_cbranch_vccz .LBB51_96
.LBB51_97:                              ;   in Loop: Header=BB51_86 Depth=1
	s_cbranch_execz .LBB51_121
; %bb.98:                               ;   in Loop: Header=BB51_86 Depth=1
	s_and_b64 vcc, exec, s[2:3]
	s_cbranch_vccnz .LBB51_127
.LBB51_99:                              ;   in Loop: Header=BB51_86 Depth=1
	v_mov_b32_e32 v12, 1
	v_mov_b32_e32 v13, 0
	s_and_b64 vcc, exec, s[0:1]
	s_cbranch_vccnz .LBB51_102
; %bb.100:                              ;   in Loop: Header=BB51_86 Depth=1
	s_mov_b64 s[4:5], s[16:17]
	v_pk_mov_b32 v[2:3], v[4:5], v[4:5] op_sel:[0,1]
.LBB51_101:                             ;   Parent Loop BB51_86 Depth=1
                                        ; =>  This Inner Loop Header: Depth=2
	s_bitcmp1_b32 s4, 0
	s_cselect_b64 vcc, -1, 0
	v_cmp_lt_u64_e64 s[2:3], s[4:5], 2
	v_cndmask_b32_e32 v18, 1, v2, vcc
	v_cndmask_b32_e32 v19, 0, v3, vcc
	v_mul_lo_u32 v17, v2, v3
	s_and_b64 s[2:3], exec, s[2:3]
	v_mul_lo_u32 v20, v18, v13
	v_mad_u64_u32 v[2:3], s[20:21], v2, v2, 0
	v_mul_lo_u32 v19, v19, v12
	v_mad_u64_u32 v[12:13], s[20:21], v18, v12, 0
	s_lshr_b64 s[4:5], s[4:5], 1
	v_add3_u32 v3, v3, v17, v17
	v_add3_u32 v13, v13, v20, v19
	s_mov_b64 vcc, s[2:3]
	s_cbranch_vccz .LBB51_101
.LBB51_102:                             ;   in Loop: Header=BB51_86 Depth=1
	s_cbranch_execnz .LBB51_85
	s_branch .LBB51_128
.LBB51_103:                             ;   in Loop: Header=BB51_86 Depth=1
	v_mov_b32_e32 v6, 1
	v_mov_b32_e32 v7, 0
	s_and_b64 vcc, exec, s[0:1]
	s_cbranch_vccnz .LBB51_106
; %bb.104:                              ;   in Loop: Header=BB51_86 Depth=1
	s_mov_b64 s[4:5], s[16:17]
	s_waitcnt vmcnt(0)
	v_pk_mov_b32 v[12:13], v[8:9], v[8:9] op_sel:[0,1]
.LBB51_105:                             ;   Parent Loop BB51_86 Depth=1
                                        ; =>  This Inner Loop Header: Depth=2
	s_bitcmp1_b32 s4, 0
	s_cselect_b64 vcc, -1, 0
	v_cmp_gt_u64_e64 s[2:3], s[4:5], 1
	v_cndmask_b32_e32 v18, 1, v12, vcc
	v_cndmask_b32_e32 v19, 0, v13, vcc
	v_mul_lo_u32 v17, v12, v13
	s_and_b64 s[2:3], exec, s[2:3]
	v_mul_lo_u32 v20, v18, v7
	v_mad_u64_u32 v[12:13], s[20:21], v12, v12, 0
	v_mul_lo_u32 v19, v19, v6
	v_mad_u64_u32 v[6:7], s[20:21], v18, v6, 0
	s_lshr_b64 s[4:5], s[4:5], 1
	v_add3_u32 v13, v13, v17, v17
	v_add3_u32 v7, v7, v20, v19
	s_mov_b64 vcc, s[2:3]
	s_cbranch_vccnz .LBB51_105
.LBB51_106:                             ;   in Loop: Header=BB51_86 Depth=1
	s_cbranch_execnz .LBB51_88
.LBB51_107:                             ;   in Loop: Header=BB51_86 Depth=1
	s_waitcnt vmcnt(0)
	v_cmp_lt_i64_e32 vcc, 0, v[8:9]
	s_mov_b64 s[2:3], 0
	s_mov_b64 s[4:5], 0
	s_and_saveexec_b64 s[20:21], vcc
	s_xor_b64 s[20:21], exec, s[20:21]
	s_cbranch_execnz .LBB51_132
; %bb.108:                              ;   in Loop: Header=BB51_86 Depth=1
	s_andn2_saveexec_b64 s[20:21], s[20:21]
	s_cbranch_execnz .LBB51_133
.LBB51_109:                             ;   in Loop: Header=BB51_86 Depth=1
	s_or_b64 exec, exec, s[20:21]
	s_and_saveexec_b64 s[20:21], s[4:5]
	s_xor_b64 s[4:5], exec, s[20:21]
	s_cbranch_execnz .LBB51_134
.LBB51_110:                             ;   in Loop: Header=BB51_86 Depth=1
	s_or_b64 exec, exec, s[4:5]
	s_and_saveexec_b64 s[4:5], s[2:3]
.LBB51_111:                             ;   in Loop: Header=BB51_86 Depth=1
	v_pk_mov_b32 v[8:9], s[12:13], s[12:13] op_sel:[0,1]
.LBB51_112:                             ;   in Loop: Header=BB51_86 Depth=1
	s_or_b64 exec, exec, s[4:5]
	v_pk_mov_b32 v[6:7], v[8:9], v[8:9] op_sel:[0,1]
	v_cndmask_b32_e64 v8, 0, 1, s[8:9]
	v_cmp_ne_u32_e64 s[2:3], 1, v8
	s_andn2_b64 vcc, exec, s[8:9]
	s_cbranch_vccz .LBB51_89
.LBB51_113:                             ;   in Loop: Header=BB51_86 Depth=1
.LBB51_114:                             ;   in Loop: Header=BB51_86 Depth=1
	v_cmp_lt_i64_e32 vcc, 0, v[10:11]
	s_mov_b64 s[4:5], 0
	s_mov_b64 s[20:21], 0
	s_and_saveexec_b64 s[22:23], vcc
	s_xor_b64 s[22:23], exec, s[22:23]
	s_cbranch_execnz .LBB51_135
; %bb.115:                              ;   in Loop: Header=BB51_86 Depth=1
	s_andn2_saveexec_b64 s[22:23], s[22:23]
	s_cbranch_execnz .LBB51_136
.LBB51_116:                             ;   in Loop: Header=BB51_86 Depth=1
	s_or_b64 exec, exec, s[22:23]
	s_and_saveexec_b64 s[22:23], s[20:21]
	s_xor_b64 s[20:21], exec, s[22:23]
	s_cbranch_execnz .LBB51_137
.LBB51_117:                             ;   in Loop: Header=BB51_86 Depth=1
	s_or_b64 exec, exec, s[20:21]
	s_and_saveexec_b64 s[20:21], s[4:5]
.LBB51_118:                             ;   in Loop: Header=BB51_86 Depth=1
	v_pk_mov_b32 v[10:11], s[12:13], s[12:13] op_sel:[0,1]
.LBB51_119:                             ;   in Loop: Header=BB51_86 Depth=1
	s_or_b64 exec, exec, s[20:21]
	v_pk_mov_b32 v[8:9], v[10:11], v[10:11] op_sel:[0,1]
	s_and_b64 vcc, exec, s[2:3]
	s_cbranch_vccz .LBB51_94
.LBB51_120:                             ;   in Loop: Header=BB51_86 Depth=1
                                        ; implicit-def: $vgpr10_vgpr11
.LBB51_121:                             ;   in Loop: Header=BB51_86 Depth=1
	v_cmp_lt_i64_e32 vcc, 0, v[2:3]
	s_mov_b64 s[4:5], 0
	s_mov_b64 s[20:21], 0
	s_and_saveexec_b64 s[22:23], vcc
	s_xor_b64 s[22:23], exec, s[22:23]
	s_cbranch_execnz .LBB51_138
; %bb.122:                              ;   in Loop: Header=BB51_86 Depth=1
	s_andn2_saveexec_b64 s[22:23], s[22:23]
	s_cbranch_execnz .LBB51_139
.LBB51_123:                             ;   in Loop: Header=BB51_86 Depth=1
	s_or_b64 exec, exec, s[22:23]
	s_and_saveexec_b64 s[22:23], s[20:21]
	s_xor_b64 s[20:21], exec, s[22:23]
	s_cbranch_execnz .LBB51_140
.LBB51_124:                             ;   in Loop: Header=BB51_86 Depth=1
	s_or_b64 exec, exec, s[20:21]
	s_and_saveexec_b64 s[20:21], s[4:5]
.LBB51_125:                             ;   in Loop: Header=BB51_86 Depth=1
	v_pk_mov_b32 v[2:3], s[12:13], s[12:13] op_sel:[0,1]
.LBB51_126:                             ;   in Loop: Header=BB51_86 Depth=1
	s_or_b64 exec, exec, s[20:21]
	v_pk_mov_b32 v[10:11], v[2:3], v[2:3] op_sel:[0,1]
	s_and_b64 vcc, exec, s[2:3]
	s_cbranch_vccz .LBB51_99
.LBB51_127:                             ;   in Loop: Header=BB51_86 Depth=1
.LBB51_128:                             ;   in Loop: Header=BB51_86 Depth=1
	v_cmp_lt_i64_e32 vcc, 0, v[4:5]
	s_mov_b64 s[2:3], 0
	s_mov_b64 s[4:5], 0
	s_and_saveexec_b64 s[20:21], vcc
	s_xor_b64 s[20:21], exec, s[20:21]
	s_cbranch_execnz .LBB51_141
; %bb.129:                              ;   in Loop: Header=BB51_86 Depth=1
	s_andn2_saveexec_b64 s[20:21], s[20:21]
	s_cbranch_execnz .LBB51_142
.LBB51_130:                             ;   in Loop: Header=BB51_86 Depth=1
	s_or_b64 exec, exec, s[20:21]
	s_and_saveexec_b64 s[20:21], s[4:5]
	s_xor_b64 s[4:5], exec, s[20:21]
	s_cbranch_execnz .LBB51_143
.LBB51_131:                             ;   in Loop: Header=BB51_86 Depth=1
	s_or_b64 exec, exec, s[4:5]
	s_and_saveexec_b64 s[4:5], s[2:3]
	s_cbranch_execz .LBB51_84
	s_branch .LBB51_144
.LBB51_132:                             ;   in Loop: Header=BB51_86 Depth=1
	v_cmp_ne_u64_e32 vcc, 1, v[8:9]
	s_and_b64 s[4:5], vcc, exec
	s_andn2_saveexec_b64 s[20:21], s[20:21]
	s_cbranch_execz .LBB51_109
.LBB51_133:                             ;   in Loop: Header=BB51_86 Depth=1
	v_cmp_ne_u64_e32 vcc, -1, v[8:9]
	s_andn2_b64 s[4:5], s[4:5], exec
	s_and_b64 s[22:23], vcc, exec
	s_mov_b64 s[2:3], exec
	s_or_b64 s[4:5], s[4:5], s[22:23]
	s_or_b64 exec, exec, s[20:21]
	s_and_saveexec_b64 s[20:21], s[4:5]
	s_xor_b64 s[4:5], exec, s[20:21]
	s_cbranch_execz .LBB51_110
.LBB51_134:                             ;   in Loop: Header=BB51_86 Depth=1
	v_pk_mov_b32 v[8:9], 0, 0
	s_andn2_b64 s[2:3], s[2:3], exec
	s_or_b64 exec, exec, s[4:5]
	s_and_saveexec_b64 s[4:5], s[2:3]
	s_cbranch_execnz .LBB51_111
	s_branch .LBB51_112
.LBB51_135:                             ;   in Loop: Header=BB51_86 Depth=1
	v_cmp_ne_u64_e32 vcc, 1, v[10:11]
	s_and_b64 s[20:21], vcc, exec
	s_andn2_saveexec_b64 s[22:23], s[22:23]
	s_cbranch_execz .LBB51_116
.LBB51_136:                             ;   in Loop: Header=BB51_86 Depth=1
	v_cmp_ne_u64_e32 vcc, -1, v[10:11]
	s_andn2_b64 s[20:21], s[20:21], exec
	s_and_b64 s[24:25], vcc, exec
	s_mov_b64 s[4:5], exec
	s_or_b64 s[20:21], s[20:21], s[24:25]
                                        ; implicit-def: $vgpr10_vgpr11
	s_or_b64 exec, exec, s[22:23]
	s_and_saveexec_b64 s[22:23], s[20:21]
	s_xor_b64 s[20:21], exec, s[22:23]
	s_cbranch_execz .LBB51_117
.LBB51_137:                             ;   in Loop: Header=BB51_86 Depth=1
	v_pk_mov_b32 v[10:11], 0, 0
	s_andn2_b64 s[4:5], s[4:5], exec
	s_or_b64 exec, exec, s[20:21]
	s_and_saveexec_b64 s[20:21], s[4:5]
	s_cbranch_execnz .LBB51_118
	s_branch .LBB51_119
.LBB51_138:                             ;   in Loop: Header=BB51_86 Depth=1
	v_cmp_ne_u64_e32 vcc, 1, v[2:3]
	s_and_b64 s[20:21], vcc, exec
	s_andn2_saveexec_b64 s[22:23], s[22:23]
	s_cbranch_execz .LBB51_123
.LBB51_139:                             ;   in Loop: Header=BB51_86 Depth=1
	v_cmp_ne_u64_e32 vcc, -1, v[2:3]
	s_andn2_b64 s[20:21], s[20:21], exec
	s_and_b64 s[24:25], vcc, exec
	s_mov_b64 s[4:5], exec
	s_or_b64 s[20:21], s[20:21], s[24:25]
	s_or_b64 exec, exec, s[22:23]
	s_and_saveexec_b64 s[22:23], s[20:21]
	s_xor_b64 s[20:21], exec, s[22:23]
	s_cbranch_execz .LBB51_124
.LBB51_140:                             ;   in Loop: Header=BB51_86 Depth=1
	v_pk_mov_b32 v[2:3], 0, 0
	s_andn2_b64 s[4:5], s[4:5], exec
	s_or_b64 exec, exec, s[20:21]
	s_and_saveexec_b64 s[20:21], s[4:5]
	s_cbranch_execnz .LBB51_125
	s_branch .LBB51_126
.LBB51_141:                             ;   in Loop: Header=BB51_86 Depth=1
	v_cmp_ne_u64_e32 vcc, 1, v[4:5]
	s_and_b64 s[4:5], vcc, exec
	s_andn2_saveexec_b64 s[20:21], s[20:21]
	s_cbranch_execz .LBB51_130
.LBB51_142:                             ;   in Loop: Header=BB51_86 Depth=1
	v_cmp_ne_u64_e32 vcc, -1, v[4:5]
	s_andn2_b64 s[4:5], s[4:5], exec
	s_and_b64 s[22:23], vcc, exec
	s_mov_b64 s[2:3], exec
	s_or_b64 s[4:5], s[4:5], s[22:23]
                                        ; implicit-def: $vgpr4_vgpr5
	s_or_b64 exec, exec, s[20:21]
	s_and_saveexec_b64 s[20:21], s[4:5]
	s_xor_b64 s[4:5], exec, s[20:21]
	s_cbranch_execz .LBB51_131
.LBB51_143:                             ;   in Loop: Header=BB51_86 Depth=1
	v_pk_mov_b32 v[4:5], 0, 0
	s_andn2_b64 s[2:3], s[2:3], exec
	s_or_b64 exec, exec, s[4:5]
	s_and_saveexec_b64 s[4:5], s[2:3]
	s_cbranch_execz .LBB51_84
.LBB51_144:                             ;   in Loop: Header=BB51_86 Depth=1
	v_pk_mov_b32 v[4:5], s[12:13], s[12:13] op_sel:[0,1]
	s_branch .LBB51_84
.LBB51_145:
	s_endpgm
	.section	.rodata,"a",@progbits
	.p2align	6, 0x0
	.amdhsa_kernel _ZN2at6native12_GLOBAL__N_125multi_tensor_apply_kernelINS1_18TensorListMetadataILi1EEENS1_21BinaryOpScalarFunctorIlLi1ELi1ELi0EEEJNS1_13power_functorIlEElEEEvT_T0_DpT1_
		.amdhsa_group_segment_fixed_size 0
		.amdhsa_private_segment_fixed_size 0
		.amdhsa_kernarg_size 3640
		.amdhsa_user_sgpr_count 6
		.amdhsa_user_sgpr_private_segment_buffer 1
		.amdhsa_user_sgpr_dispatch_ptr 0
		.amdhsa_user_sgpr_queue_ptr 0
		.amdhsa_user_sgpr_kernarg_segment_ptr 1
		.amdhsa_user_sgpr_dispatch_id 0
		.amdhsa_user_sgpr_flat_scratch_init 0
		.amdhsa_user_sgpr_kernarg_preload_length 0
		.amdhsa_user_sgpr_kernarg_preload_offset 0
		.amdhsa_user_sgpr_private_segment_size 0
		.amdhsa_uses_dynamic_stack 0
		.amdhsa_system_sgpr_private_segment_wavefront_offset 0
		.amdhsa_system_sgpr_workgroup_id_x 1
		.amdhsa_system_sgpr_workgroup_id_y 0
		.amdhsa_system_sgpr_workgroup_id_z 0
		.amdhsa_system_sgpr_workgroup_info 0
		.amdhsa_system_vgpr_workitem_id 0
		.amdhsa_next_free_vgpr 28
		.amdhsa_next_free_sgpr 42
		.amdhsa_accum_offset 28
		.amdhsa_reserve_vcc 1
		.amdhsa_reserve_flat_scratch 0
		.amdhsa_float_round_mode_32 0
		.amdhsa_float_round_mode_16_64 0
		.amdhsa_float_denorm_mode_32 3
		.amdhsa_float_denorm_mode_16_64 3
		.amdhsa_dx10_clamp 1
		.amdhsa_ieee_mode 1
		.amdhsa_fp16_overflow 0
		.amdhsa_tg_split 0
		.amdhsa_exception_fp_ieee_invalid_op 0
		.amdhsa_exception_fp_denorm_src 0
		.amdhsa_exception_fp_ieee_div_zero 0
		.amdhsa_exception_fp_ieee_overflow 0
		.amdhsa_exception_fp_ieee_underflow 0
		.amdhsa_exception_fp_ieee_inexact 0
		.amdhsa_exception_int_div_zero 0
	.end_amdhsa_kernel
	.section	.text._ZN2at6native12_GLOBAL__N_125multi_tensor_apply_kernelINS1_18TensorListMetadataILi1EEENS1_21BinaryOpScalarFunctorIlLi1ELi1ELi0EEEJNS1_13power_functorIlEElEEEvT_T0_DpT1_,"axG",@progbits,_ZN2at6native12_GLOBAL__N_125multi_tensor_apply_kernelINS1_18TensorListMetadataILi1EEENS1_21BinaryOpScalarFunctorIlLi1ELi1ELi0EEEJNS1_13power_functorIlEElEEEvT_T0_DpT1_,comdat
.Lfunc_end51:
	.size	_ZN2at6native12_GLOBAL__N_125multi_tensor_apply_kernelINS1_18TensorListMetadataILi1EEENS1_21BinaryOpScalarFunctorIlLi1ELi1ELi0EEEJNS1_13power_functorIlEElEEEvT_T0_DpT1_, .Lfunc_end51-_ZN2at6native12_GLOBAL__N_125multi_tensor_apply_kernelINS1_18TensorListMetadataILi1EEENS1_21BinaryOpScalarFunctorIlLi1ELi1ELi0EEEJNS1_13power_functorIlEElEEEvT_T0_DpT1_
                                        ; -- End function
	.section	.AMDGPU.csdata,"",@progbits
; Kernel info:
; codeLenInByte = 3512
; NumSgprs: 46
; NumVgprs: 28
; NumAgprs: 0
; TotalNumVgprs: 28
; ScratchSize: 0
; MemoryBound: 1
; FloatMode: 240
; IeeeMode: 1
; LDSByteSize: 0 bytes/workgroup (compile time only)
; SGPRBlocks: 5
; VGPRBlocks: 3
; NumSGPRsForWavesPerEU: 46
; NumVGPRsForWavesPerEU: 28
; AccumOffset: 28
; Occupancy: 8
; WaveLimiterHint : 0
; COMPUTE_PGM_RSRC2:SCRATCH_EN: 0
; COMPUTE_PGM_RSRC2:USER_SGPR: 6
; COMPUTE_PGM_RSRC2:TRAP_HANDLER: 0
; COMPUTE_PGM_RSRC2:TGID_X_EN: 1
; COMPUTE_PGM_RSRC2:TGID_Y_EN: 0
; COMPUTE_PGM_RSRC2:TGID_Z_EN: 0
; COMPUTE_PGM_RSRC2:TIDIG_COMP_CNT: 0
; COMPUTE_PGM_RSRC3_GFX90A:ACCUM_OFFSET: 6
; COMPUTE_PGM_RSRC3_GFX90A:TG_SPLIT: 0
	.section	.text._ZN2at6native12_GLOBAL__N_125multi_tensor_apply_kernelINS1_18TensorListMetadataILi1EEENS1_21BinaryOpScalarFunctorIsLi1ELi1ELi0EEEJNS1_13power_functorIsEEsEEEvT_T0_DpT1_,"axG",@progbits,_ZN2at6native12_GLOBAL__N_125multi_tensor_apply_kernelINS1_18TensorListMetadataILi1EEENS1_21BinaryOpScalarFunctorIsLi1ELi1ELi0EEEJNS1_13power_functorIsEEsEEEvT_T0_DpT1_,comdat
	.globl	_ZN2at6native12_GLOBAL__N_125multi_tensor_apply_kernelINS1_18TensorListMetadataILi1EEENS1_21BinaryOpScalarFunctorIsLi1ELi1ELi0EEEJNS1_13power_functorIsEEsEEEvT_T0_DpT1_ ; -- Begin function _ZN2at6native12_GLOBAL__N_125multi_tensor_apply_kernelINS1_18TensorListMetadataILi1EEENS1_21BinaryOpScalarFunctorIsLi1ELi1ELi0EEEJNS1_13power_functorIsEEsEEEvT_T0_DpT1_
	.p2align	8
	.type	_ZN2at6native12_GLOBAL__N_125multi_tensor_apply_kernelINS1_18TensorListMetadataILi1EEENS1_21BinaryOpScalarFunctorIsLi1ELi1ELi0EEEJNS1_13power_functorIsEEsEEEvT_T0_DpT1_,@function
_ZN2at6native12_GLOBAL__N_125multi_tensor_apply_kernelINS1_18TensorListMetadataILi1EEENS1_21BinaryOpScalarFunctorIsLi1ELi1ELi0EEEJNS1_13power_functorIsEEsEEEvT_T0_DpT1_: ; @_ZN2at6native12_GLOBAL__N_125multi_tensor_apply_kernelINS1_18TensorListMetadataILi1EEENS1_21BinaryOpScalarFunctorIsLi1ELi1ELi0EEEJNS1_13power_functorIsEEsEEEvT_T0_DpT1_
; %bb.0:
	v_mov_b32_e32 v1, s6
	global_load_ubyte v1, v1, s[4:5] offset:1760
	s_load_dword s0, s[4:5], 0xd28
	s_mul_i32 s2, s6, 3
	s_mul_hi_u32 s1, s6, 3
	s_mov_b32 s9, 0
	s_waitcnt lgkmcnt(0)
	s_lshr_b32 s28, s0, 16
	s_add_u32 s0, s4, s6
	s_addc_u32 s3, s5, 0
	s_add_u32 s0, s0, s2
	s_addc_u32 s1, s3, s1
	s_load_dword s0, s[0:1], 0x820
	s_waitcnt vmcnt(0)
	v_readfirstlane_b32 s1, v1
	s_lshl_b32 s1, s1, 3
	s_load_dwordx2 s[2:3], s[4:5], s1 offset:0x0
	s_load_dwordx2 s[6:7], s[4:5], s1 offset:0x370
	s_waitcnt lgkmcnt(0)
	s_ashr_i32 s1, s0, 31
	s_lshl_b64 s[10:11], s[0:1], 17
	s_add_u32 s29, s2, s10
	s_addc_u32 s30, s3, s11
	s_and_b32 s8, s29, 7
	s_lshl_b64 s[0:1], s[0:1], 16
	s_sub_u32 s14, s6, s0
	s_subb_u32 s15, s7, s1
	s_and_b32 s0, s6, 3
	s_mov_b32 s1, s9
	s_or_b64 s[0:1], s[8:9], s[0:1]
	s_cmp_eq_u64 s[0:1], 0
	s_cbranch_scc1 .LBB52_85
; %bb.1:
	v_cmp_lt_i64_e64 s[0:1], s[14:15], 1
	s_and_b64 vcc, exec, s[0:1]
	s_cbranch_vccnz .LBB52_84
; %bb.2:
	s_load_dword s0, s[4:5], 0xd3c
	v_mov_b32_e32 v2, 0x10000
	v_mov_b32_e32 v3, 0
	v_cmp_lt_u64_e32 vcc, s[14:15], v[2:3]
	v_and_b32_e64 v1, s28, 1
	s_waitcnt lgkmcnt(0)
	s_and_b32 s31, s0, 0xffff
	s_and_b64 s[0:1], vcc, exec
	s_cselect_b32 s17, s15, 0
	s_cselect_b32 s16, s14, 0x10000
	s_lshl_b32 s33, s31, 1
	s_sext_i32_i16 s0, s28
	s_cmp_gt_i32 s0, -1
	v_cmp_eq_u16_e32 vcc, 0, v1
	s_cselect_b64 s[18:19], -1, 0
	s_and_b64 s[0:1], vcc, exec
	v_cmp_ne_u16_e64 s[0:1], s28, 0
	v_cndmask_b32_e64 v2, 0, 1, s[0:1]
	s_mov_b32 s2, 0
	v_cmp_ne_u32_e64 s[0:1], 1, v2
	v_cndmask_b32_e64 v2, 0, 1, s[18:19]
	s_mul_i32 s34, s31, 3
	s_cselect_b32 s35, 1, 0xffff
	s_lshl_b32 s36, s31, 2
	s_mov_b64 s[20:21], 0
	v_mov_b32_e32 v1, s2
	v_mov_b32_e32 v10, s2
	v_mov_b32_e32 v11, s2
	v_cmp_ne_u32_e64 s[2:3], 1, v2
	s_branch .LBB52_4
.LBB52_3:                               ;   in Loop: Header=BB52_4 Depth=1
	s_or_b64 exec, exec, s[6:7]
	s_add_u32 s20, s20, s36
	s_addc_u32 s21, s21, 0
	v_pk_mov_b32 v[2:3], s[14:15], s[14:15] op_sel:[0,1]
	v_cmp_ge_i64_e32 vcc, s[20:21], v[2:3]
	v_mov_b32_e32 v2, 0xffff
	v_mov_b32_e32 v3, 0
	v_cmp_gt_u64_e64 s[6:7], s[20:21], v[2:3]
	s_or_b64 s[6:7], vcc, s[6:7]
	s_and_b64 vcc, exec, s[6:7]
	s_cbranch_vccnz .LBB52_84
.LBB52_4:                               ; =>This Loop Header: Depth=1
                                        ;     Child Loop BB52_15 Depth 2
                                        ;     Child Loop BB52_20 Depth 2
	;; [unrolled: 1-line block ×4, first 2 shown]
	v_mov_b32_e32 v2, s21
	v_add_co_u32_e32 v8, vcc, s20, v0
	v_addc_co_u32_e32 v9, vcc, 0, v2, vcc
	v_cmp_gt_u64_e64 s[6:7], s[16:17], v[8:9]
	v_lshlrev_b64 v[2:3], 1, v[8:9]
	s_waitcnt vmcnt(0)
	v_mov_b32_e32 v15, 0
	s_and_saveexec_b64 s[8:9], s[6:7]
	s_cbranch_execz .LBB52_6
; %bb.5:                                ;   in Loop: Header=BB52_4 Depth=1
	v_mov_b32_e32 v5, s30
	v_add_co_u32_e32 v4, vcc, s29, v2
	v_addc_co_u32_e32 v5, vcc, v5, v3, vcc
	global_load_ushort v15, v[4:5], off
.LBB52_6:                               ;   in Loop: Header=BB52_4 Depth=1
	s_or_b64 exec, exec, s[8:9]
	v_add_co_u32_e32 v4, vcc, s31, v8
	v_addc_co_u32_e32 v5, vcc, v9, v1, vcc
	v_cmp_gt_u64_e64 s[8:9], s[16:17], v[4:5]
	v_lshlrev_b64 v[4:5], 1, v[4:5]
	v_mov_b32_e32 v16, 0
	s_and_saveexec_b64 s[10:11], s[8:9]
	s_cbranch_execz .LBB52_8
; %bb.7:                                ;   in Loop: Header=BB52_4 Depth=1
	v_mov_b32_e32 v7, s30
	v_add_co_u32_e32 v6, vcc, s29, v4
	v_addc_co_u32_e32 v7, vcc, v7, v5, vcc
	global_load_ushort v16, v[6:7], off
.LBB52_8:                               ;   in Loop: Header=BB52_4 Depth=1
	s_or_b64 exec, exec, s[10:11]
	v_add_co_u32_e32 v6, vcc, s33, v8
	v_addc_co_u32_e32 v7, vcc, v9, v10, vcc
	v_cmp_gt_u64_e64 s[10:11], s[16:17], v[6:7]
	v_mov_b32_e32 v12, 0
	v_lshlrev_b64 v[6:7], 1, v[6:7]
	v_mov_b32_e32 v14, 0
	s_and_saveexec_b64 s[12:13], s[10:11]
	s_cbranch_execz .LBB52_10
; %bb.9:                                ;   in Loop: Header=BB52_4 Depth=1
	v_mov_b32_e32 v13, s30
	v_add_co_u32_e32 v18, vcc, s29, v6
	v_addc_co_u32_e32 v19, vcc, v13, v7, vcc
	global_load_ushort v14, v[18:19], off
.LBB52_10:                              ;   in Loop: Header=BB52_4 Depth=1
	s_or_b64 exec, exec, s[12:13]
	v_add_co_u32_e32 v8, vcc, s34, v8
	v_addc_co_u32_e32 v9, vcc, v9, v11, vcc
	v_cmp_gt_u64_e64 s[12:13], s[16:17], v[8:9]
	v_lshlrev_b64 v[8:9], 1, v[8:9]
	s_and_saveexec_b64 s[22:23], s[12:13]
	s_cbranch_execz .LBB52_12
; %bb.11:                               ;   in Loop: Header=BB52_4 Depth=1
	v_mov_b32_e32 v13, s30
	v_add_co_u32_e32 v12, vcc, s29, v8
	v_addc_co_u32_e32 v13, vcc, v13, v9, vcc
	global_load_ushort v12, v[12:13], off
.LBB52_12:                              ;   in Loop: Header=BB52_4 Depth=1
	s_or_b64 exec, exec, s[22:23]
	s_and_b64 vcc, exec, s[18:19]
	s_cbranch_vccz .LBB52_16
; %bb.13:                               ;   in Loop: Header=BB52_4 Depth=1
	s_and_b64 vcc, exec, s[0:1]
	s_cbranch_vccnz .LBB52_21
; %bb.14:                               ;   in Loop: Header=BB52_4 Depth=1
	v_mov_b32_e32 v18, s28
	v_mov_b32_e32 v13, 1
	s_waitcnt vmcnt(0)
	v_mov_b32_e32 v17, v15
.LBB52_15:                              ;   Parent Loop BB52_4 Depth=1
                                        ; =>  This Inner Loop Header: Depth=2
	v_and_b32_e32 v19, 1, v18
	v_cmp_eq_u32_e32 vcc, 1, v19
	v_cndmask_b32_e32 v19, 1, v17, vcc
	v_mul_lo_u16_e32 v13, v19, v13
	v_lshrrev_b16_e32 v19, 15, v18
	v_add_u16_e32 v19, v18, v19
	v_add_u16_e32 v18, 1, v18
	v_ashrrev_i16_e32 v19, 1, v19
	v_cmp_lt_u16_e32 vcc, 2, v18
	v_mul_lo_u16_e32 v17, v17, v17
	v_mov_b32_e32 v18, v19
	s_cbranch_vccnz .LBB52_15
	s_branch .LBB52_22
.LBB52_16:                              ;   in Loop: Header=BB52_4 Depth=1
                                        ; implicit-def: $vgpr13
	s_branch .LBB52_23
.LBB52_17:                              ;   in Loop: Header=BB52_4 Depth=1
	s_and_b64 vcc, exec, s[2:3]
	s_cbranch_vccnz .LBB52_29
.LBB52_18:                              ;   in Loop: Header=BB52_4 Depth=1
	s_and_b64 vcc, exec, s[0:1]
	s_cbranch_vccnz .LBB52_37
; %bb.19:                               ;   in Loop: Header=BB52_4 Depth=1
	v_mov_b32_e32 v18, s28
	s_waitcnt vmcnt(0)
	v_mov_b32_e32 v15, 1
	v_mov_b32_e32 v17, v16
.LBB52_20:                              ;   Parent Loop BB52_4 Depth=1
                                        ; =>  This Inner Loop Header: Depth=2
	v_and_b32_e32 v19, 1, v18
	v_cmp_eq_u32_e32 vcc, 1, v19
	v_cndmask_b32_e32 v19, 1, v17, vcc
	v_mul_lo_u16_e32 v15, v19, v15
	v_lshrrev_b16_e32 v19, 15, v18
	v_add_u16_e32 v19, v18, v19
	v_add_u16_e32 v18, 1, v18
	v_ashrrev_i16_e32 v19, 1, v19
	v_cmp_gt_u16_e32 vcc, 3, v18
	v_mul_lo_u16_e32 v17, v17, v17
	v_mov_b32_e32 v18, v19
	s_cbranch_vccz .LBB52_20
	s_branch .LBB52_38
.LBB52_21:                              ;   in Loop: Header=BB52_4 Depth=1
	v_mov_b32_e32 v13, 1
.LBB52_22:                              ;   in Loop: Header=BB52_4 Depth=1
	s_cbranch_execnz .LBB52_17
.LBB52_23:                              ;   in Loop: Header=BB52_4 Depth=1
	s_waitcnt vmcnt(0)
	v_cmp_lt_i16_e32 vcc, 0, v15
	s_mov_b64 s[22:23], 0
	s_mov_b64 s[24:25], 0
	s_and_saveexec_b64 s[26:27], vcc
	s_xor_b64 s[26:27], exec, s[26:27]
	s_cbranch_execnz .LBB52_34
; %bb.24:                               ;   in Loop: Header=BB52_4 Depth=1
	s_andn2_saveexec_b64 s[26:27], s[26:27]
	s_cbranch_execnz .LBB52_35
.LBB52_25:                              ;   in Loop: Header=BB52_4 Depth=1
	s_or_b64 exec, exec, s[26:27]
	s_and_saveexec_b64 s[26:27], s[24:25]
	s_xor_b64 s[24:25], exec, s[26:27]
	s_cbranch_execnz .LBB52_36
.LBB52_26:                              ;   in Loop: Header=BB52_4 Depth=1
	s_or_b64 exec, exec, s[24:25]
	s_and_saveexec_b64 s[24:25], s[22:23]
.LBB52_27:                              ;   in Loop: Header=BB52_4 Depth=1
	v_mov_b32_e32 v15, s35
.LBB52_28:                              ;   in Loop: Header=BB52_4 Depth=1
	s_or_b64 exec, exec, s[24:25]
	v_mov_b32_e32 v13, v15
	s_and_b64 vcc, exec, s[2:3]
	s_cbranch_vccz .LBB52_18
.LBB52_29:                              ;   in Loop: Header=BB52_4 Depth=1
                                        ; implicit-def: $vgpr15
	s_branch .LBB52_39
.LBB52_30:                              ;   in Loop: Header=BB52_4 Depth=1
	s_and_b64 vcc, exec, s[2:3]
	s_cbranch_vccnz .LBB52_45
.LBB52_31:                              ;   in Loop: Header=BB52_4 Depth=1
	s_and_b64 vcc, exec, s[0:1]
	s_cbranch_vccnz .LBB52_53
; %bb.32:                               ;   in Loop: Header=BB52_4 Depth=1
	v_mov_b32_e32 v18, s28
	s_waitcnt vmcnt(0)
	v_mov_b32_e32 v16, 1
	v_mov_b32_e32 v17, v14
.LBB52_33:                              ;   Parent Loop BB52_4 Depth=1
                                        ; =>  This Inner Loop Header: Depth=2
	v_and_b32_e32 v19, 1, v18
	v_cmp_eq_u32_e32 vcc, 1, v19
	v_cndmask_b32_e32 v19, 1, v17, vcc
	v_mul_lo_u16_e32 v16, v19, v16
	v_lshrrev_b16_e32 v19, 15, v18
	v_add_u16_e32 v19, v18, v19
	v_add_u16_e32 v18, 1, v18
	v_ashrrev_i16_e32 v19, 1, v19
	v_cmp_gt_u16_e32 vcc, 3, v18
	v_mul_lo_u16_e32 v17, v17, v17
	v_mov_b32_e32 v18, v19
	s_cbranch_vccz .LBB52_33
	s_branch .LBB52_54
.LBB52_34:                              ;   in Loop: Header=BB52_4 Depth=1
	v_cmp_ne_u16_e32 vcc, 1, v15
	s_and_b64 s[24:25], vcc, exec
	s_andn2_saveexec_b64 s[26:27], s[26:27]
	s_cbranch_execz .LBB52_25
.LBB52_35:                              ;   in Loop: Header=BB52_4 Depth=1
	v_cmp_ne_u16_e32 vcc, -1, v15
	s_andn2_b64 s[24:25], s[24:25], exec
	s_and_b64 s[38:39], vcc, exec
	s_mov_b64 s[22:23], exec
	s_or_b64 s[24:25], s[24:25], s[38:39]
                                        ; implicit-def: $vgpr15
	s_or_b64 exec, exec, s[26:27]
	s_and_saveexec_b64 s[26:27], s[24:25]
	s_xor_b64 s[24:25], exec, s[26:27]
	s_cbranch_execz .LBB52_26
.LBB52_36:                              ;   in Loop: Header=BB52_4 Depth=1
	v_mov_b32_e32 v15, 0
	s_andn2_b64 s[22:23], s[22:23], exec
	s_or_b64 exec, exec, s[24:25]
	s_and_saveexec_b64 s[24:25], s[22:23]
	s_cbranch_execnz .LBB52_27
	s_branch .LBB52_28
.LBB52_37:                              ;   in Loop: Header=BB52_4 Depth=1
	s_waitcnt vmcnt(0)
	v_mov_b32_e32 v15, 1
.LBB52_38:                              ;   in Loop: Header=BB52_4 Depth=1
	s_cbranch_execnz .LBB52_30
.LBB52_39:                              ;   in Loop: Header=BB52_4 Depth=1
	s_waitcnt vmcnt(0)
	v_cmp_lt_i16_e32 vcc, 0, v16
	s_mov_b64 s[22:23], 0
	s_mov_b64 s[24:25], 0
	s_and_saveexec_b64 s[26:27], vcc
	s_xor_b64 s[26:27], exec, s[26:27]
	s_cbranch_execnz .LBB52_50
; %bb.40:                               ;   in Loop: Header=BB52_4 Depth=1
	s_andn2_saveexec_b64 s[26:27], s[26:27]
	s_cbranch_execnz .LBB52_51
.LBB52_41:                              ;   in Loop: Header=BB52_4 Depth=1
	s_or_b64 exec, exec, s[26:27]
	s_and_saveexec_b64 s[26:27], s[24:25]
	s_xor_b64 s[24:25], exec, s[26:27]
	s_cbranch_execnz .LBB52_52
.LBB52_42:                              ;   in Loop: Header=BB52_4 Depth=1
	s_or_b64 exec, exec, s[24:25]
	s_and_saveexec_b64 s[24:25], s[22:23]
.LBB52_43:                              ;   in Loop: Header=BB52_4 Depth=1
	v_mov_b32_e32 v16, s35
.LBB52_44:                              ;   in Loop: Header=BB52_4 Depth=1
	s_or_b64 exec, exec, s[24:25]
	v_mov_b32_e32 v15, v16
	s_and_b64 vcc, exec, s[2:3]
	s_cbranch_vccz .LBB52_31
.LBB52_45:                              ;   in Loop: Header=BB52_4 Depth=1
                                        ; implicit-def: $vgpr16
	s_branch .LBB52_55
.LBB52_46:                              ;   in Loop: Header=BB52_4 Depth=1
	s_and_b64 vcc, exec, s[2:3]
	s_cbranch_vccnz .LBB52_61
.LBB52_47:                              ;   in Loop: Header=BB52_4 Depth=1
	s_and_b64 vcc, exec, s[0:1]
	s_cbranch_vccnz .LBB52_65
; %bb.48:                               ;   in Loop: Header=BB52_4 Depth=1
	v_mov_b32_e32 v18, s28
	s_waitcnt vmcnt(0)
	v_mov_b32_e32 v14, 1
	v_mov_b32_e32 v17, v12
.LBB52_49:                              ;   Parent Loop BB52_4 Depth=1
                                        ; =>  This Inner Loop Header: Depth=2
	v_and_b32_e32 v19, 1, v18
	v_cmp_eq_u32_e32 vcc, 1, v19
	v_cndmask_b32_e32 v19, 1, v17, vcc
	v_mul_lo_u16_e32 v14, v19, v14
	v_lshrrev_b16_e32 v19, 15, v18
	v_add_u16_e32 v19, v18, v19
	v_add_u16_e32 v18, 1, v18
	v_ashrrev_i16_e32 v19, 1, v19
	v_cmp_gt_u16_e32 vcc, 3, v18
	v_mul_lo_u16_e32 v17, v17, v17
	v_mov_b32_e32 v18, v19
	s_cbranch_vccz .LBB52_49
	s_branch .LBB52_66
.LBB52_50:                              ;   in Loop: Header=BB52_4 Depth=1
	v_cmp_ne_u16_e32 vcc, 1, v16
	s_and_b64 s[24:25], vcc, exec
	s_andn2_saveexec_b64 s[26:27], s[26:27]
	s_cbranch_execz .LBB52_41
.LBB52_51:                              ;   in Loop: Header=BB52_4 Depth=1
	v_cmp_ne_u16_e32 vcc, -1, v16
	s_andn2_b64 s[24:25], s[24:25], exec
	s_and_b64 s[38:39], vcc, exec
	s_mov_b64 s[22:23], exec
	s_or_b64 s[24:25], s[24:25], s[38:39]
                                        ; implicit-def: $vgpr16
	s_or_b64 exec, exec, s[26:27]
	s_and_saveexec_b64 s[26:27], s[24:25]
	s_xor_b64 s[24:25], exec, s[26:27]
	s_cbranch_execz .LBB52_42
.LBB52_52:                              ;   in Loop: Header=BB52_4 Depth=1
	v_mov_b32_e32 v16, 0
	s_andn2_b64 s[22:23], s[22:23], exec
	s_or_b64 exec, exec, s[24:25]
	s_and_saveexec_b64 s[24:25], s[22:23]
	s_cbranch_execnz .LBB52_43
	s_branch .LBB52_44
.LBB52_53:                              ;   in Loop: Header=BB52_4 Depth=1
	s_waitcnt vmcnt(0)
	v_mov_b32_e32 v16, 1
.LBB52_54:                              ;   in Loop: Header=BB52_4 Depth=1
	s_cbranch_execnz .LBB52_46
.LBB52_55:                              ;   in Loop: Header=BB52_4 Depth=1
	s_waitcnt vmcnt(0)
	v_cmp_lt_i16_e32 vcc, 0, v14
	s_mov_b64 s[22:23], 0
	s_mov_b64 s[24:25], 0
	s_and_saveexec_b64 s[26:27], vcc
	s_xor_b64 s[26:27], exec, s[26:27]
	s_cbranch_execnz .LBB52_62
; %bb.56:                               ;   in Loop: Header=BB52_4 Depth=1
	s_andn2_saveexec_b64 s[26:27], s[26:27]
	s_cbranch_execnz .LBB52_63
.LBB52_57:                              ;   in Loop: Header=BB52_4 Depth=1
	s_or_b64 exec, exec, s[26:27]
	s_and_saveexec_b64 s[26:27], s[24:25]
	s_xor_b64 s[24:25], exec, s[26:27]
	s_cbranch_execnz .LBB52_64
.LBB52_58:                              ;   in Loop: Header=BB52_4 Depth=1
	s_or_b64 exec, exec, s[24:25]
	s_and_saveexec_b64 s[24:25], s[22:23]
.LBB52_59:                              ;   in Loop: Header=BB52_4 Depth=1
	v_mov_b32_e32 v14, s35
.LBB52_60:                              ;   in Loop: Header=BB52_4 Depth=1
	s_or_b64 exec, exec, s[24:25]
	v_mov_b32_e32 v16, v14
	s_and_b64 vcc, exec, s[2:3]
	s_cbranch_vccz .LBB52_47
.LBB52_61:                              ;   in Loop: Header=BB52_4 Depth=1
                                        ; implicit-def: $vgpr14
	s_branch .LBB52_67
.LBB52_62:                              ;   in Loop: Header=BB52_4 Depth=1
	v_cmp_ne_u16_e32 vcc, 1, v14
	s_and_b64 s[24:25], vcc, exec
	s_andn2_saveexec_b64 s[26:27], s[26:27]
	s_cbranch_execz .LBB52_57
.LBB52_63:                              ;   in Loop: Header=BB52_4 Depth=1
	v_cmp_ne_u16_e32 vcc, -1, v14
	s_andn2_b64 s[24:25], s[24:25], exec
	s_and_b64 s[38:39], vcc, exec
	s_mov_b64 s[22:23], exec
	s_or_b64 s[24:25], s[24:25], s[38:39]
                                        ; implicit-def: $vgpr14
	s_or_b64 exec, exec, s[26:27]
	s_and_saveexec_b64 s[26:27], s[24:25]
	s_xor_b64 s[24:25], exec, s[26:27]
	s_cbranch_execz .LBB52_58
.LBB52_64:                              ;   in Loop: Header=BB52_4 Depth=1
	v_mov_b32_e32 v14, 0
	s_andn2_b64 s[22:23], s[22:23], exec
	s_or_b64 exec, exec, s[24:25]
	s_and_saveexec_b64 s[24:25], s[22:23]
	s_cbranch_execnz .LBB52_59
	s_branch .LBB52_60
.LBB52_65:                              ;   in Loop: Header=BB52_4 Depth=1
	s_waitcnt vmcnt(0)
	v_mov_b32_e32 v14, 1
.LBB52_66:                              ;   in Loop: Header=BB52_4 Depth=1
	s_cbranch_execnz .LBB52_73
.LBB52_67:                              ;   in Loop: Header=BB52_4 Depth=1
	s_waitcnt vmcnt(0)
	v_cmp_lt_i16_e32 vcc, 0, v12
	s_mov_b64 s[22:23], 0
	s_mov_b64 s[24:25], 0
	s_and_saveexec_b64 s[26:27], vcc
	s_xor_b64 s[26:27], exec, s[26:27]
	s_cbranch_execnz .LBB52_81
; %bb.68:                               ;   in Loop: Header=BB52_4 Depth=1
	s_andn2_saveexec_b64 s[26:27], s[26:27]
	s_cbranch_execnz .LBB52_82
.LBB52_69:                              ;   in Loop: Header=BB52_4 Depth=1
	s_or_b64 exec, exec, s[26:27]
	s_and_saveexec_b64 s[26:27], s[24:25]
	s_xor_b64 s[24:25], exec, s[26:27]
	s_cbranch_execnz .LBB52_83
.LBB52_70:                              ;   in Loop: Header=BB52_4 Depth=1
	s_or_b64 exec, exec, s[24:25]
	s_and_saveexec_b64 s[24:25], s[22:23]
.LBB52_71:                              ;   in Loop: Header=BB52_4 Depth=1
	v_mov_b32_e32 v12, s35
.LBB52_72:                              ;   in Loop: Header=BB52_4 Depth=1
	s_or_b64 exec, exec, s[24:25]
	v_mov_b32_e32 v14, v12
.LBB52_73:                              ;   in Loop: Header=BB52_4 Depth=1
	s_and_saveexec_b64 s[22:23], s[6:7]
	s_xor_b64 s[6:7], exec, s[22:23]
	s_cbranch_execnz .LBB52_77
; %bb.74:                               ;   in Loop: Header=BB52_4 Depth=1
	s_or_b64 exec, exec, s[6:7]
	s_and_saveexec_b64 s[6:7], s[8:9]
	s_cbranch_execnz .LBB52_78
.LBB52_75:                              ;   in Loop: Header=BB52_4 Depth=1
	s_or_b64 exec, exec, s[6:7]
	s_and_saveexec_b64 s[6:7], s[10:11]
	s_cbranch_execnz .LBB52_79
.LBB52_76:                              ;   in Loop: Header=BB52_4 Depth=1
	s_or_b64 exec, exec, s[6:7]
	s_and_saveexec_b64 s[6:7], s[12:13]
	s_cbranch_execz .LBB52_3
	s_branch .LBB52_80
.LBB52_77:                              ;   in Loop: Header=BB52_4 Depth=1
	s_waitcnt vmcnt(0)
	v_mov_b32_e32 v12, s30
	v_add_co_u32_e32 v2, vcc, s29, v2
	v_addc_co_u32_e32 v3, vcc, v12, v3, vcc
	global_store_short v[2:3], v13, off
	s_or_b64 exec, exec, s[6:7]
	s_and_saveexec_b64 s[6:7], s[8:9]
	s_cbranch_execz .LBB52_75
.LBB52_78:                              ;   in Loop: Header=BB52_4 Depth=1
	v_mov_b32_e32 v3, s30
	v_add_co_u32_e32 v2, vcc, s29, v4
	v_addc_co_u32_e32 v3, vcc, v3, v5, vcc
	s_waitcnt vmcnt(0)
	global_store_short v[2:3], v15, off
	s_or_b64 exec, exec, s[6:7]
	s_and_saveexec_b64 s[6:7], s[10:11]
	s_cbranch_execz .LBB52_76
.LBB52_79:                              ;   in Loop: Header=BB52_4 Depth=1
	v_mov_b32_e32 v3, s30
	v_add_co_u32_e32 v2, vcc, s29, v6
	v_addc_co_u32_e32 v3, vcc, v3, v7, vcc
	s_waitcnt vmcnt(0)
	global_store_short v[2:3], v16, off
	s_or_b64 exec, exec, s[6:7]
	s_and_saveexec_b64 s[6:7], s[12:13]
	s_cbranch_execz .LBB52_3
.LBB52_80:                              ;   in Loop: Header=BB52_4 Depth=1
	v_mov_b32_e32 v3, s30
	v_add_co_u32_e32 v2, vcc, s29, v8
	v_addc_co_u32_e32 v3, vcc, v3, v9, vcc
	s_waitcnt vmcnt(0)
	global_store_short v[2:3], v14, off
	s_branch .LBB52_3
.LBB52_81:                              ;   in Loop: Header=BB52_4 Depth=1
	v_cmp_ne_u16_e32 vcc, 1, v12
	s_and_b64 s[24:25], vcc, exec
	s_andn2_saveexec_b64 s[26:27], s[26:27]
	s_cbranch_execz .LBB52_69
.LBB52_82:                              ;   in Loop: Header=BB52_4 Depth=1
	v_cmp_ne_u16_e32 vcc, -1, v12
	s_andn2_b64 s[24:25], s[24:25], exec
	s_and_b64 s[38:39], vcc, exec
	s_mov_b64 s[22:23], exec
	s_or_b64 s[24:25], s[24:25], s[38:39]
                                        ; implicit-def: $vgpr12
	s_or_b64 exec, exec, s[26:27]
	s_and_saveexec_b64 s[26:27], s[24:25]
	s_xor_b64 s[24:25], exec, s[26:27]
	s_cbranch_execz .LBB52_70
.LBB52_83:                              ;   in Loop: Header=BB52_4 Depth=1
	v_mov_b32_e32 v12, 0
	s_andn2_b64 s[22:23], s[22:23], exec
	s_or_b64 exec, exec, s[24:25]
	s_and_saveexec_b64 s[24:25], s[22:23]
	s_cbranch_execnz .LBB52_71
	s_branch .LBB52_72
.LBB52_84:
	s_cbranch_execz .LBB52_86
	s_branch .LBB52_153
.LBB52_85:
.LBB52_86:
	v_mov_b32_e32 v3, 0
	v_lshlrev_b32_e32 v2, 2, v0
	s_mov_b32 s18, 0
	v_cmp_gt_i64_e32 vcc, s[14:15], v[2:3]
	s_and_saveexec_b64 s[0:1], vcc
	s_cbranch_execz .LBB52_153
; %bb.87:
	s_sext_i32_i16 s0, s28
	v_and_b32_e64 v2, s28, 1
	s_cmp_gt_i32 s0, -1
	s_load_dword s2, s[4:5], 0xd3c
	v_cmp_eq_u16_e32 vcc, 0, v2
	s_cselect_b64 s[6:7], -1, 0
	s_and_b64 s[0:1], vcc, exec
	v_cmp_ne_u16_e64 s[0:1], s28, 0
	v_cndmask_b32_e64 v2, 0, 1, s[0:1]
	v_cmp_ne_u32_e64 s[0:1], 1, v2
	v_cndmask_b32_e64 v2, 0, 1, s[6:7]
	v_mov_b32_e32 v1, v3
	s_cselect_b32 s19, 1, 0xffff
	s_waitcnt lgkmcnt(0)
	s_and_b32 s20, s2, 0xffff
	s_mov_b64 s[8:9], 0
	v_mov_b32_e32 v6, s30
	v_cmp_ne_u32_e64 s[2:3], 1, v2
	s_mov_b64 s[10:11], 0xffff
	s_branch .LBB52_90
.LBB52_88:                              ;   in Loop: Header=BB52_90 Depth=1
	s_or_b64 exec, exec, s[12:13]
	v_mov_b32_e32 v9, v5
.LBB52_89:                              ;   in Loop: Header=BB52_90 Depth=1
	v_lshlrev_b32_e32 v4, 16, v4
	v_and_b32_e32 v7, 0xffff, v7
	v_or_b32_e32 v4, v4, v7
	v_mov_b32_e32 v7, s18
	v_add_co_u32_e32 v0, vcc, s20, v0
	v_lshlrev_b32_e32 v5, 16, v9
	v_addc_co_u32_e32 v1, vcc, v1, v7, vcc
	v_or_b32_sdwa v5, v5, v8 dst_sel:DWORD dst_unused:UNUSED_PAD src0_sel:DWORD src1_sel:WORD_0
	v_lshlrev_b64 v[8:9], 2, v[0:1]
	v_cmp_le_i64_e32 vcc, s[14:15], v[8:9]
	v_cmp_lt_u64_e64 s[4:5], s[10:11], v[8:9]
	s_or_b64 s[4:5], vcc, s[4:5]
	s_and_b64 s[4:5], exec, s[4:5]
	s_or_b64 s[8:9], s[4:5], s[8:9]
	global_store_dwordx2 v[2:3], v[4:5], off
	s_andn2_b64 exec, exec, s[8:9]
	s_cbranch_execz .LBB52_153
.LBB52_90:                              ; =>This Loop Header: Depth=1
                                        ;     Child Loop BB52_93 Depth 2
                                        ;     Child Loop BB52_98 Depth 2
	;; [unrolled: 1-line block ×4, first 2 shown]
	v_lshlrev_b64 v[2:3], 3, v[0:1]
	v_add_co_u32_e32 v2, vcc, s29, v2
	v_addc_co_u32_e32 v3, vcc, v6, v3, vcc
	global_load_dwordx2 v[4:5], v[2:3], off
	s_and_b64 vcc, exec, s[6:7]
	s_cbranch_vccz .LBB52_94
; %bb.91:                               ;   in Loop: Header=BB52_90 Depth=1
	s_and_b64 vcc, exec, s[0:1]
	s_cbranch_vccnz .LBB52_99
; %bb.92:                               ;   in Loop: Header=BB52_90 Depth=1
	v_mov_b32_e32 v9, s28
	v_mov_b32_e32 v7, 1
	s_waitcnt vmcnt(0)
	v_mov_b32_e32 v8, v4
.LBB52_93:                              ;   Parent Loop BB52_90 Depth=1
                                        ; =>  This Inner Loop Header: Depth=2
	v_and_b32_e32 v10, 1, v9
	v_cmp_eq_u32_e32 vcc, 1, v10
	v_cndmask_b32_e32 v10, 1, v8, vcc
	v_mul_lo_u16_e32 v7, v10, v7
	v_lshrrev_b16_e32 v10, 15, v9
	v_add_u16_e32 v10, v9, v10
	v_add_u16_e32 v9, 1, v9
	v_ashrrev_i16_e32 v10, 1, v10
	v_cmp_lt_u16_e32 vcc, 2, v9
	v_mul_lo_u16_e32 v8, v8, v8
	v_mov_b32_e32 v9, v10
	s_cbranch_vccnz .LBB52_93
	s_branch .LBB52_100
.LBB52_94:                              ;   in Loop: Header=BB52_90 Depth=1
                                        ; implicit-def: $vgpr7
	s_branch .LBB52_101
.LBB52_95:                              ;   in Loop: Header=BB52_90 Depth=1
	s_and_b64 vcc, exec, s[2:3]
	s_waitcnt vmcnt(0)
	v_lshrrev_b32_e32 v8, 16, v4
	s_cbranch_vccnz .LBB52_110
.LBB52_96:                              ;   in Loop: Header=BB52_90 Depth=1
	s_and_b64 vcc, exec, s[0:1]
	s_cbranch_vccnz .LBB52_115
; %bb.97:                               ;   in Loop: Header=BB52_90 Depth=1
	v_mov_b32_e32 v10, s28
	v_mov_b32_e32 v4, 1
	;; [unrolled: 1-line block ×3, first 2 shown]
.LBB52_98:                              ;   Parent Loop BB52_90 Depth=1
                                        ; =>  This Inner Loop Header: Depth=2
	v_and_b32_e32 v11, 1, v10
	v_cmp_eq_u32_e32 vcc, 1, v11
	v_cndmask_b32_e32 v11, 1, v9, vcc
	v_mul_lo_u16_e32 v4, v11, v4
	v_lshrrev_b16_e32 v11, 15, v10
	v_add_u16_e32 v11, v10, v11
	v_add_u16_e32 v10, 1, v10
	v_ashrrev_i16_e32 v11, 1, v11
	v_cmp_gt_u16_e32 vcc, 3, v10
	v_mul_lo_u16_e32 v9, v9, v9
	v_mov_b32_e32 v10, v11
	s_cbranch_vccz .LBB52_98
	s_branch .LBB52_116
.LBB52_99:                              ;   in Loop: Header=BB52_90 Depth=1
	v_mov_b32_e32 v7, 1
.LBB52_100:                             ;   in Loop: Header=BB52_90 Depth=1
	s_cbranch_execnz .LBB52_95
.LBB52_101:                             ;   in Loop: Header=BB52_90 Depth=1
	s_waitcnt vmcnt(0)
	v_cmp_lt_i16_e32 vcc, 0, v4
	s_mov_b64 s[4:5], 0
	s_mov_b64 s[12:13], 0
	s_and_saveexec_b64 s[16:17], vcc
	s_xor_b64 s[16:17], exec, s[16:17]
; %bb.102:                              ;   in Loop: Header=BB52_90 Depth=1
	v_cmp_ne_u16_e32 vcc, 1, v4
	s_and_b64 s[12:13], vcc, exec
; %bb.103:                              ;   in Loop: Header=BB52_90 Depth=1
	s_andn2_saveexec_b64 s[16:17], s[16:17]
; %bb.104:                              ;   in Loop: Header=BB52_90 Depth=1
	v_cmp_ne_u16_e32 vcc, -1, v4
	s_andn2_b64 s[12:13], s[12:13], exec
	s_and_b64 s[22:23], vcc, exec
	s_mov_b64 s[4:5], exec
	s_or_b64 s[12:13], s[12:13], s[22:23]
; %bb.105:                              ;   in Loop: Header=BB52_90 Depth=1
	s_or_b64 exec, exec, s[16:17]
	v_mov_b32_e32 v7, v4
	s_and_saveexec_b64 s[16:17], s[12:13]
	s_xor_b64 s[12:13], exec, s[16:17]
; %bb.106:                              ;   in Loop: Header=BB52_90 Depth=1
	v_mov_b32_e32 v7, 0
	s_andn2_b64 s[4:5], s[4:5], exec
; %bb.107:                              ;   in Loop: Header=BB52_90 Depth=1
	s_or_b64 exec, exec, s[12:13]
	s_and_saveexec_b64 s[12:13], s[4:5]
; %bb.108:                              ;   in Loop: Header=BB52_90 Depth=1
	v_mov_b32_e32 v7, s19
; %bb.109:                              ;   in Loop: Header=BB52_90 Depth=1
	s_or_b64 exec, exec, s[12:13]
	s_and_b64 vcc, exec, s[2:3]
	v_lshrrev_b32_e32 v8, 16, v4
	s_cbranch_vccz .LBB52_96
.LBB52_110:                             ;   in Loop: Header=BB52_90 Depth=1
                                        ; implicit-def: $vgpr4
	s_branch .LBB52_117
.LBB52_111:                             ;   in Loop: Header=BB52_90 Depth=1
	s_and_b64 vcc, exec, s[2:3]
	s_cbranch_vccnz .LBB52_123
.LBB52_112:                             ;   in Loop: Header=BB52_90 Depth=1
	s_and_b64 vcc, exec, s[0:1]
	s_cbranch_vccnz .LBB52_131
; %bb.113:                              ;   in Loop: Header=BB52_90 Depth=1
	v_mov_b32_e32 v10, s28
	v_mov_b32_e32 v8, 1
	;; [unrolled: 1-line block ×3, first 2 shown]
.LBB52_114:                             ;   Parent Loop BB52_90 Depth=1
                                        ; =>  This Inner Loop Header: Depth=2
	v_and_b32_e32 v11, 1, v10
	v_cmp_eq_u32_e32 vcc, 1, v11
	v_cndmask_b32_e32 v11, 1, v9, vcc
	v_mul_lo_u16_e32 v8, v11, v8
	v_lshrrev_b16_e32 v11, 15, v10
	v_add_u16_e32 v11, v10, v11
	v_add_u16_e32 v10, 1, v10
	v_ashrrev_i16_e32 v11, 1, v11
	v_cmp_gt_u16_e32 vcc, 3, v10
	v_mul_lo_u16_e32 v9, v9, v9
	v_mov_b32_e32 v10, v11
	s_cbranch_vccz .LBB52_114
	s_branch .LBB52_132
.LBB52_115:                             ;   in Loop: Header=BB52_90 Depth=1
	v_mov_b32_e32 v4, 1
.LBB52_116:                             ;   in Loop: Header=BB52_90 Depth=1
	s_cbranch_execnz .LBB52_111
.LBB52_117:                             ;   in Loop: Header=BB52_90 Depth=1
	v_cmp_lt_i16_e32 vcc, 0, v8
	s_mov_b64 s[4:5], 0
	s_mov_b64 s[12:13], 0
	s_and_saveexec_b64 s[16:17], vcc
	s_xor_b64 s[16:17], exec, s[16:17]
	s_cbranch_execnz .LBB52_128
; %bb.118:                              ;   in Loop: Header=BB52_90 Depth=1
	s_andn2_saveexec_b64 s[16:17], s[16:17]
	s_cbranch_execnz .LBB52_129
.LBB52_119:                             ;   in Loop: Header=BB52_90 Depth=1
	s_or_b64 exec, exec, s[16:17]
	s_and_saveexec_b64 s[16:17], s[12:13]
	s_xor_b64 s[12:13], exec, s[16:17]
	s_cbranch_execnz .LBB52_130
.LBB52_120:                             ;   in Loop: Header=BB52_90 Depth=1
	s_or_b64 exec, exec, s[12:13]
	s_and_saveexec_b64 s[12:13], s[4:5]
.LBB52_121:                             ;   in Loop: Header=BB52_90 Depth=1
	v_mov_b32_e32 v8, s19
.LBB52_122:                             ;   in Loop: Header=BB52_90 Depth=1
	s_or_b64 exec, exec, s[12:13]
	v_mov_b32_e32 v4, v8
	s_and_b64 vcc, exec, s[2:3]
	s_cbranch_vccz .LBB52_112
.LBB52_123:                             ;   in Loop: Header=BB52_90 Depth=1
                                        ; implicit-def: $vgpr8
	s_branch .LBB52_133
.LBB52_124:                             ;   in Loop: Header=BB52_90 Depth=1
	s_and_b64 vcc, exec, s[2:3]
	v_lshrrev_b32_e32 v5, 16, v5
	s_cbranch_vccnz .LBB52_142
.LBB52_125:                             ;   in Loop: Header=BB52_90 Depth=1
	s_and_b64 vcc, exec, s[0:1]
	s_cbranch_vccnz .LBB52_143
; %bb.126:                              ;   in Loop: Header=BB52_90 Depth=1
	v_mov_b32_e32 v11, s28
	v_mov_b32_e32 v9, 1
	;; [unrolled: 1-line block ×3, first 2 shown]
.LBB52_127:                             ;   Parent Loop BB52_90 Depth=1
                                        ; =>  This Inner Loop Header: Depth=2
	v_and_b32_e32 v12, 1, v11
	v_cmp_eq_u32_e32 vcc, 1, v12
	v_cndmask_b32_e32 v12, 1, v10, vcc
	v_mul_lo_u16_e32 v9, v12, v9
	v_lshrrev_b16_e32 v12, 15, v11
	v_add_u16_e32 v12, v11, v12
	v_add_u16_e32 v11, 1, v11
	v_ashrrev_i16_e32 v12, 1, v12
	v_cmp_gt_u16_e32 vcc, 3, v11
	v_mul_lo_u16_e32 v10, v10, v10
	v_mov_b32_e32 v11, v12
	s_cbranch_vccz .LBB52_127
	s_branch .LBB52_144
.LBB52_128:                             ;   in Loop: Header=BB52_90 Depth=1
	v_cmp_ne_u16_e32 vcc, 1, v8
	s_and_b64 s[12:13], vcc, exec
	s_andn2_saveexec_b64 s[16:17], s[16:17]
	s_cbranch_execz .LBB52_119
.LBB52_129:                             ;   in Loop: Header=BB52_90 Depth=1
	v_cmp_ne_u16_e32 vcc, -1, v8
	s_andn2_b64 s[12:13], s[12:13], exec
	s_and_b64 s[22:23], vcc, exec
	s_mov_b64 s[4:5], exec
	s_or_b64 s[12:13], s[12:13], s[22:23]
                                        ; implicit-def: $vgpr8
	s_or_b64 exec, exec, s[16:17]
	s_and_saveexec_b64 s[16:17], s[12:13]
	s_xor_b64 s[12:13], exec, s[16:17]
	s_cbranch_execz .LBB52_120
.LBB52_130:                             ;   in Loop: Header=BB52_90 Depth=1
	v_mov_b32_e32 v8, 0
	s_andn2_b64 s[4:5], s[4:5], exec
	s_or_b64 exec, exec, s[12:13]
	s_and_saveexec_b64 s[12:13], s[4:5]
	s_cbranch_execnz .LBB52_121
	s_branch .LBB52_122
.LBB52_131:                             ;   in Loop: Header=BB52_90 Depth=1
	v_mov_b32_e32 v8, 1
.LBB52_132:                             ;   in Loop: Header=BB52_90 Depth=1
	s_cbranch_execnz .LBB52_124
.LBB52_133:                             ;   in Loop: Header=BB52_90 Depth=1
	v_cmp_lt_i16_e32 vcc, 0, v5
	s_mov_b64 s[4:5], 0
	s_mov_b64 s[12:13], 0
	s_and_saveexec_b64 s[16:17], vcc
	s_xor_b64 s[16:17], exec, s[16:17]
; %bb.134:                              ;   in Loop: Header=BB52_90 Depth=1
	v_cmp_ne_u16_e32 vcc, 1, v5
	s_and_b64 s[12:13], vcc, exec
; %bb.135:                              ;   in Loop: Header=BB52_90 Depth=1
	s_andn2_saveexec_b64 s[16:17], s[16:17]
; %bb.136:                              ;   in Loop: Header=BB52_90 Depth=1
	v_cmp_ne_u16_e32 vcc, -1, v5
	s_andn2_b64 s[12:13], s[12:13], exec
	s_and_b64 s[22:23], vcc, exec
	s_mov_b64 s[4:5], exec
	s_or_b64 s[12:13], s[12:13], s[22:23]
; %bb.137:                              ;   in Loop: Header=BB52_90 Depth=1
	s_or_b64 exec, exec, s[16:17]
	v_mov_b32_e32 v8, v5
	s_and_saveexec_b64 s[16:17], s[12:13]
	s_xor_b64 s[12:13], exec, s[16:17]
; %bb.138:                              ;   in Loop: Header=BB52_90 Depth=1
	v_mov_b32_e32 v8, 0
	s_andn2_b64 s[4:5], s[4:5], exec
; %bb.139:                              ;   in Loop: Header=BB52_90 Depth=1
	s_or_b64 exec, exec, s[12:13]
	s_and_saveexec_b64 s[12:13], s[4:5]
; %bb.140:                              ;   in Loop: Header=BB52_90 Depth=1
	v_mov_b32_e32 v8, s19
; %bb.141:                              ;   in Loop: Header=BB52_90 Depth=1
	s_or_b64 exec, exec, s[12:13]
	s_and_b64 vcc, exec, s[2:3]
	v_lshrrev_b32_e32 v5, 16, v5
	s_cbranch_vccz .LBB52_125
.LBB52_142:                             ;   in Loop: Header=BB52_90 Depth=1
                                        ; implicit-def: $vgpr9
	s_branch .LBB52_145
.LBB52_143:                             ;   in Loop: Header=BB52_90 Depth=1
	v_mov_b32_e32 v9, 1
.LBB52_144:                             ;   in Loop: Header=BB52_90 Depth=1
	s_cbranch_execnz .LBB52_89
.LBB52_145:                             ;   in Loop: Header=BB52_90 Depth=1
	v_cmp_lt_i16_e32 vcc, 0, v5
	s_mov_b64 s[4:5], 0
	s_mov_b64 s[12:13], 0
	s_and_saveexec_b64 s[16:17], vcc
	s_xor_b64 s[16:17], exec, s[16:17]
	s_cbranch_execnz .LBB52_149
; %bb.146:                              ;   in Loop: Header=BB52_90 Depth=1
	s_andn2_saveexec_b64 s[16:17], s[16:17]
	s_cbranch_execnz .LBB52_150
.LBB52_147:                             ;   in Loop: Header=BB52_90 Depth=1
	s_or_b64 exec, exec, s[16:17]
	s_and_saveexec_b64 s[16:17], s[12:13]
	s_xor_b64 s[12:13], exec, s[16:17]
	s_cbranch_execnz .LBB52_151
.LBB52_148:                             ;   in Loop: Header=BB52_90 Depth=1
	s_or_b64 exec, exec, s[12:13]
	s_and_saveexec_b64 s[12:13], s[4:5]
	s_cbranch_execz .LBB52_88
	s_branch .LBB52_152
.LBB52_149:                             ;   in Loop: Header=BB52_90 Depth=1
	v_cmp_ne_u16_e32 vcc, 1, v5
	s_and_b64 s[12:13], vcc, exec
	s_andn2_saveexec_b64 s[16:17], s[16:17]
	s_cbranch_execz .LBB52_147
.LBB52_150:                             ;   in Loop: Header=BB52_90 Depth=1
	v_cmp_ne_u16_e32 vcc, -1, v5
	s_andn2_b64 s[12:13], s[12:13], exec
	s_and_b64 s[22:23], vcc, exec
	s_mov_b64 s[4:5], exec
	s_or_b64 s[12:13], s[12:13], s[22:23]
                                        ; implicit-def: $vgpr5
	s_or_b64 exec, exec, s[16:17]
	s_and_saveexec_b64 s[16:17], s[12:13]
	s_xor_b64 s[12:13], exec, s[16:17]
	s_cbranch_execz .LBB52_148
.LBB52_151:                             ;   in Loop: Header=BB52_90 Depth=1
	v_mov_b32_e32 v5, 0
	s_andn2_b64 s[4:5], s[4:5], exec
	s_or_b64 exec, exec, s[12:13]
	s_and_saveexec_b64 s[12:13], s[4:5]
	s_cbranch_execz .LBB52_88
.LBB52_152:                             ;   in Loop: Header=BB52_90 Depth=1
	v_mov_b32_e32 v5, s19
	s_branch .LBB52_88
.LBB52_153:
	s_endpgm
	.section	.rodata,"a",@progbits
	.p2align	6, 0x0
	.amdhsa_kernel _ZN2at6native12_GLOBAL__N_125multi_tensor_apply_kernelINS1_18TensorListMetadataILi1EEENS1_21BinaryOpScalarFunctorIsLi1ELi1ELi0EEEJNS1_13power_functorIsEEsEEEvT_T0_DpT1_
		.amdhsa_group_segment_fixed_size 0
		.amdhsa_private_segment_fixed_size 0
		.amdhsa_kernarg_size 3632
		.amdhsa_user_sgpr_count 6
		.amdhsa_user_sgpr_private_segment_buffer 1
		.amdhsa_user_sgpr_dispatch_ptr 0
		.amdhsa_user_sgpr_queue_ptr 0
		.amdhsa_user_sgpr_kernarg_segment_ptr 1
		.amdhsa_user_sgpr_dispatch_id 0
		.amdhsa_user_sgpr_flat_scratch_init 0
		.amdhsa_user_sgpr_kernarg_preload_length 0
		.amdhsa_user_sgpr_kernarg_preload_offset 0
		.amdhsa_user_sgpr_private_segment_size 0
		.amdhsa_uses_dynamic_stack 0
		.amdhsa_system_sgpr_private_segment_wavefront_offset 0
		.amdhsa_system_sgpr_workgroup_id_x 1
		.amdhsa_system_sgpr_workgroup_id_y 0
		.amdhsa_system_sgpr_workgroup_id_z 0
		.amdhsa_system_sgpr_workgroup_info 0
		.amdhsa_system_vgpr_workitem_id 0
		.amdhsa_next_free_vgpr 20
		.amdhsa_next_free_sgpr 40
		.amdhsa_accum_offset 20
		.amdhsa_reserve_vcc 1
		.amdhsa_reserve_flat_scratch 0
		.amdhsa_float_round_mode_32 0
		.amdhsa_float_round_mode_16_64 0
		.amdhsa_float_denorm_mode_32 3
		.amdhsa_float_denorm_mode_16_64 3
		.amdhsa_dx10_clamp 1
		.amdhsa_ieee_mode 1
		.amdhsa_fp16_overflow 0
		.amdhsa_tg_split 0
		.amdhsa_exception_fp_ieee_invalid_op 0
		.amdhsa_exception_fp_denorm_src 0
		.amdhsa_exception_fp_ieee_div_zero 0
		.amdhsa_exception_fp_ieee_overflow 0
		.amdhsa_exception_fp_ieee_underflow 0
		.amdhsa_exception_fp_ieee_inexact 0
		.amdhsa_exception_int_div_zero 0
	.end_amdhsa_kernel
	.section	.text._ZN2at6native12_GLOBAL__N_125multi_tensor_apply_kernelINS1_18TensorListMetadataILi1EEENS1_21BinaryOpScalarFunctorIsLi1ELi1ELi0EEEJNS1_13power_functorIsEEsEEEvT_T0_DpT1_,"axG",@progbits,_ZN2at6native12_GLOBAL__N_125multi_tensor_apply_kernelINS1_18TensorListMetadataILi1EEENS1_21BinaryOpScalarFunctorIsLi1ELi1ELi0EEEJNS1_13power_functorIsEEsEEEvT_T0_DpT1_,comdat
.Lfunc_end52:
	.size	_ZN2at6native12_GLOBAL__N_125multi_tensor_apply_kernelINS1_18TensorListMetadataILi1EEENS1_21BinaryOpScalarFunctorIsLi1ELi1ELi0EEEJNS1_13power_functorIsEEsEEEvT_T0_DpT1_, .Lfunc_end52-_ZN2at6native12_GLOBAL__N_125multi_tensor_apply_kernelINS1_18TensorListMetadataILi1EEENS1_21BinaryOpScalarFunctorIsLi1ELi1ELi0EEEJNS1_13power_functorIsEEsEEEvT_T0_DpT1_
                                        ; -- End function
	.section	.AMDGPU.csdata,"",@progbits
; Kernel info:
; codeLenInByte = 3000
; NumSgprs: 44
; NumVgprs: 20
; NumAgprs: 0
; TotalNumVgprs: 20
; ScratchSize: 0
; MemoryBound: 0
; FloatMode: 240
; IeeeMode: 1
; LDSByteSize: 0 bytes/workgroup (compile time only)
; SGPRBlocks: 5
; VGPRBlocks: 2
; NumSGPRsForWavesPerEU: 44
; NumVGPRsForWavesPerEU: 20
; AccumOffset: 20
; Occupancy: 8
; WaveLimiterHint : 0
; COMPUTE_PGM_RSRC2:SCRATCH_EN: 0
; COMPUTE_PGM_RSRC2:USER_SGPR: 6
; COMPUTE_PGM_RSRC2:TRAP_HANDLER: 0
; COMPUTE_PGM_RSRC2:TGID_X_EN: 1
; COMPUTE_PGM_RSRC2:TGID_Y_EN: 0
; COMPUTE_PGM_RSRC2:TGID_Z_EN: 0
; COMPUTE_PGM_RSRC2:TIDIG_COMP_CNT: 0
; COMPUTE_PGM_RSRC3_GFX90A:ACCUM_OFFSET: 4
; COMPUTE_PGM_RSRC3_GFX90A:TG_SPLIT: 0
	.section	.text._ZN2at6native12_GLOBAL__N_125multi_tensor_apply_kernelINS1_18TensorListMetadataILi1EEENS1_21BinaryOpScalarFunctorIdLi1ELi1ELi0EEEJNS1_13power_functorIdEEdEEEvT_T0_DpT1_,"axG",@progbits,_ZN2at6native12_GLOBAL__N_125multi_tensor_apply_kernelINS1_18TensorListMetadataILi1EEENS1_21BinaryOpScalarFunctorIdLi1ELi1ELi0EEEJNS1_13power_functorIdEEdEEEvT_T0_DpT1_,comdat
	.globl	_ZN2at6native12_GLOBAL__N_125multi_tensor_apply_kernelINS1_18TensorListMetadataILi1EEENS1_21BinaryOpScalarFunctorIdLi1ELi1ELi0EEEJNS1_13power_functorIdEEdEEEvT_T0_DpT1_ ; -- Begin function _ZN2at6native12_GLOBAL__N_125multi_tensor_apply_kernelINS1_18TensorListMetadataILi1EEENS1_21BinaryOpScalarFunctorIdLi1ELi1ELi0EEEJNS1_13power_functorIdEEdEEEvT_T0_DpT1_
	.p2align	8
	.type	_ZN2at6native12_GLOBAL__N_125multi_tensor_apply_kernelINS1_18TensorListMetadataILi1EEENS1_21BinaryOpScalarFunctorIdLi1ELi1ELi0EEEJNS1_13power_functorIdEEdEEEvT_T0_DpT1_,@function
_ZN2at6native12_GLOBAL__N_125multi_tensor_apply_kernelINS1_18TensorListMetadataILi1EEENS1_21BinaryOpScalarFunctorIdLi1ELi1ELi0EEEJNS1_13power_functorIdEEdEEEvT_T0_DpT1_: ; @_ZN2at6native12_GLOBAL__N_125multi_tensor_apply_kernelINS1_18TensorListMetadataILi1EEENS1_21BinaryOpScalarFunctorIdLi1ELi1ELi0EEEJNS1_13power_functorIdEEdEEEvT_T0_DpT1_
; %bb.0:
	v_mov_b32_e32 v1, s6
	global_load_ubyte v1, v1, s[4:5] offset:1760
	s_add_u32 s0, s4, s6
	s_mul_hi_u32 s1, s6, 3
	s_mul_i32 s6, s6, 3
	s_addc_u32 s2, s5, 0
	s_add_u32 s0, s0, s6
	s_addc_u32 s1, s2, s1
	s_load_dword s0, s[0:1], 0x820
	s_mov_b32 s7, 0
	s_waitcnt vmcnt(0)
	v_readfirstlane_b32 s1, v1
	s_lshl_b32 s1, s1, 3
	s_load_dwordx2 s[20:21], s[4:5], 0xd30
	s_load_dwordx2 s[2:3], s[4:5], s1 offset:0x370
	s_load_dwordx2 s[24:25], s[4:5], s1 offset:0x0
	s_waitcnt lgkmcnt(0)
	s_ashr_i32 s1, s0, 31
	s_lshl_b64 s[26:27], s[0:1], 19
	s_lshl_b64 s[0:1], s[0:1], 16
	s_and_b32 s6, s24, 31
	s_sub_u32 s22, s2, s0
	s_subb_u32 s23, s3, s1
	s_and_b32 s0, s2, 3
	s_mov_b32 s1, s7
	s_or_b64 s[0:1], s[6:7], s[0:1]
	s_cmp_eq_u64 s[0:1], 0
	s_cbranch_scc1 .LBB53_21
; %bb.1:
	v_cmp_lt_i64_e64 s[0:1], s[22:23], 1
	s_and_b64 vcc, exec, s[0:1]
	s_cbranch_vccnz .LBB53_20
; %bb.2:
	s_load_dword s0, s[4:5], 0xd44
	v_mov_b32_e32 v4, 0x10000
	v_mov_b32_e32 v5, 0
	v_cmp_lt_u64_e32 vcc, s[22:23], v[4:5]
	v_lshlrev_b32_e32 v1, 3, v0
	s_waitcnt lgkmcnt(0)
	s_and_b32 s2, s0, 0xffff
	s_and_b64 s[0:1], vcc, exec
	s_cselect_b32 s29, s23, 0
	s_cselect_b32 s28, s22, 0x10000
	s_lshl_b32 s3, s2, 1
	s_lshl_b32 s62, s2, 2
	s_add_u32 s6, s24, s26
	s_addc_u32 s7, s25, s27
	v_mov_b32_e32 v3, s7
	v_add_co_u32_e32 v4, vcc, s6, v1
	s_mul_i32 s0, s2, 3
	v_addc_co_u32_e32 v5, vcc, 0, v3, vcc
	v_add_co_u32_e32 v1, vcc, s0, v0
	v_addc_co_u32_e64 v54, s[0:1], 0, 0, vcc
	v_add_co_u32_e32 v55, vcc, s3, v0
	v_addc_co_u32_e64 v56, s[0:1], 0, 0, vcc
	v_add_co_u32_e32 v57, vcc, s2, v0
	v_lshlrev_b32_e32 v3, 3, v57
	s_mov_b32 s33, 0
	v_addc_co_u32_e64 v58, s[0:1], 0, 0, vcc
	v_mov_b32_e32 v7, s7
	v_add_co_u32_e32 v6, vcc, s6, v3
	s_mov_b32 s34, 0
	s_mov_b32 s36, 0x55555555
	s_mov_b32 s38, 0xfefa39ef
	s_mov_b32 s40, 0x3b39803f
	s_mov_b32 s42, 0x4222de17
	s_mov_b32 s44, 0xd5df274d
	s_mov_b32 s48, 0
	s_mov_b32 s50, 0
	s_mov_b32 s52, 0x652b82fe
	s_mov_b32 s58, 0x6a5dcb37
	v_mov_b32_e32 v2, 0
	s_lshl_b32 s63, s2, 5
	s_mul_i32 s64, s2, 24
	s_mov_b32 s65, s33
	s_lshl_b32 s66, s2, 4
	s_mov_b32 s67, s33
	v_addc_co_u32_e32 v7, vcc, 0, v7, vcc
	s_mov_b64 s[30:31], 0
	s_brev_b32 s68, -2
	s_mov_b32 s35, 0x7ff00000
	s_mov_b32 s37, 0x3fe55555
	;; [unrolled: 1-line block ×7, first 2 shown]
	s_movk_i32 s69, 0x204
	s_mov_b32 s49, 0xc090cc00
	s_mov_b32 s51, 0x40900000
	;; [unrolled: 1-line block ×6, first 2 shown]
	v_mov_b32_e32 v59, 0x3ff00000
	v_mov_b32_e32 v60, 0x7ff00000
	v_mov_b32_e32 v8, 0x968915a9
	v_mov_b32_e32 v9, 0x3fba6564
	v_mov_b32_e32 v10, 0x3abe935a
	v_mov_b32_e32 v11, 0x3fbe25e4
	v_mov_b32_e32 v12, 0x47e6c9c2
	v_mov_b32_e32 v13, 0x3fc110ef
	v_mov_b32_e32 v14, 0xcfa74449
	v_mov_b32_e32 v15, 0x3fc3b13b
	v_mov_b32_e32 v16, 0x71bf3c30
	v_mov_b32_e32 v17, 0x3fc745d1
	v_mov_b32_e32 v18, 0x1c7792ce
	v_mov_b32_e32 v19, 0x3fcc71c7
	v_mov_b32_e32 v20, 0x924920da
	v_mov_b32_e32 v21, 0x3fd24924
	v_mov_b32_e32 v22, 0x9999999c
	v_mov_b32_e32 v23, 0x3fd99999
	v_mov_b32_e32 v24, 0xfca7ab0c
	v_mov_b32_e32 v25, 0x3e928af3
	v_mov_b32_e32 v26, 0x623fde64
	v_mov_b32_e32 v27, 0x3ec71dee
	v_mov_b32_e32 v28, 0x7c89e6b0
	v_mov_b32_e32 v29, 0x3efa0199
	v_mov_b32_e32 v30, 0x14761f6e
	v_mov_b32_e32 v31, 0x3f2a01a0
	v_mov_b32_e32 v32, 0x1852b7b0
	v_mov_b32_e32 v33, 0x3f56c16c
	v_mov_b32_e32 v34, 0x11122322
	v_mov_b32_e32 v35, 0x3f811111
	v_mov_b32_e32 v36, 0x555502a1
	v_mov_b32_e32 v37, 0x3fa55555
	v_mov_b32_e32 v38, 0x55555511
	v_mov_b32_e32 v39, 0x3fc55555
	v_mov_b32_e32 v40, 11
	v_mov_b32_e32 v41, 0x3fe00000
	v_mov_b32_e32 v61, 0x7ff80000
	s_branch .LBB53_4
.LBB53_3:                               ;   in Loop: Header=BB53_4 Depth=1
	s_or_b64 exec, exec, s[8:9]
	s_add_u32 s30, s30, s62
	s_addc_u32 s31, s31, 0
	s_waitcnt vmcnt(0)
	v_pk_mov_b32 v[42:43], s[22:23], s[22:23] op_sel:[0,1]
	v_cmp_lt_i64_e32 vcc, s[30:31], v[42:43]
	v_mov_b32_e32 v42, 0x10000
	v_mov_b32_e32 v43, 0
	v_cmp_lt_u64_e64 s[0:1], s[30:31], v[42:43]
	s_and_b64 s[0:1], vcc, s[0:1]
	v_mov_b32_e32 v3, s33
	v_add_co_u32_e32 v4, vcc, s63, v4
	v_addc_co_u32_e32 v5, vcc, v5, v3, vcc
	v_add_co_u32_e32 v6, vcc, s63, v6
	v_addc_co_u32_e32 v7, vcc, v7, v3, vcc
	s_and_b64 vcc, exec, s[0:1]
	s_cbranch_vccz .LBB53_20
.LBB53_4:                               ; =>This Inner Loop Header: Depth=1
	v_mov_b32_e32 v3, s31
	v_add_co_u32_e32 v42, vcc, s30, v0
	v_addc_co_u32_e32 v43, vcc, 0, v3, vcc
	v_pk_mov_b32 v[46:47], 0, 0
	v_cmp_gt_u64_e64 s[6:7], s[28:29], v[42:43]
	v_pk_mov_b32 v[52:53], v[46:47], v[46:47] op_sel:[0,1]
	s_and_saveexec_b64 s[0:1], s[6:7]
	s_cbranch_execz .LBB53_6
; %bb.5:                                ;   in Loop: Header=BB53_4 Depth=1
	global_load_dwordx2 v[52:53], v[4:5], off
.LBB53_6:                               ;   in Loop: Header=BB53_4 Depth=1
	s_or_b64 exec, exec, s[0:1]
	v_mov_b32_e32 v3, s31
	v_add_co_u32_e32 v42, vcc, s30, v57
	v_addc_co_u32_e32 v43, vcc, v58, v3, vcc
	v_cmp_gt_u64_e64 s[2:3], s[28:29], v[42:43]
	s_and_saveexec_b64 s[0:1], s[2:3]
	s_cbranch_execz .LBB53_8
; %bb.7:                                ;   in Loop: Header=BB53_4 Depth=1
	global_load_dwordx2 v[46:47], v[6:7], off
.LBB53_8:                               ;   in Loop: Header=BB53_4 Depth=1
	s_or_b64 exec, exec, s[0:1]
	v_mov_b32_e32 v3, s31
	v_add_co_u32_e32 v42, vcc, s30, v55
	v_addc_co_u32_e32 v43, vcc, v56, v3, vcc
	v_cmp_gt_u64_e64 s[0:1], s[28:29], v[42:43]
	v_pk_mov_b32 v[42:43], 0, 0
	v_pk_mov_b32 v[44:45], v[42:43], v[42:43] op_sel:[0,1]
	s_and_saveexec_b64 s[8:9], s[0:1]
	s_cbranch_execz .LBB53_10
; %bb.9:                                ;   in Loop: Header=BB53_4 Depth=1
	v_mov_b32_e32 v3, s67
	v_add_co_u32_e32 v44, vcc, s66, v4
	v_addc_co_u32_e32 v45, vcc, v5, v3, vcc
	global_load_dwordx2 v[44:45], v[44:45], off
.LBB53_10:                              ;   in Loop: Header=BB53_4 Depth=1
	s_or_b64 exec, exec, s[8:9]
	v_mov_b32_e32 v3, s31
	v_add_co_u32_e32 v48, vcc, s30, v1
	v_addc_co_u32_e32 v49, vcc, v54, v3, vcc
	v_cmp_gt_u64_e32 vcc, s[28:29], v[48:49]
	s_and_saveexec_b64 s[10:11], vcc
	s_cbranch_execnz .LBB53_15
; %bb.11:                               ;   in Loop: Header=BB53_4 Depth=1
	s_or_b64 exec, exec, s[10:11]
	s_and_saveexec_b64 s[60:61], s[6:7]
	s_cbranch_execnz .LBB53_16
.LBB53_12:                              ;   in Loop: Header=BB53_4 Depth=1
	s_or_b64 exec, exec, s[60:61]
	s_and_saveexec_b64 s[12:13], s[2:3]
	s_cbranch_execnz .LBB53_17
.LBB53_13:                              ;   in Loop: Header=BB53_4 Depth=1
	s_or_b64 exec, exec, s[12:13]
	s_and_saveexec_b64 s[10:11], s[0:1]
	s_cbranch_execnz .LBB53_18
.LBB53_14:                              ;   in Loop: Header=BB53_4 Depth=1
	s_or_b64 exec, exec, s[10:11]
	s_and_saveexec_b64 s[8:9], vcc
	s_cbranch_execz .LBB53_3
	s_branch .LBB53_19
.LBB53_15:                              ;   in Loop: Header=BB53_4 Depth=1
	v_mov_b32_e32 v3, s65
	v_add_co_u32_e64 v42, s[8:9], s64, v4
	v_addc_co_u32_e64 v43, s[8:9], v5, v3, s[8:9]
	global_load_dwordx2 v[42:43], v[42:43], off
	s_or_b64 exec, exec, s[10:11]
	s_and_saveexec_b64 s[60:61], s[6:7]
	s_cbranch_execz .LBB53_12
.LBB53_16:                              ;   in Loop: Header=BB53_4 Depth=1
	v_mov_b32_e32 v3, s21
	s_waitcnt vmcnt(0)
	v_cmp_eq_f64_e64 s[6:7], 1.0, v[52:53]
	v_cndmask_b32_e64 v49, v3, v59, s[6:7]
	v_mov_b32_e32 v3, s20
	v_cndmask_b32_e64 v48, v3, 0, s[6:7]
	v_cmp_eq_f64_e64 s[8:9], 0, v[48:49]
	v_and_b32_e32 v3, 0x7fffffff, v53
	v_cndmask_b32_e64 v51, v53, v59, s[8:9]
	v_cndmask_b32_e64 v50, v52, 0, s[8:9]
	;; [unrolled: 1-line block ×4, first 2 shown]
	v_frexp_mant_f64_e32 v[64:65], v[52:53]
	v_frexp_exp_i32_f64_e32 v3, v[52:53]
	v_cmp_gt_f64_e64 s[8:9], s[36:37], v[64:65]
	v_subbrev_co_u32_e64 v80, s[10:11], 0, v3, s[8:9]
	v_cndmask_b32_e64 v3, v59, 2.0, s[8:9]
	v_mul_f64 v[64:65], v[64:65], v[2:3]
	v_add_f64 v[66:67], v[64:65], 1.0
	v_rcp_f64_e32 v[68:69], v[66:67]
	v_mul_f64 v[62:63], v[48:49], 0.5
	v_trunc_f64_e32 v[70:71], v[62:63]
	v_cmp_neq_f64_e64 s[8:9], v[70:71], v[62:63]
	v_fma_f64 v[70:71], -v[66:67], v[68:69], 1.0
	v_fmac_f64_e32 v[68:69], v[70:71], v[68:69]
	v_fma_f64 v[70:71], -v[66:67], v[68:69], 1.0
	v_add_f64 v[62:63], v[64:65], -1.0
	v_fmac_f64_e32 v[68:69], v[70:71], v[68:69]
	v_mul_f64 v[70:71], v[62:63], v[68:69]
	v_add_f64 v[72:73], v[66:67], -1.0
	v_add_f64 v[64:65], v[64:65], -v[72:73]
	v_mul_f64 v[72:73], v[66:67], v[70:71]
	v_fma_f64 v[66:67], v[70:71], v[66:67], -v[72:73]
	v_fmac_f64_e32 v[66:67], v[70:71], v[64:65]
	v_add_f64 v[64:65], v[72:73], v[66:67]
	v_add_f64 v[72:73], v[64:65], -v[72:73]
	v_add_f64 v[66:67], v[72:73], -v[66:67]
	;; [unrolled: 1-line block ×5, first 2 shown]
	v_add_f64 v[62:63], v[66:67], v[62:63]
	v_add_f64 v[62:63], v[72:73], v[62:63]
	v_mul_f64 v[62:63], v[68:69], v[62:63]
	v_add_f64 v[64:65], v[70:71], v[62:63]
	v_add_f64 v[68:69], v[64:65], -v[70:71]
	v_mul_f64 v[66:67], v[64:65], v[64:65]
	v_add_f64 v[62:63], v[62:63], -v[68:69]
	v_add_f64 v[68:69], v[62:63], v[62:63]
	v_fma_f64 v[70:71], v[64:65], v[64:65], -v[66:67]
	v_fmac_f64_e32 v[70:71], v[64:65], v[68:69]
	v_add_f64 v[68:69], v[66:67], v[70:71]
	v_add_f64 v[66:67], v[68:69], -v[66:67]
	v_add_f64 v[66:67], v[70:71], -v[66:67]
	v_pk_mov_b32 v[70:71], v[8:9], v[8:9] op_sel:[0,1]
	v_fmac_f64_e32 v[70:71], s[42:43], v[68:69]
	v_pk_mov_b32 v[72:73], v[10:11], v[10:11] op_sel:[0,1]
	v_fmac_f64_e32 v[72:73], v[68:69], v[70:71]
	;; [unrolled: 2-line block ×8, first 2 shown]
	v_mul_f64 v[70:71], v[64:65], v[68:69]
	v_fma_f64 v[74:75], v[68:69], v[64:65], -v[70:71]
	v_mul_f64 v[76:77], v[68:69], v[72:73]
	v_fmac_f64_e32 v[74:75], v[68:69], v[62:63]
	v_fma_f64 v[68:69], v[68:69], v[72:73], -v[76:77]
	v_fmac_f64_e32 v[68:69], v[66:67], v[72:73]
	v_fmac_f64_e32 v[74:75], v[66:67], v[64:65]
	v_add_f64 v[66:67], v[76:77], v[68:69]
	v_add_f64 v[72:73], v[66:67], -v[76:77]
	v_add_f64 v[68:69], v[68:69], -v[72:73]
	s_mov_b32 s46, s36
	v_add_f64 v[72:73], v[66:67], s[36:37]
	v_add_f64 v[76:77], v[72:73], s[46:47]
	v_add_f64 v[66:67], v[66:67], -v[76:77]
	v_add_f64 v[68:69], v[68:69], s[44:45]
	v_add_f64 v[66:67], v[68:69], v[66:67]
	;; [unrolled: 1-line block ×3, first 2 shown]
	v_add_f64 v[72:73], v[72:73], -v[68:69]
	v_add_f64 v[66:67], v[66:67], v[72:73]
	v_add_f64 v[72:73], v[70:71], v[74:75]
	v_mul_f64 v[76:77], v[72:73], v[68:69]
	v_fma_f64 v[78:79], v[72:73], v[68:69], -v[76:77]
	v_fmac_f64_e32 v[78:79], v[72:73], v[66:67]
	v_add_f64 v[66:67], v[72:73], -v[70:71]
	v_add_f64 v[66:67], v[74:75], -v[66:67]
	v_fmac_f64_e32 v[78:79], v[66:67], v[68:69]
	v_cvt_f64_i32_e32 v[66:67], v80
	v_mul_f64 v[68:69], v[66:67], s[38:39]
	v_fma_f64 v[70:71], v[66:67], s[38:39], -v[68:69]
	v_fmac_f64_e32 v[70:71], s[40:41], v[66:67]
	v_add_f64 v[66:67], v[76:77], v[78:79]
	v_add_f64 v[72:73], v[66:67], -v[76:77]
	v_add_f64 v[72:73], v[78:79], -v[72:73]
	v_ldexp_f64 v[64:65], v[64:65], 1
	v_ldexp_f64 v[62:63], v[62:63], 1
	v_add_f64 v[62:63], v[62:63], v[72:73]
	v_add_f64 v[72:73], v[64:65], v[66:67]
	v_add_f64 v[64:65], v[72:73], -v[64:65]
	v_add_f64 v[64:65], v[66:67], -v[64:65]
	v_add_f64 v[66:67], v[68:69], v[70:71]
	v_add_f64 v[62:63], v[62:63], v[64:65]
	;; [unrolled: 1-line block ×3, first 2 shown]
	v_add_f64 v[68:69], v[66:67], -v[68:69]
	v_add_f64 v[68:69], v[70:71], -v[68:69]
	v_add_f64 v[70:71], v[66:67], v[64:65]
	v_add_f64 v[72:73], v[64:65], -v[72:73]
	v_add_f64 v[62:63], v[62:63], -v[72:73]
	;; [unrolled: 1-line block ×6, first 2 shown]
	v_add_f64 v[72:73], v[68:69], v[62:63]
	v_add_f64 v[64:65], v[64:65], v[66:67]
	v_add_f64 v[66:67], v[72:73], -v[68:69]
	v_add_f64 v[64:65], v[72:73], v[64:65]
	v_add_f64 v[62:63], v[62:63], -v[66:67]
	v_add_f64 v[66:67], v[72:73], -v[66:67]
	v_add_f64 v[72:73], v[70:71], v[64:65]
	v_add_f64 v[66:67], v[68:69], -v[66:67]
	v_add_f64 v[62:63], v[62:63], v[66:67]
	v_add_f64 v[66:67], v[72:73], -v[70:71]
	v_add_f64 v[64:65], v[64:65], -v[66:67]
	v_add_f64 v[62:63], v[62:63], v[64:65]
	v_add_f64 v[64:65], v[72:73], v[62:63]
	v_mul_f64 v[66:67], v[48:49], v[64:65]
	v_add_f64 v[68:69], v[64:65], -v[72:73]
	v_add_f64 v[62:63], v[62:63], -v[68:69]
	v_fma_f64 v[64:65], v[48:49], v[64:65], -v[66:67]
	v_fmac_f64_e32 v[64:65], v[48:49], v[62:63]
	v_add_f64 v[62:63], v[66:67], v[64:65]
	v_cmp_class_f64_e64 s[10:11], v[66:67], s69
	v_cndmask_b32_e64 v69, v63, v67, s[10:11]
	v_cndmask_b32_e64 v68, v62, v66, s[10:11]
	v_mul_f64 v[70:71], v[68:69], s[52:53]
	v_rndne_f64_e32 v[70:71], v[70:71]
	s_mov_b32 s54, s38
	v_fma_f64 v[72:73], s[54:55], v[70:71], v[68:69]
	s_mov_b32 s56, s40
	v_fmac_f64_e32 v[72:73], s[56:57], v[70:71]
	v_pk_mov_b32 v[74:75], v[24:25], v[24:25] op_sel:[0,1]
	v_fmac_f64_e32 v[74:75], s[58:59], v[72:73]
	v_pk_mov_b32 v[76:77], v[26:27], v[26:27] op_sel:[0,1]
	;; [unrolled: 2-line block ×9, first 2 shown]
	v_fmac_f64_e32 v[74:75], v[72:73], v[76:77]
	v_fma_f64 v[74:75], v[72:73], v[74:75], 1.0
	v_fma_f64 v[72:73], v[72:73], v[74:75], 1.0
	v_cvt_i32_f64_e32 v70, v[70:71]
	v_cmp_eq_f64_e64 s[12:13], 0, v[50:51]
	v_cmp_gt_f64_e64 s[14:15], 0, v[48:49]
	v_ldexp_f64 v[70:71], v[72:73], v70
	s_xor_b64 s[14:15], s[14:15], s[12:13]
	v_and_b32_e32 v73, 0x7fffffff, v71
	v_mov_b32_e32 v72, v70
	v_cndmask_b32_e64 v3, v60, 0, s[14:15]
	v_cmp_eq_f64_e64 s[14:15], s[34:35], v[72:73]
	v_cmp_lt_f64_e64 s[16:17], s[50:51], v[68:69]
	v_add_f64 v[62:63], v[62:63], -v[66:67]
	v_cndmask_b32_e64 v70, v70, 0, s[16:17]
	v_cndmask_b32_e64 v71, v71, v60, s[16:17]
	v_cmp_ngt_f64_e64 s[18:19], s[48:49], v[68:69]
	v_trunc_f64_e32 v[72:73], v[48:49]
	s_or_b64 s[16:17], s[16:17], s[14:15]
	v_add_f64 v[62:63], v[64:65], -v[62:63]
	v_cmp_neq_f64_e64 s[14:15], |v[68:69]|, s[34:35]
	v_cndmask_b32_e64 v71, 0, v71, s[18:19]
	v_cndmask_b32_e64 v70, 0, v70, s[18:19]
	v_cndmask_b32_e64 v63, 0, v63, s[14:15]
	v_cndmask_b32_e64 v62, 0, v62, s[14:15]
	s_and_b64 s[14:15], s[18:19], s[16:17]
	v_cmp_eq_f64_e64 s[16:17], v[72:73], v[48:49]
	v_pk_mov_b32 v[64:65], v[70:71], v[70:71] op_sel:[0,1]
	s_and_b64 s[8:9], s[16:17], s[8:9]
	v_fmac_f64_e32 v[64:65], v[64:65], v[62:63]
	v_cndmask_b32_e64 v62, 0, v51, s[8:9]
	s_and_b32 s18, s21, 0x7fffffff
	v_bfi_b32 v3, s68, v3, v62
	v_mov_b32_e32 v62, s18
	v_cndmask_b32_e64 v63, v62, v59, s[6:7]
	v_mov_b32_e32 v62, s20
	v_cndmask_b32_e64 v62, v62, 0, s[6:7]
	v_cmp_neq_f64_e64 s[6:7], v[48:49], v[62:63]
	v_cmp_gt_f64_e64 s[18:19], 1.0, v[52:53]
	s_xor_b64 s[6:7], s[6:7], s[18:19]
	v_cndmask_b32_e64 v67, v62, 0, s[6:7]
	v_cndmask_b32_e64 v68, v63, 0, s[6:7]
	v_cmp_eq_f64_e64 s[6:7], 1.0, v[52:53]
	v_cmp_eq_f64_e64 s[10:11], s[34:35], v[52:53]
	v_cndmask_b32_e64 v52, v67, v52, s[6:7]
	v_cndmask_b32_e64 v65, v65, v71, s[14:15]
	;; [unrolled: 1-line block ×4, first 2 shown]
	v_bfi_b32 v65, s68, v65, v67
	v_cndmask_b32_e64 v66, 0, v64, s[16:17]
	v_cndmask_b32_e64 v53, v68, v53, s[6:7]
	v_cndmask_b32_e64 v67, v61, v65, s[16:17]
	v_cmp_gt_f64_e64 s[6:7], 0, v[50:51]
	v_cndmask_b32_e64 v65, v65, v67, s[6:7]
	v_cndmask_b32_e64 v64, v64, v66, s[6:7]
	v_cmp_eq_f64_e64 s[6:7], s[34:35], v[62:63]
	v_cndmask_b32_e64 v52, v64, v52, s[6:7]
	v_cndmask_b32_e64 v53, v65, v53, s[6:7]
	s_or_b64 s[6:7], s[10:11], s[12:13]
	v_cndmask_b32_e64 v3, v53, v3, s[6:7]
	v_cndmask_b32_e64 v52, v52, 0, s[6:7]
	v_cmp_o_f64_e64 s[6:7], v[50:51], v[48:49]
	v_cndmask_b32_e64 v48, 0, v52, s[6:7]
	v_cndmask_b32_e64 v49, v61, v3, s[6:7]
	global_store_dwordx2 v[4:5], v[48:49], off
	s_or_b64 exec, exec, s[60:61]
	s_and_saveexec_b64 s[12:13], s[2:3]
	s_cbranch_execz .LBB53_13
.LBB53_17:                              ;   in Loop: Header=BB53_4 Depth=1
	v_mov_b32_e32 v3, s21
	s_waitcnt vmcnt(0)
	v_cmp_eq_f64_e64 s[2:3], 1.0, v[46:47]
	v_cndmask_b32_e64 v49, v3, v59, s[2:3]
	v_mov_b32_e32 v3, s20
	v_cndmask_b32_e64 v48, v3, 0, s[2:3]
	v_cmp_eq_f64_e64 s[6:7], 0, v[48:49]
	v_and_b32_e32 v3, 0x7fffffff, v47
	v_cndmask_b32_e64 v51, v47, v59, s[6:7]
	v_cndmask_b32_e64 v50, v46, 0, s[6:7]
	;; [unrolled: 1-line block ×4, first 2 shown]
	v_frexp_mant_f64_e32 v[52:53], v[46:47]
	v_cmp_gt_f64_e64 s[6:7], s[36:37], v[52:53]
	v_cndmask_b32_e64 v3, v59, 2.0, s[6:7]
	v_frexp_exp_i32_f64_e32 v62, v[46:47]
	v_mul_f64 v[52:53], v[52:53], v[2:3]
	v_subbrev_co_u32_e64 v3, s[6:7], 0, v62, s[6:7]
	v_add_f64 v[62:63], v[52:53], 1.0
	v_rcp_f64_e32 v[64:65], v[62:63]
	v_add_f64 v[68:69], v[62:63], -1.0
	v_add_f64 v[66:67], v[52:53], -1.0
	v_add_f64 v[52:53], v[52:53], -v[68:69]
	v_fma_f64 v[68:69], -v[62:63], v[64:65], 1.0
	v_fmac_f64_e32 v[64:65], v[68:69], v[64:65]
	v_fma_f64 v[68:69], -v[62:63], v[64:65], 1.0
	v_fmac_f64_e32 v[64:65], v[68:69], v[64:65]
	v_mul_f64 v[68:69], v[66:67], v[64:65]
	v_mul_f64 v[70:71], v[62:63], v[68:69]
	v_fma_f64 v[62:63], v[68:69], v[62:63], -v[70:71]
	v_fmac_f64_e32 v[62:63], v[68:69], v[52:53]
	v_add_f64 v[52:53], v[70:71], v[62:63]
	v_add_f64 v[72:73], v[66:67], -v[52:53]
	v_add_f64 v[70:71], v[52:53], -v[70:71]
	;; [unrolled: 1-line block ×5, first 2 shown]
	v_add_f64 v[52:53], v[62:63], v[52:53]
	v_add_f64 v[52:53], v[72:73], v[52:53]
	v_mul_f64 v[52:53], v[64:65], v[52:53]
	v_add_f64 v[62:63], v[68:69], v[52:53]
	v_add_f64 v[64:65], v[62:63], -v[68:69]
	v_add_f64 v[52:53], v[52:53], -v[64:65]
	v_mul_f64 v[64:65], v[62:63], v[62:63]
	v_fma_f64 v[66:67], v[62:63], v[62:63], -v[64:65]
	v_add_f64 v[68:69], v[52:53], v[52:53]
	v_fmac_f64_e32 v[66:67], v[62:63], v[68:69]
	v_add_f64 v[68:69], v[64:65], v[66:67]
	v_add_f64 v[64:65], v[68:69], -v[64:65]
	v_add_f64 v[64:65], v[66:67], -v[64:65]
	v_pk_mov_b32 v[66:67], v[8:9], v[8:9] op_sel:[0,1]
	v_fmac_f64_e32 v[66:67], s[42:43], v[68:69]
	v_pk_mov_b32 v[70:71], v[10:11], v[10:11] op_sel:[0,1]
	v_fmac_f64_e32 v[70:71], v[68:69], v[66:67]
	;; [unrolled: 2-line block ×8, first 2 shown]
	v_cvt_f64_i32_e32 v[66:67], v3
	v_mul_f64 v[72:73], v[66:67], s[38:39]
	v_mul_f64 v[78:79], v[62:63], v[68:69]
	v_fma_f64 v[74:75], v[66:67], s[38:39], -v[72:73]
	v_fma_f64 v[80:81], v[68:69], v[62:63], -v[78:79]
	v_fmac_f64_e32 v[74:75], s[40:41], v[66:67]
	v_fmac_f64_e32 v[80:81], v[68:69], v[52:53]
	v_add_f64 v[66:67], v[72:73], v[74:75]
	v_fmac_f64_e32 v[80:81], v[64:65], v[62:63]
	v_add_f64 v[72:73], v[66:67], -v[72:73]
	v_ldexp_f64 v[76:77], v[52:53], 1
	v_add_f64 v[52:53], v[78:79], v[80:81]
	v_add_f64 v[72:73], v[74:75], -v[72:73]
	v_ldexp_f64 v[74:75], v[62:63], 1
	v_add_f64 v[62:63], v[52:53], -v[78:79]
	v_mul_f64 v[78:79], v[68:69], v[70:71]
	v_fma_f64 v[68:69], v[68:69], v[70:71], -v[78:79]
	v_fmac_f64_e32 v[68:69], v[64:65], v[70:71]
	v_add_f64 v[64:65], v[78:79], v[68:69]
	v_add_f64 v[70:71], v[64:65], -v[78:79]
	v_add_f64 v[68:69], v[68:69], -v[70:71]
	v_add_f64 v[70:71], v[64:65], s[36:37]
	s_mov_b32 s46, s36
	v_add_f64 v[78:79], v[70:71], s[46:47]
	v_add_f64 v[64:65], v[64:65], -v[78:79]
	v_add_f64 v[68:69], v[68:69], s[44:45]
	v_add_f64 v[64:65], v[68:69], v[64:65]
	;; [unrolled: 1-line block ×3, first 2 shown]
	v_add_f64 v[70:71], v[70:71], -v[68:69]
	v_add_f64 v[64:65], v[64:65], v[70:71]
	v_mul_f64 v[70:71], v[52:53], v[68:69]
	v_fma_f64 v[78:79], v[52:53], v[68:69], -v[70:71]
	v_add_f64 v[62:63], v[80:81], -v[62:63]
	v_fmac_f64_e32 v[78:79], v[52:53], v[64:65]
	v_fmac_f64_e32 v[78:79], v[62:63], v[68:69]
	v_add_f64 v[52:53], v[70:71], v[78:79]
	v_add_f64 v[62:63], v[52:53], -v[70:71]
	v_add_f64 v[64:65], v[74:75], v[52:53]
	v_add_f64 v[62:63], v[78:79], -v[62:63]
	v_add_f64 v[68:69], v[64:65], -v[74:75]
	;; [unrolled: 1-line block ×3, first 2 shown]
	v_add_f64 v[62:63], v[76:77], v[62:63]
	v_add_f64 v[52:53], v[62:63], v[52:53]
	;; [unrolled: 1-line block ×3, first 2 shown]
	v_add_f64 v[64:65], v[62:63], -v[64:65]
	v_add_f64 v[52:53], v[52:53], -v[64:65]
	v_add_f64 v[64:65], v[66:67], v[62:63]
	v_add_f64 v[68:69], v[64:65], -v[66:67]
	v_add_f64 v[70:71], v[64:65], -v[68:69]
	;; [unrolled: 1-line block ×4, first 2 shown]
	v_add_f64 v[62:63], v[62:63], v[66:67]
	v_add_f64 v[66:67], v[72:73], v[52:53]
	v_add_f64 v[68:69], v[66:67], -v[72:73]
	v_add_f64 v[62:63], v[66:67], v[62:63]
	v_add_f64 v[70:71], v[66:67], -v[68:69]
	;; [unrolled: 2-line block ×3, first 2 shown]
	v_add_f64 v[52:53], v[52:53], -v[68:69]
	v_add_f64 v[64:65], v[66:67], -v[64:65]
	v_add_f64 v[52:53], v[52:53], v[70:71]
	v_add_f64 v[62:63], v[62:63], -v[64:65]
	v_add_f64 v[52:53], v[52:53], v[62:63]
	v_add_f64 v[62:63], v[66:67], v[52:53]
	v_add_f64 v[64:65], v[62:63], -v[66:67]
	v_add_f64 v[52:53], v[52:53], -v[64:65]
	v_mul_f64 v[64:65], v[48:49], v[62:63]
	v_fma_f64 v[62:63], v[48:49], v[62:63], -v[64:65]
	v_fmac_f64_e32 v[62:63], v[48:49], v[52:53]
	v_add_f64 v[52:53], v[64:65], v[62:63]
	v_cmp_class_f64_e64 s[6:7], v[64:65], s69
	v_add_f64 v[66:67], v[52:53], -v[64:65]
	v_cndmask_b32_e64 v53, v53, v65, s[6:7]
	v_cndmask_b32_e64 v52, v52, v64, s[6:7]
	v_mul_f64 v[64:65], v[52:53], s[52:53]
	v_rndne_f64_e32 v[64:65], v[64:65]
	s_mov_b32 s54, s38
	v_add_f64 v[62:63], v[62:63], -v[66:67]
	v_fma_f64 v[66:67], s[54:55], v[64:65], v[52:53]
	s_mov_b32 s56, s40
	v_fmac_f64_e32 v[66:67], s[56:57], v[64:65]
	v_pk_mov_b32 v[68:69], v[24:25], v[24:25] op_sel:[0,1]
	v_fmac_f64_e32 v[68:69], s[58:59], v[66:67]
	v_pk_mov_b32 v[70:71], v[26:27], v[26:27] op_sel:[0,1]
	;; [unrolled: 2-line block ×9, first 2 shown]
	v_fmac_f64_e32 v[68:69], v[66:67], v[70:71]
	v_fma_f64 v[68:69], v[66:67], v[68:69], 1.0
	v_cmp_neq_f64_e64 s[6:7], |v[52:53]|, s[34:35]
	v_fma_f64 v[66:67], v[66:67], v[68:69], 1.0
	v_cvt_i32_f64_e32 v3, v[64:65]
	v_cndmask_b32_e64 v63, 0, v63, s[6:7]
	v_cndmask_b32_e64 v62, 0, v62, s[6:7]
	v_ldexp_f64 v[64:65], v[66:67], v3
	v_cmp_lt_f64_e64 s[6:7], s[50:51], v[52:53]
	v_cndmask_b32_e64 v3, v64, 0, s[6:7]
	v_cndmask_b32_e64 v66, v65, v60, s[6:7]
	v_cmp_ngt_f64_e64 s[8:9], s[48:49], v[52:53]
	v_and_b32_e32 v65, 0x7fffffff, v65
	v_cndmask_b32_e64 v53, 0, v66, s[8:9]
	v_cndmask_b32_e64 v52, 0, v3, s[8:9]
	v_cmp_eq_f64_e64 s[10:11], s[34:35], v[64:65]
	v_pk_mov_b32 v[66:67], v[52:53], v[52:53] op_sel:[0,1]
	s_or_b64 s[6:7], s[6:7], s[10:11]
	v_fmac_f64_e32 v[66:67], v[66:67], v[62:63]
	s_and_b64 s[6:7], s[8:9], s[6:7]
	v_mul_f64 v[62:63], v[48:49], 0.5
	v_cndmask_b32_e64 v3, v66, v52, s[6:7]
	v_cndmask_b32_e64 v66, v67, v53, s[6:7]
	v_trunc_f64_e32 v[52:53], v[48:49]
	v_trunc_f64_e32 v[64:65], v[62:63]
	v_cmp_neq_f64_e64 s[6:7], v[64:65], v[62:63]
	v_cmp_eq_f64_e64 s[8:9], v[52:53], v[48:49]
	s_and_b64 s[6:7], s[8:9], s[6:7]
	v_cndmask_b32_e64 v53, v59, v51, s[6:7]
	v_bfi_b32 v53, s68, v66, v53
	v_cndmask_b32_e64 v52, 0, v3, s[8:9]
	v_cndmask_b32_e64 v62, v61, v53, s[8:9]
	v_cmp_gt_f64_e64 s[8:9], 0, v[50:51]
	v_cndmask_b32_e64 v62, v53, v62, s[8:9]
	v_cndmask_b32_e64 v3, v3, v52, s[8:9]
	s_and_b32 s8, s21, 0x7fffffff
	v_mov_b32_e32 v52, s8
	v_cndmask_b32_e64 v53, v52, v59, s[2:3]
	v_mov_b32_e32 v52, s20
	v_cndmask_b32_e64 v52, v52, 0, s[2:3]
	v_cmp_neq_f64_e64 s[2:3], v[48:49], v[52:53]
	v_cmp_gt_f64_e64 s[8:9], 1.0, v[46:47]
	s_xor_b64 s[2:3], s[2:3], s[8:9]
	v_cndmask_b32_e64 v63, v52, 0, s[2:3]
	v_cndmask_b32_e64 v64, v53, 0, s[2:3]
	v_cmp_eq_f64_e64 s[2:3], 1.0, v[46:47]
	v_cmp_eq_f64_e64 s[8:9], 0, v[50:51]
	v_cmp_gt_f64_e64 s[10:11], 0, v[48:49]
	v_cndmask_b32_e64 v64, v64, v47, s[2:3]
	v_cndmask_b32_e64 v63, v63, v46, s[2:3]
	v_cmp_eq_f64_e64 s[2:3], s[34:35], v[52:53]
	s_xor_b64 s[10:11], s[10:11], s[8:9]
	v_cndmask_b32_e64 v3, v3, v63, s[2:3]
	v_cndmask_b32_e64 v52, v62, v64, s[2:3]
	v_cmp_eq_f64_e64 s[2:3], s[34:35], v[46:47]
	v_cndmask_b32_e64 v46, v60, 0, s[10:11]
	v_cndmask_b32_e64 v47, 0, v51, s[6:7]
	v_bfi_b32 v46, s68, v46, v47
	s_or_b64 s[2:3], s[2:3], s[8:9]
	v_cndmask_b32_e64 v47, v52, v46, s[2:3]
	v_cndmask_b32_e64 v3, v3, 0, s[2:3]
	v_cmp_o_f64_e64 s[2:3], v[50:51], v[48:49]
	v_cndmask_b32_e64 v46, 0, v3, s[2:3]
	v_cndmask_b32_e64 v47, v61, v47, s[2:3]
	global_store_dwordx2 v[6:7], v[46:47], off
	s_or_b64 exec, exec, s[12:13]
	s_and_saveexec_b64 s[10:11], s[0:1]
	s_cbranch_execz .LBB53_14
.LBB53_18:                              ;   in Loop: Header=BB53_4 Depth=1
	v_mov_b32_e32 v3, s21
	s_waitcnt vmcnt(0)
	v_cmp_eq_f64_e64 s[0:1], 1.0, v[44:45]
	v_cndmask_b32_e64 v47, v3, v59, s[0:1]
	v_mov_b32_e32 v3, s20
	v_cndmask_b32_e64 v46, v3, 0, s[0:1]
	v_cmp_eq_f64_e64 s[2:3], 0, v[46:47]
	v_and_b32_e32 v3, 0x7fffffff, v45
	v_cndmask_b32_e64 v49, v45, v59, s[2:3]
	v_cndmask_b32_e64 v48, v44, 0, s[2:3]
	;; [unrolled: 1-line block ×4, first 2 shown]
	v_frexp_mant_f64_e32 v[50:51], v[44:45]
	v_cmp_gt_f64_e64 s[2:3], s[36:37], v[50:51]
	v_cndmask_b32_e64 v3, v59, 2.0, s[2:3]
	v_frexp_exp_i32_f64_e32 v52, v[44:45]
	v_mul_f64 v[50:51], v[50:51], v[2:3]
	v_subbrev_co_u32_e64 v3, s[2:3], 0, v52, s[2:3]
	v_add_f64 v[52:53], v[50:51], 1.0
	v_rcp_f64_e32 v[62:63], v[52:53]
	v_add_f64 v[66:67], v[52:53], -1.0
	v_add_f64 v[64:65], v[50:51], -1.0
	v_add_f64 v[50:51], v[50:51], -v[66:67]
	v_fma_f64 v[66:67], -v[52:53], v[62:63], 1.0
	v_fmac_f64_e32 v[62:63], v[66:67], v[62:63]
	v_fma_f64 v[66:67], -v[52:53], v[62:63], 1.0
	v_fmac_f64_e32 v[62:63], v[66:67], v[62:63]
	v_mul_f64 v[66:67], v[64:65], v[62:63]
	v_mul_f64 v[68:69], v[52:53], v[66:67]
	v_fma_f64 v[52:53], v[66:67], v[52:53], -v[68:69]
	v_fmac_f64_e32 v[52:53], v[66:67], v[50:51]
	v_add_f64 v[50:51], v[68:69], v[52:53]
	v_add_f64 v[70:71], v[64:65], -v[50:51]
	v_add_f64 v[68:69], v[50:51], -v[68:69]
	;; [unrolled: 1-line block ×5, first 2 shown]
	v_add_f64 v[50:51], v[52:53], v[50:51]
	v_add_f64 v[50:51], v[70:71], v[50:51]
	v_mul_f64 v[50:51], v[62:63], v[50:51]
	v_add_f64 v[52:53], v[66:67], v[50:51]
	v_add_f64 v[62:63], v[52:53], -v[66:67]
	v_add_f64 v[50:51], v[50:51], -v[62:63]
	v_mul_f64 v[62:63], v[52:53], v[52:53]
	v_fma_f64 v[64:65], v[52:53], v[52:53], -v[62:63]
	v_add_f64 v[66:67], v[50:51], v[50:51]
	v_fmac_f64_e32 v[64:65], v[52:53], v[66:67]
	v_add_f64 v[66:67], v[62:63], v[64:65]
	v_add_f64 v[62:63], v[66:67], -v[62:63]
	v_add_f64 v[62:63], v[64:65], -v[62:63]
	v_pk_mov_b32 v[64:65], v[8:9], v[8:9] op_sel:[0,1]
	v_fmac_f64_e32 v[64:65], s[42:43], v[66:67]
	v_pk_mov_b32 v[68:69], v[10:11], v[10:11] op_sel:[0,1]
	v_fmac_f64_e32 v[68:69], v[66:67], v[64:65]
	;; [unrolled: 2-line block ×8, first 2 shown]
	v_cvt_f64_i32_e32 v[64:65], v3
	v_mul_f64 v[70:71], v[64:65], s[38:39]
	v_mul_f64 v[76:77], v[52:53], v[66:67]
	v_fma_f64 v[72:73], v[64:65], s[38:39], -v[70:71]
	v_fma_f64 v[78:79], v[66:67], v[52:53], -v[76:77]
	v_fmac_f64_e32 v[72:73], s[40:41], v[64:65]
	v_fmac_f64_e32 v[78:79], v[66:67], v[50:51]
	v_add_f64 v[64:65], v[70:71], v[72:73]
	v_fmac_f64_e32 v[78:79], v[62:63], v[52:53]
	v_add_f64 v[70:71], v[64:65], -v[70:71]
	v_ldexp_f64 v[74:75], v[50:51], 1
	v_add_f64 v[50:51], v[76:77], v[78:79]
	v_add_f64 v[70:71], v[72:73], -v[70:71]
	v_ldexp_f64 v[72:73], v[52:53], 1
	v_add_f64 v[52:53], v[50:51], -v[76:77]
	v_mul_f64 v[76:77], v[66:67], v[68:69]
	v_fma_f64 v[66:67], v[66:67], v[68:69], -v[76:77]
	v_fmac_f64_e32 v[66:67], v[62:63], v[68:69]
	v_add_f64 v[62:63], v[76:77], v[66:67]
	v_add_f64 v[68:69], v[62:63], -v[76:77]
	v_add_f64 v[66:67], v[66:67], -v[68:69]
	v_add_f64 v[68:69], v[62:63], s[36:37]
	s_mov_b32 s46, s36
	v_add_f64 v[76:77], v[68:69], s[46:47]
	v_add_f64 v[62:63], v[62:63], -v[76:77]
	v_add_f64 v[66:67], v[66:67], s[44:45]
	v_add_f64 v[62:63], v[66:67], v[62:63]
	;; [unrolled: 1-line block ×3, first 2 shown]
	v_add_f64 v[68:69], v[68:69], -v[66:67]
	v_add_f64 v[62:63], v[62:63], v[68:69]
	v_mul_f64 v[68:69], v[50:51], v[66:67]
	v_fma_f64 v[76:77], v[50:51], v[66:67], -v[68:69]
	v_add_f64 v[52:53], v[78:79], -v[52:53]
	v_fmac_f64_e32 v[76:77], v[50:51], v[62:63]
	v_fmac_f64_e32 v[76:77], v[52:53], v[66:67]
	v_add_f64 v[50:51], v[68:69], v[76:77]
	v_add_f64 v[52:53], v[50:51], -v[68:69]
	v_add_f64 v[62:63], v[72:73], v[50:51]
	v_add_f64 v[52:53], v[76:77], -v[52:53]
	v_add_f64 v[66:67], v[62:63], -v[72:73]
	;; [unrolled: 1-line block ×3, first 2 shown]
	v_add_f64 v[52:53], v[74:75], v[52:53]
	v_add_f64 v[50:51], v[52:53], v[50:51]
	;; [unrolled: 1-line block ×3, first 2 shown]
	v_add_f64 v[62:63], v[52:53], -v[62:63]
	v_add_f64 v[50:51], v[50:51], -v[62:63]
	v_add_f64 v[62:63], v[64:65], v[52:53]
	v_add_f64 v[66:67], v[62:63], -v[64:65]
	v_add_f64 v[68:69], v[62:63], -v[66:67]
	v_add_f64 v[64:65], v[64:65], -v[68:69]
	v_add_f64 v[52:53], v[52:53], -v[66:67]
	v_add_f64 v[52:53], v[52:53], v[64:65]
	v_add_f64 v[64:65], v[70:71], v[50:51]
	v_add_f64 v[66:67], v[64:65], -v[70:71]
	v_add_f64 v[52:53], v[64:65], v[52:53]
	v_add_f64 v[68:69], v[64:65], -v[66:67]
	v_add_f64 v[64:65], v[62:63], v[52:53]
	v_add_f64 v[68:69], v[70:71], -v[68:69]
	v_add_f64 v[50:51], v[50:51], -v[66:67]
	v_add_f64 v[62:63], v[64:65], -v[62:63]
	v_add_f64 v[50:51], v[50:51], v[68:69]
	v_add_f64 v[52:53], v[52:53], -v[62:63]
	v_add_f64 v[50:51], v[50:51], v[52:53]
	v_add_f64 v[52:53], v[64:65], v[50:51]
	v_add_f64 v[62:63], v[52:53], -v[64:65]
	v_add_f64 v[50:51], v[50:51], -v[62:63]
	v_mul_f64 v[62:63], v[46:47], v[52:53]
	v_fma_f64 v[52:53], v[46:47], v[52:53], -v[62:63]
	v_fmac_f64_e32 v[52:53], v[46:47], v[50:51]
	v_add_f64 v[50:51], v[62:63], v[52:53]
	v_cmp_class_f64_e64 s[2:3], v[62:63], s69
	v_add_f64 v[64:65], v[50:51], -v[62:63]
	v_cndmask_b32_e64 v51, v51, v63, s[2:3]
	v_cndmask_b32_e64 v50, v50, v62, s[2:3]
	v_mul_f64 v[62:63], v[50:51], s[52:53]
	v_rndne_f64_e32 v[62:63], v[62:63]
	s_mov_b32 s54, s38
	v_add_f64 v[52:53], v[52:53], -v[64:65]
	v_fma_f64 v[64:65], s[54:55], v[62:63], v[50:51]
	s_mov_b32 s56, s40
	v_fmac_f64_e32 v[64:65], s[56:57], v[62:63]
	v_pk_mov_b32 v[66:67], v[24:25], v[24:25] op_sel:[0,1]
	v_fmac_f64_e32 v[66:67], s[58:59], v[64:65]
	v_pk_mov_b32 v[68:69], v[26:27], v[26:27] op_sel:[0,1]
	;; [unrolled: 2-line block ×9, first 2 shown]
	v_fmac_f64_e32 v[66:67], v[64:65], v[68:69]
	v_fma_f64 v[66:67], v[64:65], v[66:67], 1.0
	v_cmp_neq_f64_e64 s[2:3], |v[50:51]|, s[34:35]
	v_fma_f64 v[64:65], v[64:65], v[66:67], 1.0
	v_cvt_i32_f64_e32 v3, v[62:63]
	v_cndmask_b32_e64 v53, 0, v53, s[2:3]
	v_cndmask_b32_e64 v52, 0, v52, s[2:3]
	v_ldexp_f64 v[62:63], v[64:65], v3
	v_cmp_lt_f64_e64 s[2:3], s[50:51], v[50:51]
	v_cndmask_b32_e64 v3, v62, 0, s[2:3]
	v_cndmask_b32_e64 v64, v63, v60, s[2:3]
	v_cmp_ngt_f64_e64 s[6:7], s[48:49], v[50:51]
	v_and_b32_e32 v63, 0x7fffffff, v63
	v_cndmask_b32_e64 v51, 0, v64, s[6:7]
	v_cndmask_b32_e64 v50, 0, v3, s[6:7]
	v_cmp_eq_f64_e64 s[8:9], s[34:35], v[62:63]
	v_pk_mov_b32 v[64:65], v[50:51], v[50:51] op_sel:[0,1]
	s_or_b64 s[2:3], s[2:3], s[8:9]
	v_fmac_f64_e32 v[64:65], v[64:65], v[52:53]
	s_and_b64 s[2:3], s[6:7], s[2:3]
	v_mul_f64 v[52:53], v[46:47], 0.5
	v_cndmask_b32_e64 v3, v64, v50, s[2:3]
	v_cndmask_b32_e64 v64, v65, v51, s[2:3]
	v_trunc_f64_e32 v[50:51], v[46:47]
	v_trunc_f64_e32 v[62:63], v[52:53]
	v_cmp_neq_f64_e64 s[2:3], v[62:63], v[52:53]
	v_cmp_eq_f64_e64 s[6:7], v[50:51], v[46:47]
	s_and_b64 s[2:3], s[6:7], s[2:3]
	v_cndmask_b32_e64 v51, v59, v49, s[2:3]
	v_bfi_b32 v51, s68, v64, v51
	v_cndmask_b32_e64 v50, 0, v3, s[6:7]
	v_cndmask_b32_e64 v52, v61, v51, s[6:7]
	v_cmp_gt_f64_e64 s[6:7], 0, v[48:49]
	v_cndmask_b32_e64 v52, v51, v52, s[6:7]
	v_cndmask_b32_e64 v3, v3, v50, s[6:7]
	s_and_b32 s6, s21, 0x7fffffff
	v_mov_b32_e32 v50, s6
	v_cndmask_b32_e64 v51, v50, v59, s[0:1]
	v_mov_b32_e32 v50, s20
	v_cndmask_b32_e64 v50, v50, 0, s[0:1]
	v_cmp_neq_f64_e64 s[0:1], v[46:47], v[50:51]
	v_cmp_gt_f64_e64 s[6:7], 1.0, v[44:45]
	s_xor_b64 s[0:1], s[0:1], s[6:7]
	v_cndmask_b32_e64 v53, v50, 0, s[0:1]
	v_cndmask_b32_e64 v62, v51, 0, s[0:1]
	v_cmp_eq_f64_e64 s[0:1], 1.0, v[44:45]
	v_cmp_eq_f64_e64 s[6:7], 0, v[48:49]
	v_cmp_gt_f64_e64 s[8:9], 0, v[46:47]
	v_cndmask_b32_e64 v62, v62, v45, s[0:1]
	v_cndmask_b32_e64 v53, v53, v44, s[0:1]
	v_cmp_eq_f64_e64 s[0:1], s[34:35], v[50:51]
	s_xor_b64 s[8:9], s[8:9], s[6:7]
	v_cndmask_b32_e64 v3, v3, v53, s[0:1]
	v_cndmask_b32_e64 v50, v52, v62, s[0:1]
	v_cmp_eq_f64_e64 s[0:1], s[34:35], v[44:45]
	v_cndmask_b32_e64 v44, v60, 0, s[8:9]
	v_cndmask_b32_e64 v45, 0, v49, s[2:3]
	v_bfi_b32 v44, s68, v44, v45
	s_or_b64 s[0:1], s[0:1], s[6:7]
	v_cndmask_b32_e64 v45, v50, v44, s[0:1]
	v_cndmask_b32_e64 v3, v3, 0, s[0:1]
	v_cmp_o_f64_e64 s[0:1], v[48:49], v[46:47]
	v_cndmask_b32_e64 v44, 0, v3, s[0:1]
	v_cndmask_b32_e64 v45, v61, v45, s[0:1]
	v_mov_b32_e32 v3, s67
	v_add_co_u32_e64 v46, s[0:1], s66, v4
	v_addc_co_u32_e64 v47, s[0:1], v5, v3, s[0:1]
	global_store_dwordx2 v[46:47], v[44:45], off
	s_or_b64 exec, exec, s[10:11]
	s_and_saveexec_b64 s[8:9], vcc
	s_cbranch_execz .LBB53_3
.LBB53_19:                              ;   in Loop: Header=BB53_4 Depth=1
	v_mov_b32_e32 v3, s21
	s_waitcnt vmcnt(0)
	v_cmp_eq_f64_e32 vcc, 1.0, v[42:43]
	v_cndmask_b32_e32 v45, v3, v59, vcc
	v_mov_b32_e32 v3, s20
	v_cndmask_b32_e64 v44, v3, 0, vcc
	v_cmp_eq_f64_e64 s[0:1], 0, v[44:45]
	v_and_b32_e32 v3, 0x7fffffff, v43
	v_cndmask_b32_e64 v47, v43, v59, s[0:1]
	v_cndmask_b32_e64 v46, v42, 0, s[0:1]
	;; [unrolled: 1-line block ×4, first 2 shown]
	v_frexp_mant_f64_e32 v[48:49], v[42:43]
	v_cmp_gt_f64_e64 s[0:1], s[36:37], v[48:49]
	v_cndmask_b32_e64 v3, v59, 2.0, s[0:1]
	v_frexp_exp_i32_f64_e32 v50, v[42:43]
	v_mul_f64 v[48:49], v[48:49], v[2:3]
	v_subbrev_co_u32_e64 v3, s[0:1], 0, v50, s[0:1]
	v_add_f64 v[50:51], v[48:49], 1.0
	v_rcp_f64_e32 v[52:53], v[50:51]
	v_add_f64 v[64:65], v[50:51], -1.0
	v_add_f64 v[62:63], v[48:49], -1.0
	v_add_f64 v[48:49], v[48:49], -v[64:65]
	v_fma_f64 v[64:65], -v[50:51], v[52:53], 1.0
	v_fmac_f64_e32 v[52:53], v[64:65], v[52:53]
	v_fma_f64 v[64:65], -v[50:51], v[52:53], 1.0
	v_fmac_f64_e32 v[52:53], v[64:65], v[52:53]
	v_mul_f64 v[64:65], v[62:63], v[52:53]
	v_mul_f64 v[66:67], v[50:51], v[64:65]
	v_fma_f64 v[50:51], v[64:65], v[50:51], -v[66:67]
	v_fmac_f64_e32 v[50:51], v[64:65], v[48:49]
	v_add_f64 v[48:49], v[66:67], v[50:51]
	v_add_f64 v[68:69], v[62:63], -v[48:49]
	v_add_f64 v[66:67], v[48:49], -v[66:67]
	;; [unrolled: 1-line block ×5, first 2 shown]
	v_add_f64 v[48:49], v[50:51], v[48:49]
	v_add_f64 v[48:49], v[68:69], v[48:49]
	v_mul_f64 v[48:49], v[52:53], v[48:49]
	v_add_f64 v[50:51], v[64:65], v[48:49]
	v_add_f64 v[52:53], v[50:51], -v[64:65]
	v_add_f64 v[48:49], v[48:49], -v[52:53]
	v_mul_f64 v[52:53], v[50:51], v[50:51]
	v_fma_f64 v[62:63], v[50:51], v[50:51], -v[52:53]
	v_add_f64 v[64:65], v[48:49], v[48:49]
	v_fmac_f64_e32 v[62:63], v[50:51], v[64:65]
	v_add_f64 v[64:65], v[52:53], v[62:63]
	v_add_f64 v[52:53], v[64:65], -v[52:53]
	v_add_f64 v[52:53], v[62:63], -v[52:53]
	v_pk_mov_b32 v[62:63], v[8:9], v[8:9] op_sel:[0,1]
	v_fmac_f64_e32 v[62:63], s[42:43], v[64:65]
	v_pk_mov_b32 v[66:67], v[10:11], v[10:11] op_sel:[0,1]
	v_fmac_f64_e32 v[66:67], v[64:65], v[62:63]
	;; [unrolled: 2-line block ×8, first 2 shown]
	v_cvt_f64_i32_e32 v[62:63], v3
	v_mul_f64 v[68:69], v[62:63], s[38:39]
	v_mul_f64 v[74:75], v[50:51], v[64:65]
	v_fma_f64 v[70:71], v[62:63], s[38:39], -v[68:69]
	v_fma_f64 v[76:77], v[64:65], v[50:51], -v[74:75]
	v_fmac_f64_e32 v[70:71], s[40:41], v[62:63]
	v_fmac_f64_e32 v[76:77], v[64:65], v[48:49]
	v_add_f64 v[62:63], v[68:69], v[70:71]
	v_fmac_f64_e32 v[76:77], v[52:53], v[50:51]
	v_add_f64 v[68:69], v[62:63], -v[68:69]
	v_ldexp_f64 v[72:73], v[48:49], 1
	v_add_f64 v[48:49], v[74:75], v[76:77]
	v_add_f64 v[68:69], v[70:71], -v[68:69]
	v_ldexp_f64 v[70:71], v[50:51], 1
	v_add_f64 v[50:51], v[48:49], -v[74:75]
	v_mul_f64 v[74:75], v[64:65], v[66:67]
	v_fma_f64 v[64:65], v[64:65], v[66:67], -v[74:75]
	v_fmac_f64_e32 v[64:65], v[52:53], v[66:67]
	v_add_f64 v[52:53], v[74:75], v[64:65]
	v_add_f64 v[66:67], v[52:53], -v[74:75]
	v_add_f64 v[64:65], v[64:65], -v[66:67]
	v_add_f64 v[66:67], v[52:53], s[36:37]
	s_mov_b32 s46, s36
	v_add_f64 v[74:75], v[66:67], s[46:47]
	v_add_f64 v[52:53], v[52:53], -v[74:75]
	v_add_f64 v[64:65], v[64:65], s[44:45]
	v_add_f64 v[52:53], v[64:65], v[52:53]
	;; [unrolled: 1-line block ×3, first 2 shown]
	v_add_f64 v[66:67], v[66:67], -v[64:65]
	v_add_f64 v[52:53], v[52:53], v[66:67]
	v_mul_f64 v[66:67], v[48:49], v[64:65]
	v_fma_f64 v[74:75], v[48:49], v[64:65], -v[66:67]
	v_add_f64 v[50:51], v[76:77], -v[50:51]
	v_fmac_f64_e32 v[74:75], v[48:49], v[52:53]
	v_fmac_f64_e32 v[74:75], v[50:51], v[64:65]
	v_add_f64 v[48:49], v[66:67], v[74:75]
	v_add_f64 v[50:51], v[48:49], -v[66:67]
	v_add_f64 v[52:53], v[70:71], v[48:49]
	v_add_f64 v[50:51], v[74:75], -v[50:51]
	v_add_f64 v[64:65], v[52:53], -v[70:71]
	;; [unrolled: 1-line block ×3, first 2 shown]
	v_add_f64 v[50:51], v[72:73], v[50:51]
	v_add_f64 v[48:49], v[50:51], v[48:49]
	;; [unrolled: 1-line block ×3, first 2 shown]
	v_add_f64 v[52:53], v[50:51], -v[52:53]
	v_add_f64 v[48:49], v[48:49], -v[52:53]
	v_add_f64 v[52:53], v[62:63], v[50:51]
	v_add_f64 v[64:65], v[52:53], -v[62:63]
	v_add_f64 v[66:67], v[52:53], -v[64:65]
	;; [unrolled: 1-line block ×4, first 2 shown]
	v_add_f64 v[50:51], v[50:51], v[62:63]
	v_add_f64 v[62:63], v[68:69], v[48:49]
	v_add_f64 v[64:65], v[62:63], -v[68:69]
	v_add_f64 v[50:51], v[62:63], v[50:51]
	v_add_f64 v[66:67], v[62:63], -v[64:65]
	;; [unrolled: 2-line block ×3, first 2 shown]
	v_add_f64 v[48:49], v[48:49], -v[64:65]
	v_add_f64 v[52:53], v[62:63], -v[52:53]
	v_add_f64 v[48:49], v[48:49], v[66:67]
	v_add_f64 v[50:51], v[50:51], -v[52:53]
	v_add_f64 v[48:49], v[48:49], v[50:51]
	v_add_f64 v[50:51], v[62:63], v[48:49]
	v_add_f64 v[52:53], v[50:51], -v[62:63]
	v_add_f64 v[48:49], v[48:49], -v[52:53]
	v_mul_f64 v[52:53], v[44:45], v[50:51]
	v_fma_f64 v[50:51], v[44:45], v[50:51], -v[52:53]
	v_fmac_f64_e32 v[50:51], v[44:45], v[48:49]
	v_add_f64 v[48:49], v[52:53], v[50:51]
	v_cmp_class_f64_e64 s[0:1], v[52:53], s69
	v_add_f64 v[62:63], v[48:49], -v[52:53]
	v_cndmask_b32_e64 v49, v49, v53, s[0:1]
	v_cndmask_b32_e64 v48, v48, v52, s[0:1]
	v_mul_f64 v[52:53], v[48:49], s[52:53]
	v_rndne_f64_e32 v[52:53], v[52:53]
	s_mov_b32 s54, s38
	v_add_f64 v[50:51], v[50:51], -v[62:63]
	v_fma_f64 v[62:63], s[54:55], v[52:53], v[48:49]
	s_mov_b32 s56, s40
	v_fmac_f64_e32 v[62:63], s[56:57], v[52:53]
	v_pk_mov_b32 v[64:65], v[24:25], v[24:25] op_sel:[0,1]
	v_fmac_f64_e32 v[64:65], s[58:59], v[62:63]
	v_pk_mov_b32 v[66:67], v[26:27], v[26:27] op_sel:[0,1]
	;; [unrolled: 2-line block ×9, first 2 shown]
	v_fmac_f64_e32 v[64:65], v[62:63], v[66:67]
	v_fma_f64 v[64:65], v[62:63], v[64:65], 1.0
	v_cmp_neq_f64_e64 s[0:1], |v[48:49]|, s[34:35]
	v_fma_f64 v[62:63], v[62:63], v[64:65], 1.0
	v_cvt_i32_f64_e32 v3, v[52:53]
	v_cndmask_b32_e64 v51, 0, v51, s[0:1]
	v_cndmask_b32_e64 v50, 0, v50, s[0:1]
	v_ldexp_f64 v[52:53], v[62:63], v3
	v_cmp_lt_f64_e64 s[0:1], s[50:51], v[48:49]
	v_cndmask_b32_e64 v3, v52, 0, s[0:1]
	v_cndmask_b32_e64 v62, v53, v60, s[0:1]
	v_cmp_ngt_f64_e64 s[2:3], s[48:49], v[48:49]
	v_and_b32_e32 v53, 0x7fffffff, v53
	v_cndmask_b32_e64 v49, 0, v62, s[2:3]
	v_cndmask_b32_e64 v48, 0, v3, s[2:3]
	v_cmp_eq_f64_e64 s[6:7], s[34:35], v[52:53]
	v_pk_mov_b32 v[62:63], v[48:49], v[48:49] op_sel:[0,1]
	s_or_b64 s[0:1], s[0:1], s[6:7]
	v_fmac_f64_e32 v[62:63], v[62:63], v[50:51]
	s_and_b64 s[0:1], s[2:3], s[0:1]
	v_mul_f64 v[50:51], v[44:45], 0.5
	v_cndmask_b32_e64 v3, v62, v48, s[0:1]
	v_cndmask_b32_e64 v62, v63, v49, s[0:1]
	v_trunc_f64_e32 v[48:49], v[44:45]
	v_trunc_f64_e32 v[52:53], v[50:51]
	v_cmp_neq_f64_e64 s[0:1], v[52:53], v[50:51]
	v_cmp_eq_f64_e64 s[2:3], v[48:49], v[44:45]
	s_and_b64 s[0:1], s[2:3], s[0:1]
	v_cndmask_b32_e64 v49, v59, v47, s[0:1]
	v_bfi_b32 v49, s68, v62, v49
	v_cndmask_b32_e64 v48, 0, v3, s[2:3]
	v_cndmask_b32_e64 v50, v61, v49, s[2:3]
	v_cmp_gt_f64_e64 s[2:3], 0, v[46:47]
	v_cndmask_b32_e64 v50, v49, v50, s[2:3]
	v_cndmask_b32_e64 v3, v3, v48, s[2:3]
	s_and_b32 s2, s21, 0x7fffffff
	v_mov_b32_e32 v48, s2
	v_cndmask_b32_e32 v49, v48, v59, vcc
	v_mov_b32_e32 v48, s20
	v_cndmask_b32_e64 v48, v48, 0, vcc
	v_cmp_neq_f64_e32 vcc, v[44:45], v[48:49]
	v_cmp_gt_f64_e64 s[2:3], 1.0, v[42:43]
	s_xor_b64 s[2:3], vcc, s[2:3]
	v_cndmask_b32_e64 v51, v48, 0, s[2:3]
	v_cndmask_b32_e64 v52, v49, 0, s[2:3]
	v_cmp_eq_f64_e32 vcc, 1.0, v[42:43]
	v_cmp_eq_f64_e64 s[2:3], 0, v[46:47]
	v_cmp_gt_f64_e64 s[6:7], 0, v[44:45]
	v_cndmask_b32_e32 v52, v52, v43, vcc
	v_cndmask_b32_e32 v51, v51, v42, vcc
	v_cmp_eq_f64_e32 vcc, s[34:35], v[48:49]
	s_xor_b64 s[6:7], s[6:7], s[2:3]
	v_cndmask_b32_e32 v3, v3, v51, vcc
	v_cndmask_b32_e32 v48, v50, v52, vcc
	v_cmp_eq_f64_e32 vcc, s[34:35], v[42:43]
	v_cndmask_b32_e64 v42, v60, 0, s[6:7]
	v_cndmask_b32_e64 v43, 0, v47, s[0:1]
	v_bfi_b32 v42, s68, v42, v43
	s_or_b64 vcc, vcc, s[2:3]
	v_cndmask_b32_e32 v43, v48, v42, vcc
	v_cndmask_b32_e64 v3, v3, 0, vcc
	v_cmp_o_f64_e32 vcc, v[46:47], v[44:45]
	v_cndmask_b32_e32 v42, 0, v3, vcc
	v_cndmask_b32_e32 v43, v61, v43, vcc
	v_mov_b32_e32 v3, s65
	v_add_co_u32_e32 v44, vcc, s64, v4
	v_addc_co_u32_e32 v45, vcc, v5, v3, vcc
	global_store_dwordx2 v[44:45], v[42:43], off
	s_branch .LBB53_3
.LBB53_20:
	s_cbranch_execz .LBB53_22
	s_branch .LBB53_25
.LBB53_21:
.LBB53_22:
	v_mov_b32_e32 v8, 0
	v_lshlrev_b32_e32 v2, 2, v0
	v_mov_b32_e32 v3, v8
	s_mov_b32 s0, 0
	v_cmp_gt_i64_e32 vcc, s[22:23], v[2:3]
	s_and_saveexec_b64 s[2:3], vcc
	s_cbranch_execz .LBB53_25
; %bb.23:
	s_load_dword s1, s[4:5], 0xd44
	v_lshlrev_b32_e32 v1, 5, v0
	s_mov_b32 s10, 0x55555555
	s_mov_b32 s12, 0x55555555
	;; [unrolled: 1-line block ×3, first 2 shown]
	s_waitcnt lgkmcnt(0)
	s_and_b32 s1, s1, 0xffff
	s_lshl_b32 s33, s1, 2
	s_add_u32 s2, s24, s26
	s_addc_u32 s3, s25, s27
	v_add_lshl_u32 v10, v0, s1, 2
	v_mov_b32_e32 v0, s3
	v_add_co_u32_e32 v1, vcc, s2, v1
	s_mov_b32 s2, 0x968915a9
	s_mov_b32 s3, 0x3fba6564
	v_addc_co_u32_e32 v0, vcc, 0, v0, vcc
	v_pk_mov_b32 v[14:15], s[2:3], s[2:3] op_sel:[0,1]
	s_mov_b32 s2, 0xfca7ab0c
	v_add_co_u32_e32 v12, vcc, 16, v1
	s_mov_b32 s16, 0x3abe935a
	s_mov_b32 s18, 0x47e6c9c2
	;; [unrolled: 1-line block ×25, first 2 shown]
	v_mov_b32_e32 v11, v8
	v_addc_co_u32_e32 v13, vcc, 0, v0, vcc
	s_lshl_b32 s74, s1, 5
	s_mov_b64 s[8:9], 0
	v_mov_b32_e32 v18, s21
	v_mov_b32_e32 v19, 0x3ff00000
	;; [unrolled: 1-line block ×3, first 2 shown]
	s_brev_b32 s75, -2
	s_mov_b32 s11, 0x3fe55555
	s_mov_b32 s13, 0xbfe55555
	;; [unrolled: 1-line block ×14, first 2 shown]
	s_movk_i32 s76, 0x204
	s_mov_b32 s45, 0x7ff00000
	s_mov_b32 s47, 0x3ff71547
	;; [unrolled: 1-line block ×4, first 2 shown]
	v_pk_mov_b32 v[16:17], s[2:3], s[2:3] op_sel:[0,1]
	s_mov_b32 s53, 0x3ec71dee
	s_mov_b32 s55, 0x3efa0199
	;; [unrolled: 1-line block ×9, first 2 shown]
	v_mov_b32_e32 v21, 0x7ff00000
	s_mov_b32 s71, 0xc090cc00
	v_mov_b32_e32 v22, 0x7ff80000
	s_mov_b64 s[72:73], 0xffff
	v_mov_b32_e32 v23, s0
	v_mov_b32_e32 v24, s0
.LBB53_24:                              ; =>This Inner Loop Header: Depth=1
	global_load_dwordx4 v[4:7], v[12:13], off offset:-16
	global_load_dwordx4 v[0:3], v[12:13], off
	s_and_b32 s0, s21, 0x7fffffff
	v_mov_b32_e32 v25, s0
	s_mov_b32 s48, s40
	s_waitcnt vmcnt(1)
	v_cmp_eq_f64_e32 vcc, 1.0, v[4:5]
	v_cndmask_b32_e32 v29, v18, v19, vcc
	v_cndmask_b32_e64 v28, v20, 0, vcc
	v_cmp_eq_f64_e64 s[0:1], 0, v[28:29]
	v_and_b32_e32 v9, 0x7fffffff, v5
	v_mul_f64 v[30:31], v[28:29], 0.5
	v_cndmask_b32_e64 v4, v4, 0, s[0:1]
	v_cndmask_b32_e64 v33, v9, v19, s[0:1]
	v_trunc_f64_e32 v[34:35], v[30:31]
	v_mov_b32_e32 v32, v4
	v_cndmask_b32_e64 v5, v5, v19, s[0:1]
	v_cmp_neq_f64_e64 s[0:1], v[34:35], v[30:31]
	v_frexp_mant_f64_e32 v[30:31], v[32:33]
	v_cmp_gt_f64_e64 s[2:3], s[10:11], v[30:31]
	v_cndmask_b32_e64 v9, v19, 2.0, s[2:3]
	v_frexp_exp_i32_f64_e32 v34, v[32:33]
	v_mul_f64 v[30:31], v[30:31], v[8:9]
	v_subbrev_co_u32_e64 v9, s[2:3], 0, v34, s[2:3]
	v_add_f64 v[36:37], v[30:31], 1.0
	v_cvt_f64_i32_e32 v[38:39], v9
	v_rcp_f64_e32 v[42:43], v[36:37]
	v_add_f64 v[40:41], v[36:37], -1.0
	v_mul_f64 v[44:45], v[38:39], s[36:37]
	v_add_f64 v[34:35], v[30:31], -1.0
	v_add_f64 v[30:31], v[30:31], -v[40:41]
	v_fma_f64 v[40:41], v[38:39], s[36:37], -v[44:45]
	v_fmac_f64_e32 v[40:41], s[40:41], v[38:39]
	v_add_f64 v[38:39], v[44:45], v[40:41]
	v_fma_f64 v[46:47], -v[36:37], v[42:43], 1.0
	v_add_f64 v[44:45], v[38:39], -v[44:45]
	v_fmac_f64_e32 v[42:43], v[46:47], v[42:43]
	v_add_f64 v[40:41], v[40:41], -v[44:45]
	v_fma_f64 v[44:45], -v[36:37], v[42:43], 1.0
	v_fmac_f64_e32 v[42:43], v[44:45], v[42:43]
	v_mul_f64 v[44:45], v[34:35], v[42:43]
	v_mul_f64 v[46:47], v[36:37], v[44:45]
	v_fma_f64 v[36:37], v[44:45], v[36:37], -v[46:47]
	v_fmac_f64_e32 v[36:37], v[44:45], v[30:31]
	v_add_f64 v[30:31], v[46:47], v[36:37]
	v_add_f64 v[48:49], v[34:35], -v[30:31]
	v_add_f64 v[46:47], v[30:31], -v[46:47]
	;; [unrolled: 1-line block ×5, first 2 shown]
	v_add_f64 v[30:31], v[36:37], v[30:31]
	v_add_f64 v[30:31], v[48:49], v[30:31]
	v_mul_f64 v[30:31], v[42:43], v[30:31]
	v_add_f64 v[34:35], v[44:45], v[30:31]
	v_add_f64 v[36:37], v[34:35], -v[44:45]
	v_mul_f64 v[42:43], v[34:35], v[34:35]
	v_add_f64 v[30:31], v[30:31], -v[36:37]
	v_fma_f64 v[36:37], v[34:35], v[34:35], -v[42:43]
	v_add_f64 v[46:47], v[30:31], v[30:31]
	v_fmac_f64_e32 v[36:37], v[34:35], v[46:47]
	v_add_f64 v[46:47], v[42:43], v[36:37]
	v_add_f64 v[42:43], v[46:47], -v[42:43]
	v_fma_f64 v[50:51], s[14:15], v[46:47], v[14:15]
	v_mul_f64 v[52:53], v[34:35], v[46:47]
	v_add_f64 v[36:37], v[36:37], -v[42:43]
	v_fma_f64 v[42:43], v[46:47], v[50:51], s[16:17]
	v_fma_f64 v[50:51], v[46:47], v[34:35], -v[52:53]
	v_fma_f64 v[42:43], v[46:47], v[42:43], s[18:19]
	v_ldexp_f64 v[48:49], v[30:31], 1
	v_fmac_f64_e32 v[50:51], v[46:47], v[30:31]
	v_fma_f64 v[30:31], v[46:47], v[42:43], s[24:25]
	v_fma_f64 v[30:31], v[46:47], v[30:31], s[26:27]
	v_fmac_f64_e32 v[50:51], v[36:37], v[34:35]
	v_fma_f64 v[30:31], v[46:47], v[30:31], s[28:29]
	v_ldexp_f64 v[44:45], v[34:35], 1
	v_add_f64 v[34:35], v[52:53], v[50:51]
	v_fma_f64 v[30:31], v[46:47], v[30:31], s[30:31]
	v_add_f64 v[42:43], v[34:35], -v[52:53]
	v_fma_f64 v[30:31], v[46:47], v[30:31], s[34:35]
	v_add_f64 v[42:43], v[50:51], -v[42:43]
	v_mul_f64 v[50:51], v[46:47], v[30:31]
	v_fma_f64 v[46:47], v[46:47], v[30:31], -v[50:51]
	v_fmac_f64_e32 v[46:47], v[36:37], v[30:31]
	v_add_f64 v[30:31], v[50:51], v[46:47]
	v_add_f64 v[36:37], v[30:31], -v[50:51]
	v_add_f64 v[50:51], v[30:31], s[10:11]
	v_add_f64 v[36:37], v[46:47], -v[36:37]
	;; [unrolled: 2-line block ×3, first 2 shown]
	v_add_f64 v[36:37], v[36:37], s[42:43]
	v_add_f64 v[30:31], v[36:37], v[30:31]
	;; [unrolled: 1-line block ×3, first 2 shown]
	v_add_f64 v[46:47], v[50:51], -v[36:37]
	v_mul_f64 v[50:51], v[34:35], v[36:37]
	v_add_f64 v[30:31], v[30:31], v[46:47]
	v_fma_f64 v[46:47], v[34:35], v[36:37], -v[50:51]
	v_fmac_f64_e32 v[46:47], v[34:35], v[30:31]
	v_fmac_f64_e32 v[46:47], v[42:43], v[36:37]
	v_add_f64 v[30:31], v[50:51], v[46:47]
	v_add_f64 v[34:35], v[30:31], -v[50:51]
	v_add_f64 v[36:37], v[44:45], v[30:31]
	v_add_f64 v[34:35], v[46:47], -v[34:35]
	v_add_f64 v[42:43], v[36:37], -v[44:45]
	;; [unrolled: 1-line block ×3, first 2 shown]
	v_add_f64 v[34:35], v[48:49], v[34:35]
	v_add_f64 v[30:31], v[34:35], v[30:31]
	;; [unrolled: 1-line block ×3, first 2 shown]
	v_add_f64 v[36:37], v[34:35], -v[36:37]
	v_add_f64 v[42:43], v[38:39], v[34:35]
	v_add_f64 v[30:31], v[30:31], -v[36:37]
	v_add_f64 v[36:37], v[42:43], -v[38:39]
	;; [unrolled: 1-line block ×4, first 2 shown]
	v_add_f64 v[36:37], v[40:41], v[30:31]
	v_add_f64 v[38:39], v[38:39], -v[44:45]
	v_add_f64 v[44:45], v[36:37], -v[40:41]
	v_add_f64 v[34:35], v[34:35], v[38:39]
	v_add_f64 v[38:39], v[36:37], -v[44:45]
	v_add_f64 v[34:35], v[36:37], v[34:35]
	v_add_f64 v[30:31], v[30:31], -v[44:45]
	v_add_f64 v[38:39], v[40:41], -v[38:39]
	v_add_f64 v[36:37], v[42:43], v[34:35]
	v_add_f64 v[30:31], v[30:31], v[38:39]
	v_add_f64 v[38:39], v[36:37], -v[42:43]
	v_add_f64 v[34:35], v[34:35], -v[38:39]
	v_add_f64 v[30:31], v[30:31], v[34:35]
	v_add_f64 v[34:35], v[36:37], v[30:31]
	v_add_f64 v[36:37], v[34:35], -v[36:37]
	v_mul_f64 v[38:39], v[28:29], v[34:35]
	v_add_f64 v[30:31], v[30:31], -v[36:37]
	v_fma_f64 v[34:35], v[28:29], v[34:35], -v[38:39]
	v_fmac_f64_e32 v[34:35], v[28:29], v[30:31]
	v_add_f64 v[30:31], v[38:39], v[34:35]
	v_cmp_class_f64_e64 s[2:3], v[38:39], s76
	v_add_f64 v[36:37], v[30:31], -v[38:39]
	v_cndmask_b32_e64 v31, v31, v39, s[2:3]
	v_cndmask_b32_e64 v30, v30, v38, s[2:3]
	v_add_f64 v[34:35], v[34:35], -v[36:37]
	v_mul_f64 v[36:37], v[30:31], s[46:47]
	v_rndne_f64_e32 v[36:37], v[36:37]
	v_fma_f64 v[38:39], s[38:39], v[36:37], v[30:31]
	v_fmac_f64_e32 v[38:39], s[48:49], v[36:37]
	v_cvt_i32_f64_e32 v9, v[36:37]
	v_fma_f64 v[36:37], s[50:51], v[38:39], v[16:17]
	v_fma_f64 v[36:37], v[38:39], v[36:37], s[52:53]
	;; [unrolled: 1-line block ×9, first 2 shown]
	v_fma_f64 v[36:37], v[38:39], v[36:37], 1.0
	v_cmp_neq_f64_e64 s[2:3], |v[30:31]|, s[44:45]
	v_fma_f64 v[36:37], v[38:39], v[36:37], 1.0
	v_cndmask_b32_e64 v35, 0, v35, s[2:3]
	v_cndmask_b32_e64 v34, 0, v34, s[2:3]
	v_ldexp_f64 v[36:37], v[36:37], v9
	v_cmp_lt_f64_e64 s[2:3], s[68:69], v[30:31]
	v_cndmask_b32_e64 v9, v36, 0, s[2:3]
	v_cndmask_b32_e64 v38, v37, v21, s[2:3]
	v_and_b32_e32 v37, 0x7fffffff, v37
	v_cmp_ngt_f64_e64 s[6:7], s[70:71], v[30:31]
	v_cmp_eq_f64_e64 s[4:5], s[44:45], v[36:37]
	v_cndmask_b32_e64 v31, 0, v38, s[6:7]
	v_cndmask_b32_e64 v30, 0, v9, s[6:7]
	s_or_b64 s[2:3], s[2:3], s[4:5]
	v_pk_mov_b32 v[36:37], v[30:31], v[30:31] op_sel:[0,1]
	v_trunc_f64_e32 v[26:27], v[28:29]
	v_fmac_f64_e32 v[36:37], v[36:37], v[34:35]
	s_and_b64 s[2:3], s[6:7], s[2:3]
	v_cndmask_b32_e64 v9, v36, v30, s[2:3]
	v_cndmask_b32_e64 v30, v37, v31, s[2:3]
	v_cmp_eq_f64_e64 s[2:3], v[26:27], v[28:29]
	s_and_b64 s[0:1], s[2:3], s[0:1]
	v_cndmask_b32_e64 v27, v19, v5, s[0:1]
	v_bfi_b32 v27, s75, v30, v27
	v_cndmask_b32_e64 v26, 0, v9, s[2:3]
	v_cndmask_b32_e64 v30, v22, v27, s[2:3]
	v_cmp_gt_f64_e64 s[2:3], 0, v[4:5]
	v_cndmask_b32_e64 v9, v9, v26, s[2:3]
	v_mov_b32_e32 v26, s20
	v_cndmask_b32_e64 v27, v27, v30, s[2:3]
	v_cndmask_b32_e32 v31, v25, v19, vcc
	v_cndmask_b32_e64 v30, v26, 0, vcc
	v_cmp_neq_f64_e32 vcc, v[28:29], v[30:31]
	v_cmp_gt_f64_e64 s[2:3], 1.0, v[32:33]
	s_xor_b64 s[2:3], vcc, s[2:3]
	v_cndmask_b32_e64 v34, v30, 0, s[2:3]
	v_cndmask_b32_e64 v35, v31, 0, s[2:3]
	v_cmp_eq_f64_e32 vcc, 1.0, v[32:33]
	v_cmp_eq_f64_e64 s[2:3], 0, v[4:5]
	v_cmp_gt_f64_e64 s[4:5], 0, v[28:29]
	v_cndmask_b32_e32 v35, v35, v33, vcc
	v_cndmask_b32_e32 v34, v34, v4, vcc
	v_cmp_eq_f64_e32 vcc, s[44:45], v[30:31]
	s_xor_b64 s[4:5], s[4:5], s[2:3]
	v_cndmask_b32_e32 v9, v9, v34, vcc
	v_cndmask_b32_e32 v27, v27, v35, vcc
	v_cmp_eq_f64_e32 vcc, s[44:45], v[32:33]
	v_cndmask_b32_e64 v30, v21, 0, s[4:5]
	v_cndmask_b32_e64 v31, 0, v5, s[0:1]
	v_bfi_b32 v30, s75, v30, v31
	s_or_b64 vcc, vcc, s[2:3]
	v_cndmask_b32_e32 v27, v27, v30, vcc
	v_cndmask_b32_e64 v9, v9, 0, vcc
	v_cmp_o_f64_e32 vcc, v[4:5], v[28:29]
	v_cndmask_b32_e32 v4, 0, v9, vcc
	v_cndmask_b32_e32 v5, v22, v27, vcc
	v_cmp_eq_f64_e32 vcc, 1.0, v[6:7]
	v_cndmask_b32_e32 v29, v18, v19, vcc
	v_cndmask_b32_e64 v28, v20, 0, vcc
	v_cmp_eq_f64_e64 s[0:1], 0, v[28:29]
	v_cndmask_b32_e64 v30, v6, 0, s[0:1]
	v_and_b32_e32 v6, 0x7fffffff, v7
	v_cndmask_b32_e64 v31, v7, v19, s[0:1]
	v_cndmask_b32_e64 v7, v6, v19, s[0:1]
	v_mov_b32_e32 v6, v30
	v_frexp_mant_f64_e32 v[32:33], v[6:7]
	v_cmp_gt_f64_e64 s[0:1], s[10:11], v[32:33]
	v_cndmask_b32_e64 v9, v19, 2.0, s[0:1]
	v_mul_f64 v[32:33], v[32:33], v[8:9]
	v_add_f64 v[34:35], v[32:33], 1.0
	v_rcp_f64_e32 v[36:37], v[34:35]
	v_add_f64 v[40:41], v[34:35], -1.0
	v_add_f64 v[38:39], v[32:33], -1.0
	v_add_f64 v[32:33], v[32:33], -v[40:41]
	v_fma_f64 v[40:41], -v[34:35], v[36:37], 1.0
	v_fmac_f64_e32 v[36:37], v[40:41], v[36:37]
	v_fma_f64 v[40:41], -v[34:35], v[36:37], 1.0
	v_fmac_f64_e32 v[36:37], v[40:41], v[36:37]
	v_mul_f64 v[40:41], v[38:39], v[36:37]
	v_mul_f64 v[42:43], v[34:35], v[40:41]
	v_fma_f64 v[34:35], v[40:41], v[34:35], -v[42:43]
	v_fmac_f64_e32 v[34:35], v[40:41], v[32:33]
	v_add_f64 v[32:33], v[42:43], v[34:35]
	v_add_f64 v[44:45], v[38:39], -v[32:33]
	v_add_f64 v[42:43], v[32:33], -v[42:43]
	v_add_f64 v[38:39], v[38:39], -v[44:45]
	v_add_f64 v[32:33], v[38:39], -v[32:33]
	v_add_f64 v[34:35], v[42:43], -v[34:35]
	v_add_f64 v[32:33], v[34:35], v[32:33]
	v_add_f64 v[32:33], v[44:45], v[32:33]
	v_mul_f64 v[32:33], v[36:37], v[32:33]
	v_add_f64 v[34:35], v[40:41], v[32:33]
	v_add_f64 v[36:37], v[34:35], -v[40:41]
	v_add_f64 v[32:33], v[32:33], -v[36:37]
	v_mul_f64 v[36:37], v[34:35], v[34:35]
	v_fma_f64 v[38:39], v[34:35], v[34:35], -v[36:37]
	v_add_f64 v[40:41], v[32:33], v[32:33]
	v_fmac_f64_e32 v[38:39], v[34:35], v[40:41]
	v_add_f64 v[40:41], v[36:37], v[38:39]
	v_add_f64 v[36:37], v[40:41], -v[36:37]
	v_frexp_exp_i32_f64_e32 v27, v[6:7]
	v_add_f64 v[36:37], v[38:39], -v[36:37]
	v_fma_f64 v[38:39], s[14:15], v[40:41], v[14:15]
	v_subbrev_co_u32_e64 v9, s[0:1], 0, v27, s[0:1]
	v_fma_f64 v[38:39], v[40:41], v[38:39], s[16:17]
	v_fma_f64 v[38:39], v[40:41], v[38:39], s[18:19]
	v_cvt_f64_i32_e32 v[42:43], v9
	v_fma_f64 v[38:39], v[40:41], v[38:39], s[24:25]
	v_mul_f64 v[44:45], v[42:43], s[36:37]
	v_mul_f64 v[50:51], v[34:35], v[40:41]
	v_fma_f64 v[38:39], v[40:41], v[38:39], s[26:27]
	v_fma_f64 v[46:47], v[42:43], s[36:37], -v[44:45]
	v_fma_f64 v[52:53], v[40:41], v[34:35], -v[50:51]
	v_fma_f64 v[38:39], v[40:41], v[38:39], s[28:29]
	v_fmac_f64_e32 v[46:47], s[40:41], v[42:43]
	v_fmac_f64_e32 v[52:53], v[40:41], v[32:33]
	v_fma_f64 v[38:39], v[40:41], v[38:39], s[30:31]
	v_add_f64 v[42:43], v[44:45], v[46:47]
	v_fmac_f64_e32 v[52:53], v[36:37], v[34:35]
	v_fma_f64 v[38:39], v[40:41], v[38:39], s[34:35]
	v_add_f64 v[44:45], v[42:43], -v[44:45]
	v_ldexp_f64 v[48:49], v[32:33], 1
	v_add_f64 v[32:33], v[50:51], v[52:53]
	v_add_f64 v[44:45], v[46:47], -v[44:45]
	v_ldexp_f64 v[46:47], v[34:35], 1
	v_add_f64 v[34:35], v[32:33], -v[50:51]
	v_mul_f64 v[50:51], v[40:41], v[38:39]
	v_fma_f64 v[40:41], v[40:41], v[38:39], -v[50:51]
	v_fmac_f64_e32 v[40:41], v[36:37], v[38:39]
	v_add_f64 v[36:37], v[50:51], v[40:41]
	v_add_f64 v[38:39], v[36:37], -v[50:51]
	v_add_f64 v[38:39], v[40:41], -v[38:39]
	v_add_f64 v[40:41], v[36:37], s[10:11]
	v_add_f64 v[50:51], v[40:41], s[12:13]
	v_add_f64 v[36:37], v[36:37], -v[50:51]
	v_add_f64 v[38:39], v[38:39], s[42:43]
	v_add_f64 v[36:37], v[38:39], v[36:37]
	;; [unrolled: 1-line block ×3, first 2 shown]
	v_add_f64 v[40:41], v[40:41], -v[38:39]
	v_add_f64 v[36:37], v[36:37], v[40:41]
	v_mul_f64 v[40:41], v[32:33], v[38:39]
	v_fma_f64 v[50:51], v[32:33], v[38:39], -v[40:41]
	v_add_f64 v[34:35], v[52:53], -v[34:35]
	v_fmac_f64_e32 v[50:51], v[32:33], v[36:37]
	v_fmac_f64_e32 v[50:51], v[34:35], v[38:39]
	v_add_f64 v[32:33], v[40:41], v[50:51]
	v_add_f64 v[34:35], v[32:33], -v[40:41]
	v_add_f64 v[36:37], v[46:47], v[32:33]
	v_add_f64 v[34:35], v[50:51], -v[34:35]
	v_add_f64 v[38:39], v[36:37], -v[46:47]
	;; [unrolled: 1-line block ×3, first 2 shown]
	v_add_f64 v[34:35], v[48:49], v[34:35]
	v_add_f64 v[32:33], v[34:35], v[32:33]
	;; [unrolled: 1-line block ×3, first 2 shown]
	v_add_f64 v[36:37], v[34:35], -v[36:37]
	v_add_f64 v[32:33], v[32:33], -v[36:37]
	v_add_f64 v[36:37], v[42:43], v[34:35]
	v_add_f64 v[38:39], v[36:37], -v[42:43]
	v_add_f64 v[40:41], v[36:37], -v[38:39]
	;; [unrolled: 1-line block ×4, first 2 shown]
	v_add_f64 v[34:35], v[34:35], v[40:41]
	v_add_f64 v[38:39], v[44:45], v[32:33]
	v_add_f64 v[40:41], v[38:39], -v[44:45]
	v_add_f64 v[34:35], v[38:39], v[34:35]
	v_add_f64 v[42:43], v[38:39], -v[40:41]
	;; [unrolled: 2-line block ×3, first 2 shown]
	v_add_f64 v[32:33], v[32:33], -v[40:41]
	v_add_f64 v[36:37], v[38:39], -v[36:37]
	v_add_f64 v[32:33], v[32:33], v[42:43]
	v_add_f64 v[34:35], v[34:35], -v[36:37]
	v_add_f64 v[32:33], v[32:33], v[34:35]
	v_add_f64 v[34:35], v[38:39], v[32:33]
	v_add_f64 v[36:37], v[34:35], -v[38:39]
	v_add_f64 v[32:33], v[32:33], -v[36:37]
	v_mul_f64 v[36:37], v[28:29], v[34:35]
	v_fma_f64 v[34:35], v[28:29], v[34:35], -v[36:37]
	v_fmac_f64_e32 v[34:35], v[28:29], v[32:33]
	v_add_f64 v[32:33], v[36:37], v[34:35]
	v_cmp_class_f64_e64 s[0:1], v[36:37], s76
	v_add_f64 v[38:39], v[32:33], -v[36:37]
	v_cndmask_b32_e64 v33, v33, v37, s[0:1]
	v_cndmask_b32_e64 v32, v32, v36, s[0:1]
	v_mul_f64 v[36:37], v[32:33], s[46:47]
	v_rndne_f64_e32 v[36:37], v[36:37]
	v_add_f64 v[34:35], v[34:35], -v[38:39]
	v_fma_f64 v[38:39], s[38:39], v[36:37], v[32:33]
	v_fmac_f64_e32 v[38:39], s[48:49], v[36:37]
	v_fma_f64 v[40:41], s[50:51], v[38:39], v[16:17]
	v_fma_f64 v[40:41], v[38:39], v[40:41], s[52:53]
	;; [unrolled: 1-line block ×9, first 2 shown]
	v_fma_f64 v[40:41], v[38:39], v[40:41], 1.0
	v_cmp_neq_f64_e64 s[0:1], |v[32:33]|, s[44:45]
	v_fma_f64 v[38:39], v[38:39], v[40:41], 1.0
	v_cvt_i32_f64_e32 v9, v[36:37]
	v_cndmask_b32_e64 v35, 0, v35, s[0:1]
	v_cndmask_b32_e64 v34, 0, v34, s[0:1]
	v_ldexp_f64 v[36:37], v[38:39], v9
	v_cmp_lt_f64_e64 s[0:1], s[68:69], v[32:33]
	v_cndmask_b32_e64 v9, v36, 0, s[0:1]
	v_cndmask_b32_e64 v27, v37, v21, s[0:1]
	v_cmp_ngt_f64_e64 s[2:3], s[70:71], v[32:33]
	v_and_b32_e32 v37, 0x7fffffff, v37
	v_cndmask_b32_e64 v33, 0, v27, s[2:3]
	v_cndmask_b32_e64 v32, 0, v9, s[2:3]
	v_cmp_eq_f64_e64 s[4:5], s[44:45], v[36:37]
	v_pk_mov_b32 v[38:39], v[32:33], v[32:33] op_sel:[0,1]
	s_or_b64 s[0:1], s[0:1], s[4:5]
	v_fmac_f64_e32 v[38:39], v[38:39], v[34:35]
	s_and_b64 s[0:1], s[2:3], s[0:1]
	v_mul_f64 v[34:35], v[28:29], 0.5
	v_cndmask_b32_e64 v9, v38, v32, s[0:1]
	v_cndmask_b32_e64 v27, v39, v33, s[0:1]
	v_trunc_f64_e32 v[32:33], v[28:29]
	v_trunc_f64_e32 v[36:37], v[34:35]
	v_cmp_neq_f64_e64 s[0:1], v[36:37], v[34:35]
	v_cmp_eq_f64_e64 s[2:3], v[32:33], v[28:29]
	s_and_b64 s[0:1], s[2:3], s[0:1]
	v_cndmask_b32_e64 v33, v19, v31, s[0:1]
	v_bfi_b32 v27, s75, v27, v33
	v_cndmask_b32_e64 v32, 0, v9, s[2:3]
	v_cndmask_b32_e64 v33, v22, v27, s[2:3]
	v_cmp_gt_f64_e64 s[2:3], 0, v[30:31]
	v_cndmask_b32_e64 v27, v27, v33, s[2:3]
	v_cndmask_b32_e64 v9, v9, v32, s[2:3]
	v_cndmask_b32_e32 v33, v25, v19, vcc
	v_cndmask_b32_e64 v32, v26, 0, vcc
	v_cmp_neq_f64_e32 vcc, v[28:29], v[32:33]
	v_cmp_gt_f64_e64 s[2:3], 1.0, v[6:7]
	s_xor_b64 s[2:3], vcc, s[2:3]
	v_cndmask_b32_e64 v34, v32, 0, s[2:3]
	v_cndmask_b32_e64 v35, v33, 0, s[2:3]
	v_cmp_eq_f64_e32 vcc, 1.0, v[6:7]
	v_cmp_eq_f64_e64 s[2:3], 0, v[30:31]
	v_cmp_gt_f64_e64 s[4:5], 0, v[28:29]
	v_cndmask_b32_e32 v35, v35, v7, vcc
	v_cndmask_b32_e32 v34, v34, v30, vcc
	v_cmp_eq_f64_e32 vcc, s[44:45], v[32:33]
	s_xor_b64 s[4:5], s[4:5], s[2:3]
	v_cndmask_b32_e32 v9, v9, v34, vcc
	v_cndmask_b32_e32 v27, v27, v35, vcc
	v_cmp_eq_f64_e32 vcc, s[44:45], v[6:7]
	v_cndmask_b32_e64 v6, v21, 0, s[4:5]
	v_cndmask_b32_e64 v7, 0, v31, s[0:1]
	v_bfi_b32 v6, s75, v6, v7
	s_or_b64 vcc, vcc, s[2:3]
	v_cndmask_b32_e32 v7, v27, v6, vcc
	v_cndmask_b32_e64 v6, v9, 0, vcc
	v_cmp_o_f64_e32 vcc, v[30:31], v[28:29]
	v_cndmask_b32_e32 v6, 0, v6, vcc
	v_cndmask_b32_e32 v7, v22, v7, vcc
	s_waitcnt vmcnt(0)
	v_cmp_eq_f64_e32 vcc, 1.0, v[0:1]
	v_cndmask_b32_e32 v29, v18, v19, vcc
	v_cndmask_b32_e64 v28, v20, 0, vcc
	v_cmp_eq_f64_e64 s[0:1], 0, v[28:29]
	v_cndmask_b32_e64 v30, v0, 0, s[0:1]
	v_and_b32_e32 v0, 0x7fffffff, v1
	v_cndmask_b32_e64 v31, v1, v19, s[0:1]
	v_cndmask_b32_e64 v1, v0, v19, s[0:1]
	v_mov_b32_e32 v0, v30
	v_frexp_mant_f64_e32 v[32:33], v[0:1]
	v_cmp_gt_f64_e64 s[0:1], s[10:11], v[32:33]
	v_cndmask_b32_e64 v9, v19, 2.0, s[0:1]
	v_mul_f64 v[32:33], v[32:33], v[8:9]
	v_add_f64 v[34:35], v[32:33], 1.0
	v_rcp_f64_e32 v[36:37], v[34:35]
	v_add_f64 v[40:41], v[34:35], -1.0
	v_add_f64 v[38:39], v[32:33], -1.0
	v_add_f64 v[32:33], v[32:33], -v[40:41]
	v_fma_f64 v[40:41], -v[34:35], v[36:37], 1.0
	v_fmac_f64_e32 v[36:37], v[40:41], v[36:37]
	v_fma_f64 v[40:41], -v[34:35], v[36:37], 1.0
	v_fmac_f64_e32 v[36:37], v[40:41], v[36:37]
	v_mul_f64 v[40:41], v[38:39], v[36:37]
	v_mul_f64 v[42:43], v[34:35], v[40:41]
	v_fma_f64 v[34:35], v[40:41], v[34:35], -v[42:43]
	v_fmac_f64_e32 v[34:35], v[40:41], v[32:33]
	v_add_f64 v[32:33], v[42:43], v[34:35]
	v_add_f64 v[44:45], v[38:39], -v[32:33]
	v_add_f64 v[42:43], v[32:33], -v[42:43]
	;; [unrolled: 1-line block ×5, first 2 shown]
	v_add_f64 v[32:33], v[34:35], v[32:33]
	v_add_f64 v[32:33], v[44:45], v[32:33]
	v_mul_f64 v[32:33], v[36:37], v[32:33]
	v_add_f64 v[34:35], v[40:41], v[32:33]
	v_add_f64 v[36:37], v[34:35], -v[40:41]
	v_add_f64 v[32:33], v[32:33], -v[36:37]
	v_mul_f64 v[36:37], v[34:35], v[34:35]
	v_fma_f64 v[38:39], v[34:35], v[34:35], -v[36:37]
	v_add_f64 v[40:41], v[32:33], v[32:33]
	v_fmac_f64_e32 v[38:39], v[34:35], v[40:41]
	v_add_f64 v[40:41], v[36:37], v[38:39]
	v_add_f64 v[36:37], v[40:41], -v[36:37]
	v_frexp_exp_i32_f64_e32 v27, v[0:1]
	v_add_f64 v[36:37], v[38:39], -v[36:37]
	v_fma_f64 v[38:39], s[14:15], v[40:41], v[14:15]
	v_subbrev_co_u32_e64 v9, s[0:1], 0, v27, s[0:1]
	v_fma_f64 v[38:39], v[40:41], v[38:39], s[16:17]
	v_fma_f64 v[38:39], v[40:41], v[38:39], s[18:19]
	v_cvt_f64_i32_e32 v[42:43], v9
	v_fma_f64 v[38:39], v[40:41], v[38:39], s[24:25]
	v_mul_f64 v[44:45], v[42:43], s[36:37]
	v_mul_f64 v[50:51], v[34:35], v[40:41]
	v_fma_f64 v[38:39], v[40:41], v[38:39], s[26:27]
	v_fma_f64 v[46:47], v[42:43], s[36:37], -v[44:45]
	v_fma_f64 v[52:53], v[40:41], v[34:35], -v[50:51]
	v_fma_f64 v[38:39], v[40:41], v[38:39], s[28:29]
	v_fmac_f64_e32 v[46:47], s[40:41], v[42:43]
	v_fmac_f64_e32 v[52:53], v[40:41], v[32:33]
	v_fma_f64 v[38:39], v[40:41], v[38:39], s[30:31]
	v_add_f64 v[42:43], v[44:45], v[46:47]
	v_fmac_f64_e32 v[52:53], v[36:37], v[34:35]
	v_fma_f64 v[38:39], v[40:41], v[38:39], s[34:35]
	v_add_f64 v[44:45], v[42:43], -v[44:45]
	v_ldexp_f64 v[48:49], v[32:33], 1
	v_add_f64 v[32:33], v[50:51], v[52:53]
	v_add_f64 v[44:45], v[46:47], -v[44:45]
	v_ldexp_f64 v[46:47], v[34:35], 1
	v_add_f64 v[34:35], v[32:33], -v[50:51]
	v_mul_f64 v[50:51], v[40:41], v[38:39]
	v_fma_f64 v[40:41], v[40:41], v[38:39], -v[50:51]
	v_fmac_f64_e32 v[40:41], v[36:37], v[38:39]
	v_add_f64 v[36:37], v[50:51], v[40:41]
	v_add_f64 v[38:39], v[36:37], -v[50:51]
	v_add_f64 v[38:39], v[40:41], -v[38:39]
	v_add_f64 v[40:41], v[36:37], s[10:11]
	v_add_f64 v[50:51], v[40:41], s[12:13]
	v_add_f64 v[36:37], v[36:37], -v[50:51]
	v_add_f64 v[38:39], v[38:39], s[42:43]
	v_add_f64 v[36:37], v[38:39], v[36:37]
	;; [unrolled: 1-line block ×3, first 2 shown]
	v_add_f64 v[40:41], v[40:41], -v[38:39]
	v_add_f64 v[36:37], v[36:37], v[40:41]
	v_mul_f64 v[40:41], v[32:33], v[38:39]
	v_fma_f64 v[50:51], v[32:33], v[38:39], -v[40:41]
	v_add_f64 v[34:35], v[52:53], -v[34:35]
	v_fmac_f64_e32 v[50:51], v[32:33], v[36:37]
	v_fmac_f64_e32 v[50:51], v[34:35], v[38:39]
	v_add_f64 v[32:33], v[40:41], v[50:51]
	v_add_f64 v[34:35], v[32:33], -v[40:41]
	v_add_f64 v[36:37], v[46:47], v[32:33]
	v_add_f64 v[34:35], v[50:51], -v[34:35]
	v_add_f64 v[38:39], v[36:37], -v[46:47]
	;; [unrolled: 1-line block ×3, first 2 shown]
	v_add_f64 v[34:35], v[48:49], v[34:35]
	v_add_f64 v[32:33], v[34:35], v[32:33]
	;; [unrolled: 1-line block ×3, first 2 shown]
	v_add_f64 v[36:37], v[34:35], -v[36:37]
	v_add_f64 v[32:33], v[32:33], -v[36:37]
	v_add_f64 v[36:37], v[42:43], v[34:35]
	v_add_f64 v[38:39], v[36:37], -v[42:43]
	v_add_f64 v[40:41], v[36:37], -v[38:39]
	;; [unrolled: 1-line block ×4, first 2 shown]
	v_add_f64 v[34:35], v[34:35], v[40:41]
	v_add_f64 v[38:39], v[44:45], v[32:33]
	v_add_f64 v[40:41], v[38:39], -v[44:45]
	v_add_f64 v[34:35], v[38:39], v[34:35]
	v_add_f64 v[42:43], v[38:39], -v[40:41]
	;; [unrolled: 2-line block ×3, first 2 shown]
	v_add_f64 v[32:33], v[32:33], -v[40:41]
	v_add_f64 v[36:37], v[38:39], -v[36:37]
	v_add_f64 v[32:33], v[32:33], v[42:43]
	v_add_f64 v[34:35], v[34:35], -v[36:37]
	v_add_f64 v[32:33], v[32:33], v[34:35]
	v_add_f64 v[34:35], v[38:39], v[32:33]
	v_add_f64 v[36:37], v[34:35], -v[38:39]
	v_add_f64 v[32:33], v[32:33], -v[36:37]
	v_mul_f64 v[36:37], v[28:29], v[34:35]
	v_fma_f64 v[34:35], v[28:29], v[34:35], -v[36:37]
	v_fmac_f64_e32 v[34:35], v[28:29], v[32:33]
	v_add_f64 v[32:33], v[36:37], v[34:35]
	v_cmp_class_f64_e64 s[0:1], v[36:37], s76
	v_add_f64 v[38:39], v[32:33], -v[36:37]
	v_cndmask_b32_e64 v33, v33, v37, s[0:1]
	v_cndmask_b32_e64 v32, v32, v36, s[0:1]
	v_mul_f64 v[36:37], v[32:33], s[46:47]
	v_rndne_f64_e32 v[36:37], v[36:37]
	v_add_f64 v[34:35], v[34:35], -v[38:39]
	v_fma_f64 v[38:39], s[38:39], v[36:37], v[32:33]
	v_fmac_f64_e32 v[38:39], s[48:49], v[36:37]
	v_fma_f64 v[40:41], s[50:51], v[38:39], v[16:17]
	v_fma_f64 v[40:41], v[38:39], v[40:41], s[52:53]
	;; [unrolled: 1-line block ×9, first 2 shown]
	v_fma_f64 v[40:41], v[38:39], v[40:41], 1.0
	v_cmp_neq_f64_e64 s[0:1], |v[32:33]|, s[44:45]
	v_fma_f64 v[38:39], v[38:39], v[40:41], 1.0
	v_cvt_i32_f64_e32 v9, v[36:37]
	v_cndmask_b32_e64 v35, 0, v35, s[0:1]
	v_cndmask_b32_e64 v34, 0, v34, s[0:1]
	v_ldexp_f64 v[36:37], v[38:39], v9
	v_cmp_lt_f64_e64 s[0:1], s[68:69], v[32:33]
	v_cndmask_b32_e64 v9, v36, 0, s[0:1]
	v_cndmask_b32_e64 v27, v37, v21, s[0:1]
	v_cmp_ngt_f64_e64 s[2:3], s[70:71], v[32:33]
	v_and_b32_e32 v37, 0x7fffffff, v37
	v_cndmask_b32_e64 v33, 0, v27, s[2:3]
	v_cndmask_b32_e64 v32, 0, v9, s[2:3]
	v_cmp_eq_f64_e64 s[4:5], s[44:45], v[36:37]
	v_pk_mov_b32 v[38:39], v[32:33], v[32:33] op_sel:[0,1]
	s_or_b64 s[0:1], s[0:1], s[4:5]
	v_fmac_f64_e32 v[38:39], v[38:39], v[34:35]
	s_and_b64 s[0:1], s[2:3], s[0:1]
	v_mul_f64 v[34:35], v[28:29], 0.5
	v_cndmask_b32_e64 v9, v38, v32, s[0:1]
	v_cndmask_b32_e64 v27, v39, v33, s[0:1]
	v_trunc_f64_e32 v[32:33], v[28:29]
	v_trunc_f64_e32 v[36:37], v[34:35]
	v_cmp_neq_f64_e64 s[0:1], v[36:37], v[34:35]
	v_cmp_eq_f64_e64 s[2:3], v[32:33], v[28:29]
	s_and_b64 s[0:1], s[2:3], s[0:1]
	v_cndmask_b32_e64 v33, v19, v31, s[0:1]
	v_bfi_b32 v27, s75, v27, v33
	v_cndmask_b32_e64 v32, 0, v9, s[2:3]
	v_cndmask_b32_e64 v33, v22, v27, s[2:3]
	v_cmp_gt_f64_e64 s[2:3], 0, v[30:31]
	v_cndmask_b32_e64 v27, v27, v33, s[2:3]
	v_cndmask_b32_e64 v9, v9, v32, s[2:3]
	v_cndmask_b32_e32 v33, v25, v19, vcc
	v_cndmask_b32_e64 v32, v26, 0, vcc
	v_cmp_neq_f64_e32 vcc, v[28:29], v[32:33]
	v_cmp_gt_f64_e64 s[2:3], 1.0, v[0:1]
	s_xor_b64 s[2:3], vcc, s[2:3]
	v_cndmask_b32_e64 v34, v32, 0, s[2:3]
	v_cndmask_b32_e64 v35, v33, 0, s[2:3]
	v_cmp_eq_f64_e32 vcc, 1.0, v[0:1]
	v_cmp_eq_f64_e64 s[2:3], 0, v[30:31]
	v_cmp_gt_f64_e64 s[4:5], 0, v[28:29]
	v_cndmask_b32_e32 v35, v35, v1, vcc
	v_cndmask_b32_e32 v34, v34, v30, vcc
	v_cmp_eq_f64_e32 vcc, s[44:45], v[32:33]
	s_xor_b64 s[4:5], s[4:5], s[2:3]
	v_cndmask_b32_e32 v9, v9, v34, vcc
	v_cndmask_b32_e32 v27, v27, v35, vcc
	v_cmp_eq_f64_e32 vcc, s[44:45], v[0:1]
	v_cndmask_b32_e64 v0, v21, 0, s[4:5]
	v_cndmask_b32_e64 v1, 0, v31, s[0:1]
	v_bfi_b32 v0, s75, v0, v1
	s_or_b64 vcc, vcc, s[2:3]
	v_cndmask_b32_e32 v1, v27, v0, vcc
	v_cndmask_b32_e64 v0, v9, 0, vcc
	v_cmp_o_f64_e32 vcc, v[30:31], v[28:29]
	v_cndmask_b32_e32 v0, 0, v0, vcc
	v_cndmask_b32_e32 v1, v22, v1, vcc
	v_cmp_eq_f64_e32 vcc, 1.0, v[2:3]
	v_cndmask_b32_e32 v29, v18, v19, vcc
	v_cndmask_b32_e64 v28, v20, 0, vcc
	v_cmp_eq_f64_e64 s[0:1], 0, v[28:29]
	v_cndmask_b32_e64 v30, v2, 0, s[0:1]
	v_and_b32_e32 v2, 0x7fffffff, v3
	v_cndmask_b32_e64 v31, v3, v19, s[0:1]
	v_cndmask_b32_e64 v3, v2, v19, s[0:1]
	v_mov_b32_e32 v2, v30
	v_frexp_mant_f64_e32 v[32:33], v[2:3]
	v_cmp_gt_f64_e64 s[0:1], s[10:11], v[32:33]
	v_cndmask_b32_e64 v9, v19, 2.0, s[0:1]
	v_mul_f64 v[32:33], v[32:33], v[8:9]
	v_add_f64 v[34:35], v[32:33], 1.0
	v_rcp_f64_e32 v[36:37], v[34:35]
	v_add_f64 v[40:41], v[34:35], -1.0
	v_add_f64 v[38:39], v[32:33], -1.0
	v_add_f64 v[32:33], v[32:33], -v[40:41]
	v_fma_f64 v[40:41], -v[34:35], v[36:37], 1.0
	v_fmac_f64_e32 v[36:37], v[40:41], v[36:37]
	v_fma_f64 v[40:41], -v[34:35], v[36:37], 1.0
	v_fmac_f64_e32 v[36:37], v[40:41], v[36:37]
	v_mul_f64 v[40:41], v[38:39], v[36:37]
	v_mul_f64 v[42:43], v[34:35], v[40:41]
	v_fma_f64 v[34:35], v[40:41], v[34:35], -v[42:43]
	v_fmac_f64_e32 v[34:35], v[40:41], v[32:33]
	v_add_f64 v[32:33], v[42:43], v[34:35]
	v_add_f64 v[44:45], v[38:39], -v[32:33]
	v_add_f64 v[42:43], v[32:33], -v[42:43]
	;; [unrolled: 1-line block ×5, first 2 shown]
	v_add_f64 v[32:33], v[34:35], v[32:33]
	v_add_f64 v[32:33], v[44:45], v[32:33]
	v_mul_f64 v[32:33], v[36:37], v[32:33]
	v_add_f64 v[34:35], v[40:41], v[32:33]
	v_add_f64 v[36:37], v[34:35], -v[40:41]
	v_add_f64 v[32:33], v[32:33], -v[36:37]
	v_mul_f64 v[36:37], v[34:35], v[34:35]
	v_fma_f64 v[38:39], v[34:35], v[34:35], -v[36:37]
	v_add_f64 v[40:41], v[32:33], v[32:33]
	v_fmac_f64_e32 v[38:39], v[34:35], v[40:41]
	v_add_f64 v[40:41], v[36:37], v[38:39]
	v_add_f64 v[36:37], v[40:41], -v[36:37]
	v_frexp_exp_i32_f64_e32 v27, v[2:3]
	v_add_f64 v[36:37], v[38:39], -v[36:37]
	v_fma_f64 v[38:39], s[14:15], v[40:41], v[14:15]
	v_subbrev_co_u32_e64 v9, s[0:1], 0, v27, s[0:1]
	v_fma_f64 v[38:39], v[40:41], v[38:39], s[16:17]
	v_fma_f64 v[38:39], v[40:41], v[38:39], s[18:19]
	v_cvt_f64_i32_e32 v[42:43], v9
	v_fma_f64 v[38:39], v[40:41], v[38:39], s[24:25]
	v_mul_f64 v[44:45], v[42:43], s[36:37]
	v_mul_f64 v[50:51], v[34:35], v[40:41]
	v_fma_f64 v[38:39], v[40:41], v[38:39], s[26:27]
	v_fma_f64 v[46:47], v[42:43], s[36:37], -v[44:45]
	v_fma_f64 v[52:53], v[40:41], v[34:35], -v[50:51]
	v_fma_f64 v[38:39], v[40:41], v[38:39], s[28:29]
	v_fmac_f64_e32 v[46:47], s[40:41], v[42:43]
	v_fmac_f64_e32 v[52:53], v[40:41], v[32:33]
	v_fma_f64 v[38:39], v[40:41], v[38:39], s[30:31]
	v_add_f64 v[42:43], v[44:45], v[46:47]
	v_fmac_f64_e32 v[52:53], v[36:37], v[34:35]
	v_fma_f64 v[38:39], v[40:41], v[38:39], s[34:35]
	v_add_f64 v[44:45], v[42:43], -v[44:45]
	v_ldexp_f64 v[48:49], v[32:33], 1
	v_add_f64 v[32:33], v[50:51], v[52:53]
	v_add_f64 v[44:45], v[46:47], -v[44:45]
	v_ldexp_f64 v[46:47], v[34:35], 1
	v_add_f64 v[34:35], v[32:33], -v[50:51]
	v_mul_f64 v[50:51], v[40:41], v[38:39]
	v_fma_f64 v[40:41], v[40:41], v[38:39], -v[50:51]
	v_fmac_f64_e32 v[40:41], v[36:37], v[38:39]
	v_add_f64 v[36:37], v[50:51], v[40:41]
	v_add_f64 v[38:39], v[36:37], -v[50:51]
	v_add_f64 v[38:39], v[40:41], -v[38:39]
	v_add_f64 v[40:41], v[36:37], s[10:11]
	v_add_f64 v[50:51], v[40:41], s[12:13]
	v_add_f64 v[36:37], v[36:37], -v[50:51]
	v_add_f64 v[38:39], v[38:39], s[42:43]
	v_add_f64 v[36:37], v[38:39], v[36:37]
	;; [unrolled: 1-line block ×3, first 2 shown]
	v_add_f64 v[40:41], v[40:41], -v[38:39]
	v_add_f64 v[36:37], v[36:37], v[40:41]
	v_mul_f64 v[40:41], v[32:33], v[38:39]
	v_fma_f64 v[50:51], v[32:33], v[38:39], -v[40:41]
	v_add_f64 v[34:35], v[52:53], -v[34:35]
	v_fmac_f64_e32 v[50:51], v[32:33], v[36:37]
	v_fmac_f64_e32 v[50:51], v[34:35], v[38:39]
	v_add_f64 v[32:33], v[40:41], v[50:51]
	v_add_f64 v[34:35], v[32:33], -v[40:41]
	v_add_f64 v[36:37], v[46:47], v[32:33]
	v_add_f64 v[34:35], v[50:51], -v[34:35]
	v_add_f64 v[38:39], v[36:37], -v[46:47]
	;; [unrolled: 1-line block ×3, first 2 shown]
	v_add_f64 v[34:35], v[48:49], v[34:35]
	v_add_f64 v[32:33], v[34:35], v[32:33]
	;; [unrolled: 1-line block ×3, first 2 shown]
	v_add_f64 v[36:37], v[34:35], -v[36:37]
	v_add_f64 v[32:33], v[32:33], -v[36:37]
	v_add_f64 v[36:37], v[42:43], v[34:35]
	v_add_f64 v[38:39], v[36:37], -v[42:43]
	v_add_f64 v[40:41], v[36:37], -v[38:39]
	;; [unrolled: 1-line block ×4, first 2 shown]
	v_add_f64 v[34:35], v[34:35], v[40:41]
	v_add_f64 v[38:39], v[44:45], v[32:33]
	v_add_f64 v[40:41], v[38:39], -v[44:45]
	v_add_f64 v[34:35], v[38:39], v[34:35]
	v_add_f64 v[42:43], v[38:39], -v[40:41]
	;; [unrolled: 2-line block ×3, first 2 shown]
	v_add_f64 v[32:33], v[32:33], -v[40:41]
	v_add_f64 v[36:37], v[38:39], -v[36:37]
	v_add_f64 v[32:33], v[32:33], v[42:43]
	v_add_f64 v[34:35], v[34:35], -v[36:37]
	v_add_f64 v[32:33], v[32:33], v[34:35]
	v_add_f64 v[34:35], v[38:39], v[32:33]
	v_add_f64 v[36:37], v[34:35], -v[38:39]
	v_add_f64 v[32:33], v[32:33], -v[36:37]
	v_mul_f64 v[36:37], v[28:29], v[34:35]
	v_fma_f64 v[34:35], v[28:29], v[34:35], -v[36:37]
	v_fmac_f64_e32 v[34:35], v[28:29], v[32:33]
	v_add_f64 v[32:33], v[36:37], v[34:35]
	v_cmp_class_f64_e64 s[0:1], v[36:37], s76
	v_add_f64 v[38:39], v[32:33], -v[36:37]
	v_cndmask_b32_e64 v33, v33, v37, s[0:1]
	v_cndmask_b32_e64 v32, v32, v36, s[0:1]
	v_mul_f64 v[36:37], v[32:33], s[46:47]
	v_rndne_f64_e32 v[36:37], v[36:37]
	v_add_f64 v[34:35], v[34:35], -v[38:39]
	v_fma_f64 v[38:39], s[38:39], v[36:37], v[32:33]
	v_fmac_f64_e32 v[38:39], s[48:49], v[36:37]
	v_fma_f64 v[40:41], s[50:51], v[38:39], v[16:17]
	v_fma_f64 v[40:41], v[38:39], v[40:41], s[52:53]
	;; [unrolled: 1-line block ×9, first 2 shown]
	v_fma_f64 v[40:41], v[38:39], v[40:41], 1.0
	v_cmp_neq_f64_e64 s[0:1], |v[32:33]|, s[44:45]
	v_fma_f64 v[38:39], v[38:39], v[40:41], 1.0
	v_cvt_i32_f64_e32 v9, v[36:37]
	v_cndmask_b32_e64 v35, 0, v35, s[0:1]
	v_cndmask_b32_e64 v34, 0, v34, s[0:1]
	v_ldexp_f64 v[36:37], v[38:39], v9
	v_cmp_lt_f64_e64 s[0:1], s[68:69], v[32:33]
	v_cndmask_b32_e64 v9, v36, 0, s[0:1]
	v_cndmask_b32_e64 v27, v37, v21, s[0:1]
	v_cmp_ngt_f64_e64 s[2:3], s[70:71], v[32:33]
	v_and_b32_e32 v37, 0x7fffffff, v37
	v_cndmask_b32_e64 v33, 0, v27, s[2:3]
	v_cndmask_b32_e64 v32, 0, v9, s[2:3]
	v_cmp_eq_f64_e64 s[4:5], s[44:45], v[36:37]
	v_pk_mov_b32 v[38:39], v[32:33], v[32:33] op_sel:[0,1]
	s_or_b64 s[0:1], s[0:1], s[4:5]
	v_fmac_f64_e32 v[38:39], v[38:39], v[34:35]
	s_and_b64 s[0:1], s[2:3], s[0:1]
	v_mul_f64 v[34:35], v[28:29], 0.5
	v_cndmask_b32_e64 v9, v38, v32, s[0:1]
	v_cndmask_b32_e64 v27, v39, v33, s[0:1]
	v_trunc_f64_e32 v[32:33], v[28:29]
	v_trunc_f64_e32 v[36:37], v[34:35]
	v_cmp_neq_f64_e64 s[0:1], v[36:37], v[34:35]
	v_cmp_eq_f64_e64 s[2:3], v[32:33], v[28:29]
	s_and_b64 s[0:1], s[2:3], s[0:1]
	v_cndmask_b32_e64 v33, v19, v31, s[0:1]
	v_bfi_b32 v27, s75, v27, v33
	v_cndmask_b32_e64 v32, 0, v9, s[2:3]
	v_cndmask_b32_e64 v33, v22, v27, s[2:3]
	v_cmp_gt_f64_e64 s[2:3], 0, v[30:31]
	v_cndmask_b32_e64 v33, v27, v33, s[2:3]
	v_cndmask_b32_e32 v27, v25, v19, vcc
	v_cndmask_b32_e64 v26, v26, 0, vcc
	v_cndmask_b32_e64 v9, v9, v32, s[2:3]
	v_cmp_neq_f64_e32 vcc, v[28:29], v[26:27]
	v_cmp_gt_f64_e64 s[2:3], 1.0, v[2:3]
	s_xor_b64 s[2:3], vcc, s[2:3]
	v_cndmask_b32_e64 v25, v26, 0, s[2:3]
	v_cndmask_b32_e64 v32, v27, 0, s[2:3]
	v_cmp_eq_f64_e32 vcc, 1.0, v[2:3]
	v_cmp_eq_f64_e64 s[2:3], 0, v[30:31]
	v_cmp_gt_f64_e64 s[4:5], 0, v[28:29]
	v_cndmask_b32_e32 v32, v32, v3, vcc
	v_cndmask_b32_e32 v25, v25, v30, vcc
	v_cmp_eq_f64_e32 vcc, s[44:45], v[26:27]
	s_xor_b64 s[4:5], s[4:5], s[2:3]
	v_cndmask_b32_e32 v9, v9, v25, vcc
	v_cndmask_b32_e32 v25, v33, v32, vcc
	v_cmp_eq_f64_e32 vcc, s[44:45], v[2:3]
	v_cndmask_b32_e64 v2, v21, 0, s[4:5]
	v_cndmask_b32_e64 v3, 0, v31, s[0:1]
	v_bfi_b32 v2, s75, v2, v3
	s_or_b64 vcc, vcc, s[2:3]
	v_cndmask_b32_e32 v3, v25, v2, vcc
	v_cndmask_b32_e64 v2, v9, 0, vcc
	v_cmp_o_f64_e32 vcc, v[30:31], v[28:29]
	v_cndmask_b32_e32 v2, 0, v2, vcc
	v_cndmask_b32_e32 v3, v22, v3, vcc
	v_cmp_le_i64_e32 vcc, s[22:23], v[10:11]
	v_cmp_lt_u64_e64 s[0:1], s[72:73], v[10:11]
	s_or_b64 s[0:1], vcc, s[0:1]
	v_add_co_u32_e32 v10, vcc, s33, v10
	v_addc_co_u32_e32 v11, vcc, v11, v23, vcc
	global_store_dwordx4 v[12:13], v[4:7], off offset:-16
	global_store_dwordx4 v[12:13], v[0:3], off
	s_and_b64 s[0:1], exec, s[0:1]
	v_add_co_u32_e32 v12, vcc, s74, v12
	s_or_b64 s[8:9], s[0:1], s[8:9]
	v_addc_co_u32_e32 v13, vcc, v13, v24, vcc
	s_andn2_b64 exec, exec, s[8:9]
	s_cbranch_execnz .LBB53_24
.LBB53_25:
	s_endpgm
	.section	.rodata,"a",@progbits
	.p2align	6, 0x0
	.amdhsa_kernel _ZN2at6native12_GLOBAL__N_125multi_tensor_apply_kernelINS1_18TensorListMetadataILi1EEENS1_21BinaryOpScalarFunctorIdLi1ELi1ELi0EEEJNS1_13power_functorIdEEdEEEvT_T0_DpT1_
		.amdhsa_group_segment_fixed_size 0
		.amdhsa_private_segment_fixed_size 0
		.amdhsa_kernarg_size 3640
		.amdhsa_user_sgpr_count 6
		.amdhsa_user_sgpr_private_segment_buffer 1
		.amdhsa_user_sgpr_dispatch_ptr 0
		.amdhsa_user_sgpr_queue_ptr 0
		.amdhsa_user_sgpr_kernarg_segment_ptr 1
		.amdhsa_user_sgpr_dispatch_id 0
		.amdhsa_user_sgpr_flat_scratch_init 0
		.amdhsa_user_sgpr_kernarg_preload_length 0
		.amdhsa_user_sgpr_kernarg_preload_offset 0
		.amdhsa_user_sgpr_private_segment_size 0
		.amdhsa_uses_dynamic_stack 0
		.amdhsa_system_sgpr_private_segment_wavefront_offset 0
		.amdhsa_system_sgpr_workgroup_id_x 1
		.amdhsa_system_sgpr_workgroup_id_y 0
		.amdhsa_system_sgpr_workgroup_id_z 0
		.amdhsa_system_sgpr_workgroup_info 0
		.amdhsa_system_vgpr_workitem_id 0
		.amdhsa_next_free_vgpr 82
		.amdhsa_next_free_sgpr 77
		.amdhsa_accum_offset 84
		.amdhsa_reserve_vcc 1
		.amdhsa_reserve_flat_scratch 0
		.amdhsa_float_round_mode_32 0
		.amdhsa_float_round_mode_16_64 0
		.amdhsa_float_denorm_mode_32 3
		.amdhsa_float_denorm_mode_16_64 3
		.amdhsa_dx10_clamp 1
		.amdhsa_ieee_mode 1
		.amdhsa_fp16_overflow 0
		.amdhsa_tg_split 0
		.amdhsa_exception_fp_ieee_invalid_op 0
		.amdhsa_exception_fp_denorm_src 0
		.amdhsa_exception_fp_ieee_div_zero 0
		.amdhsa_exception_fp_ieee_overflow 0
		.amdhsa_exception_fp_ieee_underflow 0
		.amdhsa_exception_fp_ieee_inexact 0
		.amdhsa_exception_int_div_zero 0
	.end_amdhsa_kernel
	.section	.text._ZN2at6native12_GLOBAL__N_125multi_tensor_apply_kernelINS1_18TensorListMetadataILi1EEENS1_21BinaryOpScalarFunctorIdLi1ELi1ELi0EEEJNS1_13power_functorIdEEdEEEvT_T0_DpT1_,"axG",@progbits,_ZN2at6native12_GLOBAL__N_125multi_tensor_apply_kernelINS1_18TensorListMetadataILi1EEENS1_21BinaryOpScalarFunctorIdLi1ELi1ELi0EEEJNS1_13power_functorIdEEdEEEvT_T0_DpT1_,comdat
.Lfunc_end53:
	.size	_ZN2at6native12_GLOBAL__N_125multi_tensor_apply_kernelINS1_18TensorListMetadataILi1EEENS1_21BinaryOpScalarFunctorIdLi1ELi1ELi0EEEJNS1_13power_functorIdEEdEEEvT_T0_DpT1_, .Lfunc_end53-_ZN2at6native12_GLOBAL__N_125multi_tensor_apply_kernelINS1_18TensorListMetadataILi1EEENS1_21BinaryOpScalarFunctorIdLi1ELi1ELi0EEEJNS1_13power_functorIdEEdEEEvT_T0_DpT1_
                                        ; -- End function
	.section	.AMDGPU.csdata,"",@progbits
; Kernel info:
; codeLenInByte = 14196
; NumSgprs: 81
; NumVgprs: 82
; NumAgprs: 0
; TotalNumVgprs: 82
; ScratchSize: 0
; MemoryBound: 0
; FloatMode: 240
; IeeeMode: 1
; LDSByteSize: 0 bytes/workgroup (compile time only)
; SGPRBlocks: 10
; VGPRBlocks: 10
; NumSGPRsForWavesPerEU: 81
; NumVGPRsForWavesPerEU: 82
; AccumOffset: 84
; Occupancy: 5
; WaveLimiterHint : 0
; COMPUTE_PGM_RSRC2:SCRATCH_EN: 0
; COMPUTE_PGM_RSRC2:USER_SGPR: 6
; COMPUTE_PGM_RSRC2:TRAP_HANDLER: 0
; COMPUTE_PGM_RSRC2:TGID_X_EN: 1
; COMPUTE_PGM_RSRC2:TGID_Y_EN: 0
; COMPUTE_PGM_RSRC2:TGID_Z_EN: 0
; COMPUTE_PGM_RSRC2:TIDIG_COMP_CNT: 0
; COMPUTE_PGM_RSRC3_GFX90A:ACCUM_OFFSET: 20
; COMPUTE_PGM_RSRC3_GFX90A:TG_SPLIT: 0
	.section	.text._ZN2at6native12_GLOBAL__N_125multi_tensor_apply_kernelINS1_18TensorListMetadataILi1EEENS1_21BinaryOpScalarFunctorIfLi1ELi1ELi0EEEJNS1_13power_functorIfEEfEEEvT_T0_DpT1_,"axG",@progbits,_ZN2at6native12_GLOBAL__N_125multi_tensor_apply_kernelINS1_18TensorListMetadataILi1EEENS1_21BinaryOpScalarFunctorIfLi1ELi1ELi0EEEJNS1_13power_functorIfEEfEEEvT_T0_DpT1_,comdat
	.globl	_ZN2at6native12_GLOBAL__N_125multi_tensor_apply_kernelINS1_18TensorListMetadataILi1EEENS1_21BinaryOpScalarFunctorIfLi1ELi1ELi0EEEJNS1_13power_functorIfEEfEEEvT_T0_DpT1_ ; -- Begin function _ZN2at6native12_GLOBAL__N_125multi_tensor_apply_kernelINS1_18TensorListMetadataILi1EEENS1_21BinaryOpScalarFunctorIfLi1ELi1ELi0EEEJNS1_13power_functorIfEEfEEEvT_T0_DpT1_
	.p2align	8
	.type	_ZN2at6native12_GLOBAL__N_125multi_tensor_apply_kernelINS1_18TensorListMetadataILi1EEENS1_21BinaryOpScalarFunctorIfLi1ELi1ELi0EEEJNS1_13power_functorIfEEfEEEvT_T0_DpT1_,@function
_ZN2at6native12_GLOBAL__N_125multi_tensor_apply_kernelINS1_18TensorListMetadataILi1EEENS1_21BinaryOpScalarFunctorIfLi1ELi1ELi0EEEJNS1_13power_functorIfEEfEEEvT_T0_DpT1_: ; @_ZN2at6native12_GLOBAL__N_125multi_tensor_apply_kernelINS1_18TensorListMetadataILi1EEENS1_21BinaryOpScalarFunctorIfLi1ELi1ELi0EEEJNS1_13power_functorIfEEfEEEvT_T0_DpT1_
; %bb.0:
	v_mov_b32_e32 v1, s6
	global_load_ubyte v1, v1, s[4:5] offset:1760
	s_add_u32 s0, s4, s6
	s_mul_hi_u32 s1, s6, 3
	s_mul_i32 s6, s6, 3
	s_addc_u32 s2, s5, 0
	s_add_u32 s0, s0, s6
	s_addc_u32 s1, s2, s1
	s_load_dword s0, s[0:1], 0x820
	s_mov_b32 s7, 0
	s_waitcnt vmcnt(0)
	v_readfirstlane_b32 s1, v1
	s_lshl_b32 s1, s1, 3
	s_load_dword s33, s[4:5], 0xd2c
	s_load_dwordx2 s[2:3], s[4:5], s1 offset:0x370
	s_load_dwordx2 s[22:23], s[4:5], s1 offset:0x0
	s_waitcnt lgkmcnt(0)
	s_ashr_i32 s1, s0, 31
	s_lshl_b64 s[24:25], s[0:1], 18
	s_lshl_b64 s[0:1], s[0:1], 16
	s_and_b32 s6, s22, 15
	s_sub_u32 s20, s2, s0
	s_subb_u32 s21, s3, s1
	s_and_b32 s0, s2, 3
	s_mov_b32 s1, s7
	s_or_b64 s[0:1], s[6:7], s[0:1]
	s_cmp_eq_u64 s[0:1], 0
	s_cbranch_scc1 .LBB54_21
; %bb.1:
	v_cmp_lt_i64_e64 s[0:1], s[20:21], 1
	s_and_b64 vcc, exec, s[0:1]
	s_cbranch_vccnz .LBB54_20
; %bb.2:
	s_load_dword s0, s[4:5], 0xd3c
	v_mov_b32_e32 v2, 0x10000
	v_mov_b32_e32 v3, 0
	v_cmp_lt_u64_e32 vcc, s[20:21], v[2:3]
	v_lshlrev_b32_e32 v1, 2, v0
	s_waitcnt lgkmcnt(0)
	s_and_b32 s2, s0, 0xffff
	s_and_b64 s[0:1], vcc, exec
	s_cselect_b32 s27, s21, 0
	s_cselect_b32 s26, s20, 0x10000
	s_lshl_b32 s3, s2, 1
	s_lshl_b32 s35, s2, 2
	s_add_u32 s6, s22, s24
	s_addc_u32 s7, s23, s25
	v_mov_b32_e32 v3, s7
	v_add_co_u32_e32 v2, vcc, s6, v1
	s_mul_i32 s0, s2, 3
	v_addc_co_u32_e32 v3, vcc, 0, v3, vcc
	v_add_co_u32_e32 v1, vcc, s0, v0
	v_addc_co_u32_e64 v6, s[0:1], 0, 0, vcc
	v_add_co_u32_e32 v7, vcc, s3, v0
	v_addc_co_u32_e64 v8, s[0:1], 0, 0, vcc
	v_add_co_u32_e32 v9, vcc, s2, v0
	v_lshlrev_b32_e32 v4, 2, v9
	s_mov_b32 s34, 0
	v_addc_co_u32_e64 v10, s[0:1], 0, 0, vcc
	v_mov_b32_e32 v5, s7
	v_add_co_u32_e32 v4, vcc, s6, v4
	s_lshl_b32 s36, s2, 4
	s_mul_i32 s37, s2, 12
	s_mov_b32 s38, s34
	s_lshl_b32 s39, s2, 3
	s_mov_b32 s40, s34
	v_addc_co_u32_e32 v5, vcc, 0, v5, vcc
	s_mov_b64 s[28:29], 0
	s_mov_b32 s41, 0x7f800000
	s_brev_b32 s42, -2
	s_mov_b32 s43, 0x3f2aaaab
	s_mov_b32 s44, 0x3f317218
	v_mov_b32_e32 v11, 0x3ecccdef
	s_movk_i32 s45, 0x204
	s_mov_b32 s46, 0x42b17218
	s_mov_b32 s47, 0x3fb8aa3b
	;; [unrolled: 1-line block ×3, first 2 shown]
	v_mov_b32_e32 v12, 0x7f800000
	v_mov_b32_e32 v13, 0x37000000
	;; [unrolled: 1-line block ×3, first 2 shown]
	s_branch .LBB54_4
.LBB54_3:                               ;   in Loop: Header=BB54_4 Depth=1
	s_or_b64 exec, exec, s[8:9]
	s_add_u32 s28, s28, s35
	s_addc_u32 s29, s29, 0
	s_waitcnt vmcnt(0)
	v_pk_mov_b32 v[16:17], s[20:21], s[20:21] op_sel:[0,1]
	v_cmp_lt_i64_e32 vcc, s[28:29], v[16:17]
	v_mov_b32_e32 v16, 0x10000
	v_mov_b32_e32 v17, 0
	v_cmp_lt_u64_e64 s[0:1], s[28:29], v[16:17]
	s_and_b64 s[0:1], vcc, s[0:1]
	v_mov_b32_e32 v15, s34
	v_add_co_u32_e32 v2, vcc, s36, v2
	v_addc_co_u32_e32 v3, vcc, v3, v15, vcc
	v_add_co_u32_e32 v4, vcc, s36, v4
	v_addc_co_u32_e32 v5, vcc, v5, v15, vcc
	s_and_b64 vcc, exec, s[0:1]
	s_cbranch_vccz .LBB54_20
.LBB54_4:                               ; =>This Inner Loop Header: Depth=1
	v_mov_b32_e32 v15, s29
	v_add_co_u32_e32 v16, vcc, s28, v0
	v_addc_co_u32_e32 v17, vcc, 0, v15, vcc
	v_cmp_gt_u64_e64 s[6:7], s[26:27], v[16:17]
	v_mov_b32_e32 v18, 0
	s_and_saveexec_b64 s[0:1], s[6:7]
	s_cbranch_execz .LBB54_6
; %bb.5:                                ;   in Loop: Header=BB54_4 Depth=1
	global_load_dword v18, v[2:3], off
.LBB54_6:                               ;   in Loop: Header=BB54_4 Depth=1
	s_or_b64 exec, exec, s[0:1]
	v_mov_b32_e32 v15, s29
	v_add_co_u32_e32 v16, vcc, s28, v9
	v_addc_co_u32_e32 v17, vcc, v10, v15, vcc
	v_cmp_gt_u64_e64 s[2:3], s[26:27], v[16:17]
	v_mov_b32_e32 v17, 0
	s_and_saveexec_b64 s[0:1], s[2:3]
	s_cbranch_execz .LBB54_8
; %bb.7:                                ;   in Loop: Header=BB54_4 Depth=1
	global_load_dword v17, v[4:5], off
.LBB54_8:                               ;   in Loop: Header=BB54_4 Depth=1
	s_or_b64 exec, exec, s[0:1]
	v_mov_b32_e32 v15, s29
	v_add_co_u32_e32 v20, vcc, s28, v7
	v_addc_co_u32_e32 v21, vcc, v8, v15, vcc
	v_cmp_gt_u64_e64 s[0:1], s[26:27], v[20:21]
	v_mov_b32_e32 v15, 0
	v_mov_b32_e32 v16, 0
	s_and_saveexec_b64 s[8:9], s[0:1]
	s_cbranch_execz .LBB54_10
; %bb.9:                                ;   in Loop: Header=BB54_4 Depth=1
	v_mov_b32_e32 v16, s40
	v_add_co_u32_e32 v20, vcc, s39, v2
	v_addc_co_u32_e32 v21, vcc, v3, v16, vcc
	global_load_dword v16, v[20:21], off
.LBB54_10:                              ;   in Loop: Header=BB54_4 Depth=1
	s_or_b64 exec, exec, s[8:9]
	v_mov_b32_e32 v19, s29
	v_add_co_u32_e32 v20, vcc, s28, v1
	v_addc_co_u32_e32 v21, vcc, v6, v19, vcc
	v_cmp_gt_u64_e32 vcc, s[26:27], v[20:21]
	s_and_saveexec_b64 s[10:11], vcc
	s_cbranch_execnz .LBB54_15
; %bb.11:                               ;   in Loop: Header=BB54_4 Depth=1
	s_or_b64 exec, exec, s[10:11]
	s_and_saveexec_b64 s[30:31], s[6:7]
	s_cbranch_execnz .LBB54_16
.LBB54_12:                              ;   in Loop: Header=BB54_4 Depth=1
	s_or_b64 exec, exec, s[30:31]
	s_and_saveexec_b64 s[12:13], s[2:3]
	s_cbranch_execnz .LBB54_17
.LBB54_13:                              ;   in Loop: Header=BB54_4 Depth=1
	s_or_b64 exec, exec, s[12:13]
	s_and_saveexec_b64 s[10:11], s[0:1]
	s_cbranch_execnz .LBB54_18
.LBB54_14:                              ;   in Loop: Header=BB54_4 Depth=1
	s_or_b64 exec, exec, s[10:11]
	s_and_saveexec_b64 s[8:9], vcc
	s_cbranch_execz .LBB54_3
	s_branch .LBB54_19
.LBB54_15:                              ;   in Loop: Header=BB54_4 Depth=1
	v_mov_b32_e32 v15, s38
	v_add_co_u32_e64 v20, s[8:9], s37, v2
	v_addc_co_u32_e64 v21, s[8:9], v3, v15, s[8:9]
	global_load_dword v15, v[20:21], off
	s_or_b64 exec, exec, s[10:11]
	s_and_saveexec_b64 s[30:31], s[6:7]
	s_cbranch_execz .LBB54_12
.LBB54_16:                              ;   in Loop: Header=BB54_4 Depth=1
	v_mov_b32_e32 v20, s33
	s_waitcnt vmcnt(0)
	v_cmp_eq_f32_e64 s[14:15], 1.0, v18
	v_cndmask_b32_e64 v34, v20, 1.0, s[14:15]
	v_cmp_eq_f32_e64 s[6:7], 0, v34
	v_cndmask_b32_e64 v35, v18, 1.0, s[6:7]
	v_cmp_eq_f32_e64 s[8:9], 0, v35
	v_cmp_gt_f32_e64 s[10:11], 0, v34
	s_xor_b64 s[10:11], s[10:11], s[8:9]
	v_trunc_f32_e32 v19, v34
	v_cndmask_b32_e64 v36, |v18|, 1.0, s[6:7]
	v_cndmask_b32_e64 v18, v12, 0, s[10:11]
	v_cmp_eq_f32_e64 s[10:11], v19, v34
	v_mul_f32_e32 v19, 0.5, v34
	v_trunc_f32_e32 v21, v19
	v_cmp_neq_f32_e64 s[12:13], v21, v19
	s_and_b64 s[12:13], s[10:11], s[12:13]
	v_cndmask_b32_e64 v19, 0, v35, s[12:13]
	v_bfi_b32 v37, s42, v18, v19
	v_cvt_f64_f32_e32 v[18:19], v36
	v_frexp_exp_i32_f64_e32 v18, v[18:19]
	v_frexp_mant_f32_e32 v19, v36
	v_cmp_gt_f32_e64 s[18:19], s43, v19
	v_subbrev_co_u32_e64 v18, s[16:17], 0, v18, s[18:19]
	v_cvt_f32_i32_e32 v21, v18
	v_cndmask_b32_e64 v38, |v20|, 1.0, s[14:15]
	v_cmp_neq_f32_e64 s[14:15], v34, v38
	v_cmp_gt_f32_e64 s[16:17], 1.0, v36
	v_mul_f32_e32 v18, 0x3f317218, v21
	v_fma_f32 v20, v21, s44, -v18
	v_fmac_f32_e32 v20, 0xb102e308, v21
	v_cndmask_b32_e64 v21, 1.0, 2.0, s[18:19]
	v_mul_f32_e32 v19, v19, v21
	v_add_f32_e32 v21, 1.0, v19
	v_rcp_f32_e32 v30, v21
	v_add_f32_e32 v22, -1.0, v21
	v_add_f32_e32 v23, -1.0, v19
	v_sub_f32_e32 v22, v19, v22
	v_mul_f32_e32 v19, v23, v30
	v_mul_f32_e32 v24, v21, v19
	v_fma_f32 v26, v19, v21, -v24
	v_fmac_f32_e32 v26, v19, v22
	v_add_f32_e32 v22, v24, v26
	v_sub_f32_e32 v25, v23, v22
	v_pk_add_f32 v[28:29], v[22:23], v[24:25] neg_lo:[0,1] neg_hi:[0,1]
	v_mov_b32_e32 v27, v22
	v_pk_add_f32 v[22:23], v[28:29], v[26:27] neg_lo:[0,1] neg_hi:[0,1]
	v_add_f32_e32 v21, v22, v23
	v_add_f32_e32 v21, v25, v21
	v_mul_f32_e32 v23, v30, v21
	v_add_f32_e32 v22, v19, v23
	v_sub_f32_e32 v19, v22, v19
	v_mul_f32_e32 v25, v22, v22
	v_sub_f32_e32 v32, v23, v19
	v_add_f32_e32 v19, v32, v32
	v_fma_f32 v23, v22, v22, -v25
	v_fmac_f32_e32 v23, v22, v19
	v_add_f32_e32 v24, v25, v23
	v_sub_f32_e32 v19, v24, v25
	v_sub_f32_e32 v19, v23, v19
	v_mov_b32_e32 v23, 0x3e91f4c4
	v_fmac_f32_e32 v23, 0x3e76c4e1, v24
	v_fma_f32 v23, v24, v23, v11
	v_mul_f32_e32 v25, v24, v23
	v_fma_f32 v26, v24, v23, -v25
	v_fmac_f32_e32 v26, v19, v23
	v_add_f32_e32 v28, v25, v26
	v_add_f32_e32 v27, 0x3f2aaaaa, v28
	v_sub_f32_e32 v23, v28, v25
	v_sub_f32_e32 v23, v26, v23
	v_add_f32_e32 v25, 0xbf2aaaaa, v27
	v_add_f32_e32 v23, 0x31739010, v23
	v_sub_f32_e32 v25, v28, v25
	v_pk_mul_f32 v[28:29], v[22:23], v[24:25]
	v_fma_f32 v26, v24, v22, -v28
	v_pk_add_f32 v[30:31], v[22:23], v[24:25]
	v_fmac_f32_e32 v26, v24, v32
	v_mov_b32_e32 v29, v31
	v_fmac_f32_e32 v26, v19, v22
	v_ldexp_f32 v21, v22, 1
	v_pk_add_f32 v[22:23], v[28:29], v[26:27]
	v_mov_b32_e32 v24, v23
	v_pk_mul_f32 v[24:25], v[22:23], v[24:25]
	v_sub_f32_e32 v19, v22, v28
	v_sub_f32_e32 v25, v27, v23
	;; [unrolled: 1-line block ×3, first 2 shown]
	v_add_f32_e32 v25, v31, v25
	v_fma_f32 v26, v22, v23, -v24
	v_fmac_f32_e32 v26, v22, v25
	v_fmac_f32_e32 v26, v19, v23
	v_add_f32_e32 v19, v24, v26
	v_pk_add_f32 v[22:23], v[18:19], v[20:21]
	v_mov_b32_e32 v28, v19
	v_mov_b32_e32 v29, v23
	;; [unrolled: 1-line block ×3, first 2 shown]
	v_pk_add_f32 v[24:25], v[28:29], v[24:25] neg_lo:[0,1] neg_hi:[0,1]
	v_mov_b32_e32 v27, v19
	v_ldexp_f32 v30, v32, 1
	v_pk_add_f32 v[24:25], v[26:27], v[24:25] neg_lo:[0,1] neg_hi:[0,1]
	v_add_f32_e32 v19, v30, v24
	v_add_f32_e32 v19, v19, v25
	v_pk_add_f32 v[24:25], v[22:23], v[18:19] neg_lo:[0,1] neg_hi:[0,1]
	v_pk_add_f32 v[26:27], v[22:23], v[18:19]
	v_mov_b32_e32 v28, v24
	v_mov_b32_e32 v29, v27
	;; [unrolled: 1-line block ×3, first 2 shown]
	v_pk_add_f32 v[28:29], v[20:21], v[28:29]
	v_mov_b32_e32 v18, v29
	v_pk_add_f32 v[30:31], v[18:19], v[22:23] neg_lo:[0,1] neg_hi:[0,1]
	v_mov_b32_e32 v31, v30
	v_mov_b32_e32 v28, v27
	;; [unrolled: 1-line block ×4, first 2 shown]
	v_pk_add_f32 v[24:25], v[20:21], v[24:25] neg_lo:[0,1] neg_hi:[0,1]
	v_pk_add_f32 v[32:33], v[26:27], v[30:31] neg_lo:[0,1] neg_hi:[0,1]
	v_pk_add_f32 v[22:23], v[28:29], v[22:23] neg_lo:[0,1] neg_hi:[0,1]
	v_mov_b32_e32 v20, v19
	v_pk_add_f32 v[20:21], v[20:21], v[22:23] neg_lo:[0,1] neg_hi:[0,1]
	v_mov_b32_e32 v32, v24
	v_pk_add_f32 v[22:23], v[32:33], v[20:21]
	v_mov_b32_e32 v26, v23
	v_pk_add_f32 v[26:27], v[22:23], v[26:27]
	v_pk_add_f32 v[18:19], v[18:19], v[26:27]
	v_mov_b32_e32 v25, v29
	v_mov_b32_e32 v23, v18
	v_pk_add_f32 v[28:29], v[22:23], v[24:25] neg_lo:[0,1] neg_hi:[0,1]
	v_mov_b32_e32 v21, v26
	v_sub_f32_e32 v19, v22, v28
	v_pk_add_f32 v[20:21], v[20:21], v[28:29] neg_lo:[0,1] neg_hi:[0,1]
	v_sub_f32_e32 v19, v24, v19
	v_add_f32_e32 v19, v20, v19
	v_add_f32_e32 v19, v19, v21
	;; [unrolled: 1-line block ×3, first 2 shown]
	v_mul_f32_e32 v21, v34, v20
	v_sub_f32_e32 v18, v20, v18
	v_sub_f32_e32 v18, v19, v18
	v_fma_f32 v19, v34, v20, -v21
	v_fmac_f32_e32 v19, v34, v18
	v_add_f32_e32 v18, v21, v19
	v_cmp_class_f32_e64 s[18:19], v21, s45
	v_cndmask_b32_e64 v20, v18, v21, s[18:19]
	v_cmp_eq_f32_e64 s[18:19], s46, v20
	v_cndmask_b32_e64 v22, 0, v13, s[18:19]
	v_sub_f32_e32 v23, v20, v22
	v_mul_f32_e32 v24, 0x3fb8aa3b, v23
	v_fma_f32 v25, v23, s47, -v24
	v_rndne_f32_e32 v26, v24
	v_fmac_f32_e32 v25, 0x32a5705f, v23
	v_sub_f32_e32 v24, v24, v26
	v_add_f32_e32 v24, v24, v25
	v_exp_f32_e32 v24, v24
	v_cvt_i32_f32_e32 v25, v26
	s_xor_b64 s[14:15], s[14:15], s[16:17]
	v_cndmask_b32_e64 v26, v38, 0, s[14:15]
	v_cmp_eq_f32_e64 s[14:15], 1.0, v36
	v_cndmask_b32_e64 v26, v26, v36, s[14:15]
	v_ldexp_f32 v24, v24, v25
	v_cmp_ngt_f32_e64 s[14:15], s48, v23
	v_cndmask_b32_e64 v24, 0, v24, s[14:15]
	v_cmp_nlt_f32_e64 s[14:15], s46, v23
	v_sub_f32_e32 v18, v18, v21
	v_cndmask_b32_e64 v23, v12, v24, s[14:15]
	v_sub_f32_e32 v18, v19, v18
	v_cmp_neq_f32_e64 s[14:15], |v20|, s41
	v_cndmask_b32_e64 v18, 0, v18, s[14:15]
	v_add_f32_e32 v18, v22, v18
	v_fma_f32 v18, v23, v18, v23
	v_cmp_class_f32_e64 s[14:15], v23, s45
	v_cndmask_b32_e64 v18, v18, v23, s[14:15]
	v_cndmask_b32_e64 v19, 1.0, v35, s[12:13]
	v_bfi_b32 v18, s42, v18, v19
	v_cndmask_b32_e64 v19, v14, v18, s[10:11]
	v_cmp_gt_f32_e64 s[10:11], 0, v35
	v_cmp_eq_f32_e64 s[6:7], s41, v36
	v_cndmask_b32_e64 v18, v18, v19, s[10:11]
	v_cmp_eq_f32_e64 s[10:11], s41, v38
	v_cndmask_b32_e64 v18, v18, v26, s[10:11]
	s_or_b64 s[6:7], s[6:7], s[8:9]
	v_cndmask_b32_e64 v18, v18, v37, s[6:7]
	v_cmp_o_f32_e64 s[6:7], v35, v34
	v_cndmask_b32_e64 v18, v14, v18, s[6:7]
	global_store_dword v[2:3], v18, off
	s_or_b64 exec, exec, s[30:31]
	s_and_saveexec_b64 s[12:13], s[2:3]
	s_cbranch_execz .LBB54_13
.LBB54_17:                              ;   in Loop: Header=BB54_4 Depth=1
	v_mov_b32_e32 v34, s33
	s_waitcnt vmcnt(0)
	v_cmp_eq_f32_e64 s[2:3], 1.0, v17
	v_cndmask_b32_e64 v35, v34, 1.0, s[2:3]
	v_cmp_eq_f32_e64 s[6:7], 0, v35
	v_cndmask_b32_e64 v36, |v17|, 1.0, s[6:7]
	v_frexp_mant_f32_e32 v18, v36
	v_cmp_gt_f32_e64 s[8:9], s43, v18
	v_cndmask_b32_e64 v19, 1.0, 2.0, s[8:9]
	v_mul_f32_e32 v18, v18, v19
	v_add_f32_e32 v21, 1.0, v18
	v_rcp_f32_e32 v26, v21
	v_add_f32_e32 v19, -1.0, v21
	v_sub_f32_e32 v23, v18, v19
	v_add_f32_e32 v19, -1.0, v18
	v_mul_f32_e32 v27, v19, v26
	v_mul_f32_e32 v20, v21, v27
	v_fma_f32 v22, v27, v21, -v20
	v_fmac_f32_e32 v22, v27, v23
	v_add_f32_e32 v18, v20, v22
	v_sub_f32_e32 v21, v19, v18
	v_pk_add_f32 v[24:25], v[18:19], v[20:21] neg_lo:[0,1] neg_hi:[0,1]
	v_mov_b32_e32 v23, v18
	v_pk_add_f32 v[18:19], v[24:25], v[22:23] neg_lo:[0,1] neg_hi:[0,1]
	v_add_f32_e32 v18, v18, v19
	v_add_f32_e32 v18, v21, v18
	v_mul_f32_e32 v19, v26, v18
	v_add_f32_e32 v18, v27, v19
	v_sub_f32_e32 v20, v18, v27
	v_sub_f32_e32 v28, v19, v20
	v_mul_f32_e32 v19, v18, v18
	v_fma_f32 v21, v18, v18, -v19
	v_add_f32_e32 v20, v28, v28
	v_fmac_f32_e32 v21, v18, v20
	v_add_f32_e32 v20, v19, v21
	v_mov_b32_e32 v22, 0x3e91f4c4
	v_fmac_f32_e32 v22, 0x3e76c4e1, v20
	v_fma_f32 v22, v20, v22, v11
	v_sub_f32_e32 v19, v20, v19
	v_sub_f32_e32 v29, v21, v19
	v_mul_f32_e32 v19, v20, v22
	v_fma_f32 v21, v20, v22, -v19
	v_fmac_f32_e32 v21, v29, v22
	v_add_f32_e32 v22, v19, v21
	v_add_f32_e32 v23, 0x3f2aaaaa, v22
	v_sub_f32_e32 v19, v22, v19
	v_sub_f32_e32 v19, v21, v19
	v_add_f32_e32 v21, 0xbf2aaaaa, v23
	v_add_f32_e32 v19, 0x31739010, v19
	v_sub_f32_e32 v21, v22, v21
	v_pk_mul_f32 v[24:25], v[18:19], v[20:21]
	v_fma_f32 v22, v20, v18, -v24
	v_pk_add_f32 v[26:27], v[18:19], v[20:21]
	v_fmac_f32_e32 v22, v20, v28
	v_mov_b32_e32 v25, v27
	v_fmac_f32_e32 v22, v29, v18
	v_pk_add_f32 v[20:21], v[24:25], v[22:23]
	v_sub_f32_e32 v19, v20, v24
	v_sub_f32_e32 v19, v22, v19
	;; [unrolled: 1-line block ×3, first 2 shown]
	v_add_f32_e32 v26, v27, v22
	v_mov_b32_e32 v22, v21
	v_pk_mul_f32 v[22:23], v[20:21], v[22:23]
	v_cvt_f64_f32_e32 v[24:25], v36
	v_frexp_exp_i32_f64_e32 v23, v[24:25]
	v_subbrev_co_u32_e64 v23, s[8:9], 0, v23, s[8:9]
	v_cvt_f32_i32_e32 v23, v23
	v_fma_f32 v24, v20, v21, -v22
	v_fmac_f32_e32 v24, v20, v26
	v_fmac_f32_e32 v24, v19, v21
	v_mul_f32_e32 v20, 0x3f317218, v23
	v_fma_f32 v26, v23, s44, -v20
	v_fmac_f32_e32 v26, 0xb102e308, v23
	v_ldexp_f32 v27, v18, 1
	v_add_f32_e32 v21, v22, v24
	v_pk_add_f32 v[18:19], v[20:21], v[26:27]
	v_ldexp_f32 v30, v28, 1
	v_mov_b32_e32 v28, v21
	v_mov_b32_e32 v29, v19
	;; [unrolled: 1-line block ×3, first 2 shown]
	v_pk_add_f32 v[22:23], v[28:29], v[22:23] neg_lo:[0,1] neg_hi:[0,1]
	v_mov_b32_e32 v25, v21
	v_pk_add_f32 v[22:23], v[24:25], v[22:23] neg_lo:[0,1] neg_hi:[0,1]
	v_add_f32_e32 v21, v30, v22
	v_add_f32_e32 v21, v21, v23
	v_pk_add_f32 v[22:23], v[18:19], v[20:21] neg_lo:[0,1] neg_hi:[0,1]
	v_pk_add_f32 v[24:25], v[18:19], v[20:21]
	v_mov_b32_e32 v28, v22
	v_mov_b32_e32 v29, v25
	;; [unrolled: 1-line block ×3, first 2 shown]
	v_pk_add_f32 v[28:29], v[26:27], v[28:29]
	v_mov_b32_e32 v20, v29
	v_pk_add_f32 v[30:31], v[20:21], v[18:19] neg_lo:[0,1] neg_hi:[0,1]
	v_mov_b32_e32 v31, v30
	v_mov_b32_e32 v28, v25
	;; [unrolled: 1-line block ×4, first 2 shown]
	v_pk_add_f32 v[22:23], v[26:27], v[22:23] neg_lo:[0,1] neg_hi:[0,1]
	v_pk_add_f32 v[32:33], v[24:25], v[30:31] neg_lo:[0,1] neg_hi:[0,1]
	;; [unrolled: 1-line block ×3, first 2 shown]
	v_mov_b32_e32 v26, v21
	v_pk_add_f32 v[18:19], v[26:27], v[18:19] neg_lo:[0,1] neg_hi:[0,1]
	v_mov_b32_e32 v32, v22
	v_pk_add_f32 v[24:25], v[32:33], v[18:19]
	v_mov_b32_e32 v26, v25
	v_pk_add_f32 v[26:27], v[24:25], v[26:27]
	v_pk_add_f32 v[20:21], v[20:21], v[26:27]
	v_mov_b32_e32 v23, v29
	v_mov_b32_e32 v25, v20
	v_pk_add_f32 v[28:29], v[24:25], v[22:23] neg_lo:[0,1] neg_hi:[0,1]
	v_mov_b32_e32 v19, v26
	v_sub_f32_e32 v21, v24, v28
	v_pk_add_f32 v[18:19], v[18:19], v[28:29] neg_lo:[0,1] neg_hi:[0,1]
	v_sub_f32_e32 v21, v22, v21
	v_add_f32_e32 v18, v18, v21
	v_add_f32_e32 v18, v18, v19
	;; [unrolled: 1-line block ×3, first 2 shown]
	v_sub_f32_e32 v20, v19, v20
	v_sub_f32_e32 v18, v18, v20
	v_mul_f32_e32 v20, v35, v19
	v_fma_f32 v19, v35, v19, -v20
	v_fmac_f32_e32 v19, v35, v18
	v_add_f32_e32 v18, v20, v19
	v_cmp_class_f32_e64 s[8:9], v20, s45
	v_sub_f32_e32 v21, v18, v20
	v_cndmask_b32_e64 v18, v18, v20, s[8:9]
	v_cmp_eq_f32_e64 s[8:9], s46, v18
	v_cndmask_b32_e64 v20, 0, v13, s[8:9]
	v_sub_f32_e32 v19, v19, v21
	v_sub_f32_e32 v21, v18, v20
	v_mul_f32_e32 v22, 0x3fb8aa3b, v21
	v_fma_f32 v23, v21, s47, -v22
	v_rndne_f32_e32 v24, v22
	v_fmac_f32_e32 v23, 0x32a5705f, v21
	v_sub_f32_e32 v22, v22, v24
	v_add_f32_e32 v22, v22, v23
	v_exp_f32_e32 v22, v22
	v_cvt_i32_f32_e32 v23, v24
	v_cmp_neq_f32_e64 s[8:9], |v18|, s41
	v_cndmask_b32_e64 v18, 0, v19, s[8:9]
	v_cmp_ngt_f32_e64 s[8:9], s48, v21
	v_ldexp_f32 v19, v22, v23
	v_cndmask_b32_e64 v19, 0, v19, s[8:9]
	v_cmp_nlt_f32_e64 s[8:9], s46, v21
	v_add_f32_e32 v18, v20, v18
	v_cndmask_b32_e64 v19, v12, v19, s[8:9]
	v_fma_f32 v18, v19, v18, v19
	v_cmp_class_f32_e64 s[8:9], v19, s45
	v_cndmask_b32_e64 v18, v18, v19, s[8:9]
	v_trunc_f32_e32 v19, v35
	v_cndmask_b32_e64 v17, v17, 1.0, s[6:7]
	v_cmp_eq_f32_e64 s[6:7], v19, v35
	v_mul_f32_e32 v19, 0.5, v35
	v_trunc_f32_e32 v20, v19
	v_cmp_neq_f32_e64 s[8:9], v20, v19
	s_and_b64 s[8:9], s[6:7], s[8:9]
	v_cndmask_b32_e64 v19, 1.0, v17, s[8:9]
	v_bfi_b32 v18, s42, v18, v19
	v_cndmask_b32_e64 v19, v14, v18, s[6:7]
	v_cmp_gt_f32_e64 s[6:7], 0, v17
	v_cndmask_b32_e64 v18, v18, v19, s[6:7]
	v_cndmask_b32_e64 v19, |v34|, 1.0, s[2:3]
	v_cmp_neq_f32_e64 s[2:3], v35, v19
	v_cmp_gt_f32_e64 s[6:7], 1.0, v36
	s_xor_b64 s[2:3], s[2:3], s[6:7]
	v_cndmask_b32_e64 v20, v19, 0, s[2:3]
	v_cmp_eq_f32_e64 s[2:3], 1.0, v36
	v_cmp_eq_f32_e64 s[6:7], 0, v17
	v_cmp_gt_f32_e64 s[10:11], 0, v35
	v_cndmask_b32_e64 v20, v20, v36, s[2:3]
	v_cmp_eq_f32_e64 s[2:3], s41, v19
	s_xor_b64 s[10:11], s[10:11], s[6:7]
	v_cndmask_b32_e64 v18, v18, v20, s[2:3]
	v_cmp_eq_f32_e64 s[2:3], s41, v36
	v_cndmask_b32_e64 v19, v12, 0, s[10:11]
	v_cndmask_b32_e64 v20, 0, v17, s[8:9]
	v_bfi_b32 v19, s42, v19, v20
	s_or_b64 s[2:3], s[2:3], s[6:7]
	v_cndmask_b32_e64 v18, v18, v19, s[2:3]
	v_cmp_o_f32_e64 s[2:3], v17, v35
	v_cndmask_b32_e64 v17, v14, v18, s[2:3]
	global_store_dword v[4:5], v17, off
	s_or_b64 exec, exec, s[12:13]
	s_and_saveexec_b64 s[10:11], s[0:1]
	s_cbranch_execz .LBB54_14
.LBB54_18:                              ;   in Loop: Header=BB54_4 Depth=1
	v_mov_b32_e32 v34, s33
	s_waitcnt vmcnt(0)
	v_cmp_eq_f32_e64 s[0:1], 1.0, v16
	v_cndmask_b32_e64 v35, v34, 1.0, s[0:1]
	v_cmp_eq_f32_e64 s[2:3], 0, v35
	v_cndmask_b32_e64 v36, |v16|, 1.0, s[2:3]
	v_frexp_mant_f32_e32 v17, v36
	v_cmp_gt_f32_e64 s[6:7], s43, v17
	v_cndmask_b32_e64 v18, 1.0, 2.0, s[6:7]
	v_mul_f32_e32 v17, v17, v18
	v_add_f32_e32 v18, 1.0, v17
	v_rcp_f32_e32 v26, v18
	v_add_f32_e32 v19, -1.0, v18
	v_sub_f32_e32 v21, v17, v19
	v_add_f32_e32 v19, -1.0, v17
	v_mul_f32_e32 v17, v19, v26
	v_mul_f32_e32 v20, v18, v17
	v_fma_f32 v22, v17, v18, -v20
	v_fmac_f32_e32 v22, v17, v21
	v_add_f32_e32 v18, v20, v22
	v_sub_f32_e32 v21, v19, v18
	v_pk_add_f32 v[24:25], v[18:19], v[20:21] neg_lo:[0,1] neg_hi:[0,1]
	v_mov_b32_e32 v23, v18
	v_pk_add_f32 v[18:19], v[24:25], v[22:23] neg_lo:[0,1] neg_hi:[0,1]
	v_add_f32_e32 v18, v18, v19
	v_add_f32_e32 v18, v21, v18
	v_mul_f32_e32 v19, v26, v18
	v_add_f32_e32 v18, v17, v19
	v_sub_f32_e32 v17, v18, v17
	v_sub_f32_e32 v17, v19, v17
	v_mul_f32_e32 v19, v18, v18
	v_fma_f32 v21, v18, v18, -v19
	v_add_f32_e32 v20, v17, v17
	v_fmac_f32_e32 v21, v18, v20
	v_add_f32_e32 v20, v19, v21
	v_mov_b32_e32 v22, 0x3e91f4c4
	v_fmac_f32_e32 v22, 0x3e76c4e1, v20
	v_fma_f32 v22, v20, v22, v11
	v_sub_f32_e32 v19, v20, v19
	v_sub_f32_e32 v28, v21, v19
	v_mul_f32_e32 v19, v20, v22
	v_fma_f32 v21, v20, v22, -v19
	v_fmac_f32_e32 v21, v28, v22
	v_add_f32_e32 v22, v19, v21
	v_add_f32_e32 v23, 0x3f2aaaaa, v22
	v_sub_f32_e32 v19, v22, v19
	v_sub_f32_e32 v19, v21, v19
	v_add_f32_e32 v21, 0xbf2aaaaa, v23
	v_add_f32_e32 v19, 0x31739010, v19
	v_sub_f32_e32 v21, v22, v21
	v_pk_mul_f32 v[24:25], v[18:19], v[20:21]
	v_fma_f32 v22, v20, v18, -v24
	v_pk_add_f32 v[26:27], v[18:19], v[20:21]
	v_fmac_f32_e32 v22, v20, v17
	v_mov_b32_e32 v25, v27
	v_fmac_f32_e32 v22, v28, v18
	v_pk_add_f32 v[20:21], v[24:25], v[22:23]
	v_sub_f32_e32 v19, v20, v24
	v_sub_f32_e32 v19, v22, v19
	v_sub_f32_e32 v22, v23, v21
	v_add_f32_e32 v26, v27, v22
	v_mov_b32_e32 v22, v21
	v_pk_mul_f32 v[22:23], v[20:21], v[22:23]
	v_cvt_f64_f32_e32 v[24:25], v36
	v_frexp_exp_i32_f64_e32 v23, v[24:25]
	v_subbrev_co_u32_e64 v23, s[6:7], 0, v23, s[6:7]
	v_cvt_f32_i32_e32 v23, v23
	v_fma_f32 v24, v20, v21, -v22
	v_fmac_f32_e32 v24, v20, v26
	v_fmac_f32_e32 v24, v19, v21
	v_mul_f32_e32 v20, 0x3f317218, v23
	v_fma_f32 v26, v23, s44, -v20
	v_fmac_f32_e32 v26, 0xb102e308, v23
	v_ldexp_f32 v27, v18, 1
	v_add_f32_e32 v21, v22, v24
	v_pk_add_f32 v[18:19], v[20:21], v[26:27]
	v_mov_b32_e32 v28, v21
	v_mov_b32_e32 v29, v19
	;; [unrolled: 1-line block ×3, first 2 shown]
	v_pk_add_f32 v[22:23], v[28:29], v[22:23] neg_lo:[0,1] neg_hi:[0,1]
	v_mov_b32_e32 v25, v21
	v_ldexp_f32 v17, v17, 1
	v_pk_add_f32 v[22:23], v[24:25], v[22:23] neg_lo:[0,1] neg_hi:[0,1]
	v_add_f32_e32 v17, v17, v22
	v_add_f32_e32 v21, v17, v23
	v_pk_add_f32 v[22:23], v[18:19], v[20:21] neg_lo:[0,1] neg_hi:[0,1]
	v_pk_add_f32 v[24:25], v[18:19], v[20:21]
	v_mov_b32_e32 v28, v22
	v_mov_b32_e32 v29, v25
	;; [unrolled: 1-line block ×3, first 2 shown]
	v_pk_add_f32 v[28:29], v[26:27], v[28:29]
	v_mov_b32_e32 v20, v29
	v_pk_add_f32 v[30:31], v[20:21], v[18:19] neg_lo:[0,1] neg_hi:[0,1]
	v_mov_b32_e32 v17, v30
	v_mov_b32_e32 v28, v25
	;; [unrolled: 1-line block ×4, first 2 shown]
	v_pk_add_f32 v[22:23], v[26:27], v[22:23] neg_lo:[0,1] neg_hi:[0,1]
	v_pk_add_f32 v[32:33], v[24:25], v[16:17] neg_lo:[0,1] neg_hi:[0,1]
	;; [unrolled: 1-line block ×3, first 2 shown]
	v_mov_b32_e32 v26, v21
	v_pk_add_f32 v[18:19], v[26:27], v[18:19] neg_lo:[0,1] neg_hi:[0,1]
	v_mov_b32_e32 v32, v22
	v_pk_add_f32 v[24:25], v[32:33], v[18:19]
	v_mov_b32_e32 v26, v25
	v_pk_add_f32 v[26:27], v[24:25], v[26:27]
	v_pk_add_f32 v[20:21], v[20:21], v[26:27]
	v_mov_b32_e32 v23, v29
	v_mov_b32_e32 v25, v20
	v_pk_add_f32 v[28:29], v[24:25], v[22:23] neg_lo:[0,1] neg_hi:[0,1]
	v_mov_b32_e32 v19, v26
	v_sub_f32_e32 v17, v24, v28
	v_pk_add_f32 v[18:19], v[18:19], v[28:29] neg_lo:[0,1] neg_hi:[0,1]
	v_sub_f32_e32 v17, v22, v17
	v_add_f32_e32 v17, v18, v17
	v_add_f32_e32 v17, v17, v19
	;; [unrolled: 1-line block ×3, first 2 shown]
	v_sub_f32_e32 v19, v18, v20
	v_sub_f32_e32 v17, v17, v19
	v_mul_f32_e32 v19, v35, v18
	v_fma_f32 v18, v35, v18, -v19
	v_fmac_f32_e32 v18, v35, v17
	v_add_f32_e32 v17, v19, v18
	v_cmp_class_f32_e64 s[6:7], v19, s45
	v_sub_f32_e32 v20, v17, v19
	v_cndmask_b32_e64 v17, v17, v19, s[6:7]
	v_cmp_eq_f32_e64 s[6:7], s46, v17
	v_cndmask_b32_e64 v19, 0, v13, s[6:7]
	v_sub_f32_e32 v18, v18, v20
	v_sub_f32_e32 v20, v17, v19
	v_mul_f32_e32 v21, 0x3fb8aa3b, v20
	v_fma_f32 v22, v20, s47, -v21
	v_rndne_f32_e32 v23, v21
	v_fmac_f32_e32 v22, 0x32a5705f, v20
	v_sub_f32_e32 v21, v21, v23
	v_add_f32_e32 v21, v21, v22
	v_exp_f32_e32 v21, v21
	v_cvt_i32_f32_e32 v22, v23
	v_cmp_neq_f32_e64 s[6:7], |v17|, s41
	v_cndmask_b32_e64 v17, 0, v18, s[6:7]
	v_cmp_ngt_f32_e64 s[6:7], s48, v20
	v_ldexp_f32 v18, v21, v22
	v_cndmask_b32_e64 v18, 0, v18, s[6:7]
	v_cmp_nlt_f32_e64 s[6:7], s46, v20
	v_add_f32_e32 v17, v19, v17
	v_cndmask_b32_e64 v18, v12, v18, s[6:7]
	v_fma_f32 v17, v18, v17, v18
	v_cmp_class_f32_e64 s[6:7], v18, s45
	v_cndmask_b32_e64 v17, v17, v18, s[6:7]
	v_trunc_f32_e32 v18, v35
	v_cndmask_b32_e64 v16, v16, 1.0, s[2:3]
	v_cmp_eq_f32_e64 s[2:3], v18, v35
	v_mul_f32_e32 v18, 0.5, v35
	v_trunc_f32_e32 v19, v18
	v_cmp_neq_f32_e64 s[6:7], v19, v18
	s_and_b64 s[6:7], s[2:3], s[6:7]
	v_cndmask_b32_e64 v18, 1.0, v16, s[6:7]
	v_bfi_b32 v17, s42, v17, v18
	v_cndmask_b32_e64 v18, v14, v17, s[2:3]
	v_cmp_gt_f32_e64 s[2:3], 0, v16
	v_cndmask_b32_e64 v17, v17, v18, s[2:3]
	v_cndmask_b32_e64 v18, |v34|, 1.0, s[0:1]
	v_cmp_neq_f32_e64 s[0:1], v35, v18
	v_cmp_gt_f32_e64 s[2:3], 1.0, v36
	s_xor_b64 s[0:1], s[0:1], s[2:3]
	v_cndmask_b32_e64 v19, v18, 0, s[0:1]
	v_cmp_eq_f32_e64 s[0:1], 1.0, v36
	v_cmp_eq_f32_e64 s[2:3], 0, v16
	v_cmp_gt_f32_e64 s[8:9], 0, v35
	v_cndmask_b32_e64 v19, v19, v36, s[0:1]
	v_cmp_eq_f32_e64 s[0:1], s41, v18
	s_xor_b64 s[8:9], s[8:9], s[2:3]
	v_cndmask_b32_e64 v17, v17, v19, s[0:1]
	v_cmp_eq_f32_e64 s[0:1], s41, v36
	v_cndmask_b32_e64 v18, v12, 0, s[8:9]
	v_cndmask_b32_e64 v19, 0, v16, s[6:7]
	v_bfi_b32 v18, s42, v18, v19
	s_or_b64 s[0:1], s[0:1], s[2:3]
	v_cndmask_b32_e64 v17, v17, v18, s[0:1]
	v_cmp_o_f32_e64 s[0:1], v16, v35
	v_cndmask_b32_e64 v18, v14, v17, s[0:1]
	v_mov_b32_e32 v17, s40
	v_add_co_u32_e64 v16, s[0:1], s39, v2
	v_addc_co_u32_e64 v17, s[0:1], v3, v17, s[0:1]
	global_store_dword v[16:17], v18, off
	s_or_b64 exec, exec, s[10:11]
	s_and_saveexec_b64 s[8:9], vcc
	s_cbranch_execz .LBB54_3
.LBB54_19:                              ;   in Loop: Header=BB54_4 Depth=1
	v_mov_b32_e32 v32, s33
	s_waitcnt vmcnt(0)
	v_cmp_eq_f32_e32 vcc, 1.0, v15
	v_cndmask_b32_e64 v33, v32, 1.0, vcc
	v_cmp_eq_f32_e64 s[0:1], 0, v33
	v_cndmask_b32_e64 v34, |v15|, 1.0, s[0:1]
	v_frexp_mant_f32_e32 v16, v34
	v_cmp_gt_f32_e64 s[2:3], s43, v16
	v_cndmask_b32_e64 v17, 1.0, 2.0, s[2:3]
	v_mul_f32_e32 v16, v16, v17
	v_add_f32_e32 v19, 1.0, v16
	v_rcp_f32_e32 v24, v19
	v_add_f32_e32 v17, -1.0, v19
	v_sub_f32_e32 v21, v16, v17
	v_add_f32_e32 v17, -1.0, v16
	v_mul_f32_e32 v25, v17, v24
	v_mul_f32_e32 v18, v19, v25
	v_fma_f32 v20, v25, v19, -v18
	v_fmac_f32_e32 v20, v25, v21
	v_add_f32_e32 v16, v18, v20
	v_sub_f32_e32 v19, v17, v16
	v_pk_add_f32 v[22:23], v[16:17], v[18:19] neg_lo:[0,1] neg_hi:[0,1]
	v_mov_b32_e32 v21, v16
	v_pk_add_f32 v[16:17], v[22:23], v[20:21] neg_lo:[0,1] neg_hi:[0,1]
	v_add_f32_e32 v16, v16, v17
	v_add_f32_e32 v16, v19, v16
	v_mul_f32_e32 v17, v24, v16
	v_add_f32_e32 v16, v25, v17
	v_sub_f32_e32 v18, v16, v25
	v_sub_f32_e32 v26, v17, v18
	v_mul_f32_e32 v17, v16, v16
	v_fma_f32 v19, v16, v16, -v17
	v_add_f32_e32 v18, v26, v26
	v_fmac_f32_e32 v19, v16, v18
	v_add_f32_e32 v18, v17, v19
	v_mov_b32_e32 v20, 0x3e91f4c4
	v_fmac_f32_e32 v20, 0x3e76c4e1, v18
	v_fma_f32 v20, v18, v20, v11
	v_sub_f32_e32 v17, v18, v17
	v_sub_f32_e32 v27, v19, v17
	v_mul_f32_e32 v17, v18, v20
	v_fma_f32 v19, v18, v20, -v17
	v_fmac_f32_e32 v19, v27, v20
	v_add_f32_e32 v20, v17, v19
	v_add_f32_e32 v21, 0x3f2aaaaa, v20
	v_sub_f32_e32 v17, v20, v17
	v_sub_f32_e32 v17, v19, v17
	v_add_f32_e32 v19, 0xbf2aaaaa, v21
	v_add_f32_e32 v17, 0x31739010, v17
	v_sub_f32_e32 v19, v20, v19
	v_pk_mul_f32 v[22:23], v[16:17], v[18:19]
	v_fma_f32 v20, v18, v16, -v22
	v_pk_add_f32 v[24:25], v[16:17], v[18:19]
	v_fmac_f32_e32 v20, v18, v26
	v_mov_b32_e32 v23, v25
	v_fmac_f32_e32 v20, v27, v16
	v_pk_add_f32 v[18:19], v[22:23], v[20:21]
	v_sub_f32_e32 v17, v18, v22
	v_sub_f32_e32 v17, v20, v17
	;; [unrolled: 1-line block ×3, first 2 shown]
	v_add_f32_e32 v24, v25, v20
	v_mov_b32_e32 v20, v19
	v_pk_mul_f32 v[20:21], v[18:19], v[20:21]
	v_cvt_f64_f32_e32 v[22:23], v34
	v_frexp_exp_i32_f64_e32 v21, v[22:23]
	v_subbrev_co_u32_e64 v21, s[2:3], 0, v21, s[2:3]
	v_cvt_f32_i32_e32 v21, v21
	v_fma_f32 v22, v18, v19, -v20
	v_fmac_f32_e32 v22, v18, v24
	v_fmac_f32_e32 v22, v17, v19
	v_mul_f32_e32 v18, 0x3f317218, v21
	v_fma_f32 v24, v21, s44, -v18
	v_fmac_f32_e32 v24, 0xb102e308, v21
	v_ldexp_f32 v25, v16, 1
	v_add_f32_e32 v19, v20, v22
	v_pk_add_f32 v[16:17], v[18:19], v[24:25]
	v_ldexp_f32 v28, v26, 1
	v_mov_b32_e32 v26, v19
	v_mov_b32_e32 v27, v17
	;; [unrolled: 1-line block ×3, first 2 shown]
	v_pk_add_f32 v[20:21], v[26:27], v[20:21] neg_lo:[0,1] neg_hi:[0,1]
	v_mov_b32_e32 v23, v19
	v_pk_add_f32 v[20:21], v[22:23], v[20:21] neg_lo:[0,1] neg_hi:[0,1]
	v_add_f32_e32 v19, v28, v20
	v_add_f32_e32 v19, v19, v21
	v_pk_add_f32 v[20:21], v[16:17], v[18:19] neg_lo:[0,1] neg_hi:[0,1]
	v_pk_add_f32 v[22:23], v[16:17], v[18:19]
	v_mov_b32_e32 v26, v20
	v_mov_b32_e32 v27, v23
	;; [unrolled: 1-line block ×3, first 2 shown]
	v_pk_add_f32 v[26:27], v[24:25], v[26:27]
	v_mov_b32_e32 v18, v27
	v_pk_add_f32 v[28:29], v[18:19], v[16:17] neg_lo:[0,1] neg_hi:[0,1]
	v_mov_b32_e32 v29, v28
	v_mov_b32_e32 v26, v23
	;; [unrolled: 1-line block ×4, first 2 shown]
	v_pk_add_f32 v[20:21], v[24:25], v[20:21] neg_lo:[0,1] neg_hi:[0,1]
	v_pk_add_f32 v[30:31], v[22:23], v[28:29] neg_lo:[0,1] neg_hi:[0,1]
	;; [unrolled: 1-line block ×3, first 2 shown]
	v_mov_b32_e32 v24, v19
	v_pk_add_f32 v[16:17], v[24:25], v[16:17] neg_lo:[0,1] neg_hi:[0,1]
	v_mov_b32_e32 v30, v20
	v_pk_add_f32 v[22:23], v[30:31], v[16:17]
	v_mov_b32_e32 v24, v23
	v_pk_add_f32 v[24:25], v[22:23], v[24:25]
	v_pk_add_f32 v[18:19], v[18:19], v[24:25]
	v_mov_b32_e32 v21, v27
	v_mov_b32_e32 v23, v18
	v_pk_add_f32 v[26:27], v[22:23], v[20:21] neg_lo:[0,1] neg_hi:[0,1]
	v_mov_b32_e32 v17, v24
	v_sub_f32_e32 v19, v22, v26
	v_pk_add_f32 v[16:17], v[16:17], v[26:27] neg_lo:[0,1] neg_hi:[0,1]
	v_sub_f32_e32 v19, v20, v19
	v_add_f32_e32 v16, v16, v19
	v_add_f32_e32 v16, v16, v17
	;; [unrolled: 1-line block ×3, first 2 shown]
	v_sub_f32_e32 v18, v17, v18
	v_sub_f32_e32 v16, v16, v18
	v_mul_f32_e32 v18, v33, v17
	v_fma_f32 v17, v33, v17, -v18
	v_fmac_f32_e32 v17, v33, v16
	v_add_f32_e32 v16, v18, v17
	v_cmp_class_f32_e64 s[2:3], v18, s45
	v_sub_f32_e32 v19, v16, v18
	v_cndmask_b32_e64 v16, v16, v18, s[2:3]
	v_cmp_eq_f32_e64 s[2:3], s46, v16
	v_cndmask_b32_e64 v18, 0, v13, s[2:3]
	v_sub_f32_e32 v17, v17, v19
	v_sub_f32_e32 v19, v16, v18
	v_mul_f32_e32 v20, 0x3fb8aa3b, v19
	v_fma_f32 v21, v19, s47, -v20
	v_rndne_f32_e32 v22, v20
	v_fmac_f32_e32 v21, 0x32a5705f, v19
	v_sub_f32_e32 v20, v20, v22
	v_add_f32_e32 v20, v20, v21
	v_exp_f32_e32 v20, v20
	v_cvt_i32_f32_e32 v21, v22
	v_cmp_neq_f32_e64 s[2:3], |v16|, s41
	v_cndmask_b32_e64 v16, 0, v17, s[2:3]
	v_cmp_ngt_f32_e64 s[2:3], s48, v19
	v_ldexp_f32 v17, v20, v21
	v_cndmask_b32_e64 v17, 0, v17, s[2:3]
	v_cmp_nlt_f32_e64 s[2:3], s46, v19
	v_add_f32_e32 v16, v18, v16
	v_cndmask_b32_e64 v17, v12, v17, s[2:3]
	v_fma_f32 v16, v17, v16, v17
	v_cmp_class_f32_e64 s[2:3], v17, s45
	v_cndmask_b32_e64 v16, v16, v17, s[2:3]
	v_trunc_f32_e32 v17, v33
	v_cndmask_b32_e64 v15, v15, 1.0, s[0:1]
	v_cmp_eq_f32_e64 s[0:1], v17, v33
	v_mul_f32_e32 v17, 0.5, v33
	v_trunc_f32_e32 v18, v17
	v_cmp_neq_f32_e64 s[2:3], v18, v17
	s_and_b64 s[2:3], s[0:1], s[2:3]
	v_cndmask_b32_e64 v17, 1.0, v15, s[2:3]
	v_bfi_b32 v16, s42, v16, v17
	v_cndmask_b32_e64 v17, v14, v16, s[0:1]
	v_cmp_gt_f32_e64 s[0:1], 0, v15
	v_cndmask_b32_e64 v16, v16, v17, s[0:1]
	v_cndmask_b32_e64 v17, |v32|, 1.0, vcc
	v_cmp_neq_f32_e32 vcc, v33, v17
	v_cmp_gt_f32_e64 s[0:1], 1.0, v34
	s_xor_b64 s[0:1], vcc, s[0:1]
	v_cndmask_b32_e64 v18, v17, 0, s[0:1]
	v_cmp_eq_f32_e32 vcc, 1.0, v34
	v_cmp_eq_f32_e64 s[0:1], 0, v15
	v_cmp_gt_f32_e64 s[6:7], 0, v33
	v_cndmask_b32_e32 v18, v18, v34, vcc
	v_cmp_eq_f32_e32 vcc, s41, v17
	s_xor_b64 s[6:7], s[6:7], s[0:1]
	v_cndmask_b32_e32 v16, v16, v18, vcc
	v_cmp_eq_f32_e32 vcc, s41, v34
	v_cndmask_b32_e64 v17, v12, 0, s[6:7]
	v_cndmask_b32_e64 v18, 0, v15, s[2:3]
	v_bfi_b32 v17, s42, v17, v18
	s_or_b64 vcc, vcc, s[0:1]
	v_cndmask_b32_e32 v16, v16, v17, vcc
	v_cmp_o_f32_e32 vcc, v15, v33
	v_cndmask_b32_e32 v15, v14, v16, vcc
	v_mov_b32_e32 v17, s38
	v_add_co_u32_e32 v16, vcc, s37, v2
	v_addc_co_u32_e32 v17, vcc, v3, v17, vcc
	global_store_dword v[16:17], v15, off
	s_branch .LBB54_3
.LBB54_20:
	s_cbranch_execz .LBB54_22
	s_branch .LBB54_25
.LBB54_21:
.LBB54_22:
	v_mov_b32_e32 v5, 0
	v_lshlrev_b32_e32 v4, 2, v0
	s_mov_b32 s0, 0
	v_cmp_gt_i64_e32 vcc, s[20:21], v[4:5]
	s_and_saveexec_b64 s[2:3], vcc
	s_cbranch_execz .LBB54_25
; %bb.23:
	s_load_dword s1, s[4:5], 0xd3c
	s_and_b32 s3, s33, 0x7fffffff
	v_lshlrev_b32_e32 v1, 4, v0
	s_mov_b32 s2, 0x3e91f4c4
	s_mov_b32 s17, 0x3f2aaaaa
	s_waitcnt lgkmcnt(0)
	s_and_b32 s1, s1, 0xffff
	s_add_u32 s5, s22, s24
	s_addc_u32 s6, s23, s25
	v_mov_b32_e32 v2, s6
	v_add_co_u32_e32 v1, vcc, s5, v1
	v_addc_co_u32_e32 v2, vcc, 0, v2, vcc
	v_add_co_u32_e32 v6, vcc, 8, v1
	s_mov_b32 s22, 0x31739010
	s_brev_b32 s19, -2
	v_addc_co_u32_e32 v7, vcc, 0, v2, vcc
	s_lshl_b32 s25, s1, 4
	v_add_lshl_u32 v4, v0, s1, 2
	s_lshl_b32 s27, s1, 2
	s_mov_b64 s[14:15], 0
	v_mov_b32_e32 v14, s33
	v_mov_b32_e32 v15, s33
	s_mov_b32 s29, 0x3f2aaaab
	s_mov_b32 s16, 0x3e76c4e1
	v_pk_mov_b32 v[8:9], s[2:3], s[2:3] op_sel:[0,1]
	s_mov_b32 s18, 0x3ecccdef
	s_mov_b32 s23, 0xbf2aaaaa
	;; [unrolled: 1-line block ×5, first 2 shown]
	v_mov_b32_e32 v16, 0x204
	s_movk_i32 s33, 0x204
	s_mov_b32 s34, 0x42b17218
	v_mov_b32_e32 v17, 0x37000000
	s_mov_b32 s35, 0x3fb8aa3b
	s_mov_b32 s36, 0xc2ce8ed0
	;; [unrolled: 1-line block ×3, first 2 shown]
	v_mov_b32_e32 v18, 0x7f800000
	v_mov_b32_e32 v19, 0x7fc00000
	;; [unrolled: 1-line block ×4, first 2 shown]
	s_mov_b64 s[30:31], 0xffff
	v_mov_b32_e32 v22, s0
	v_mov_b32_e32 v23, s0
	;; [unrolled: 1-line block ×3, first 2 shown]
.LBB54_24:                              ; =>This Inner Loop Header: Depth=1
	global_load_dwordx4 v[0:3], v[6:7], off offset:-8
	s_waitcnt vmcnt(0)
	v_cmp_eq_f32_e32 vcc, 1.0, v1
	v_cmp_eq_f32_e64 s[0:1], 1.0, v0
	v_cndmask_b32_e64 v13, v14, 1.0, vcc
	v_cndmask_b32_e64 v12, v15, 1.0, s[0:1]
	v_cmp_eq_f32_e64 s[2:3], 0, v13
	v_cmp_eq_f32_e64 s[4:5], 0, v12
	v_cndmask_b32_e64 v58, |v1|, 1.0, s[2:3]
	v_cndmask_b32_e64 v59, |v0|, 1.0, s[4:5]
	v_frexp_mant_f32_e32 v24, v59
	v_frexp_mant_f32_e32 v25, v58
	v_cvt_f64_f32_e32 v[26:27], v59
	v_cmp_gt_f32_e64 s[6:7], s29, v25
	v_cmp_gt_f32_e64 s[8:9], s29, v24
	v_frexp_exp_i32_f64_e32 v10, v[26:27]
	v_cndmask_b32_e64 v27, 1.0, 2.0, s[6:7]
	v_cndmask_b32_e64 v26, 1.0, 2.0, s[8:9]
	v_pk_mul_f32 v[24:25], v[24:25], v[26:27]
	v_pk_add_f32 v[26:27], v[24:25], 1.0 op_sel_hi:[1,0]
	v_rcp_f32_e32 v32, v26
	v_rcp_f32_e32 v33, v27
	v_cvt_f64_f32_e32 v[28:29], v58
	v_frexp_exp_i32_f64_e32 v28, v[28:29]
	v_subbrev_co_u32_e64 v30, s[6:7], 0, v28, s[6:7]
	v_pk_add_f32 v[28:29], -1.0, v[24:25] op_sel_hi:[0,1]
	v_pk_mul_f32 v[36:37], v[28:29], v[32:33]
	v_pk_add_f32 v[34:35], -1.0, v[26:27] op_sel_hi:[0,1]
	v_pk_mul_f32 v[42:43], v[26:27], v[36:37]
	v_pk_add_f32 v[24:25], v[24:25], v[34:35] neg_lo:[0,1] neg_hi:[0,1]
	v_pk_fma_f32 v[26:27], v[36:37], v[26:27], v[42:43] neg_lo:[0,0,1] neg_hi:[0,0,1]
	v_pk_fma_f32 v[24:25], v[36:37], v[24:25], v[26:27]
	v_pk_add_f32 v[50:51], v[42:43], v[24:25]
	v_pk_add_f32 v[52:53], v[28:29], v[50:51] neg_lo:[0,1] neg_hi:[0,1]
	v_pk_add_f32 v[42:43], v[50:51], v[42:43] neg_lo:[0,1] neg_hi:[0,1]
	;; [unrolled: 1-line block ×5, first 2 shown]
	v_pk_add_f32 v[24:25], v[24:25], v[28:29]
	v_pk_add_f32 v[24:25], v[52:53], v[24:25]
	v_pk_mul_f32 v[24:25], v[32:33], v[24:25]
	v_pk_add_f32 v[28:29], v[36:37], v[24:25]
	v_pk_add_f32 v[32:33], v[28:29], v[36:37] neg_lo:[0,1] neg_hi:[0,1]
	v_pk_mul_f32 v[36:37], v[28:29], v[28:29]
	v_pk_add_f32 v[24:25], v[24:25], v[32:33] neg_lo:[0,1] neg_hi:[0,1]
	v_pk_fma_f32 v[32:33], v[28:29], v[28:29], v[36:37] neg_lo:[0,0,1] neg_hi:[0,0,1]
	v_pk_add_f32 v[50:51], v[24:25], v[24:25]
	v_subbrev_co_u32_e64 v10, s[8:9], 0, v10, s[8:9]
	v_pk_fma_f32 v[32:33], v[28:29], v[50:51], v[32:33]
	v_cvt_f32_i32_e32 v31, v30
	v_cvt_f32_i32_e32 v30, v10
	v_pk_add_f32 v[50:51], v[36:37], v[32:33]
	v_pk_add_f32 v[36:37], v[50:51], v[36:37] neg_lo:[0,1] neg_hi:[0,1]
	v_pk_mul_f32 v[54:55], v[28:29], v[50:51]
	v_pk_fma_f32 v[56:57], v[50:51], s[16:17], v[8:9] op_sel_hi:[1,0,0]
	v_pk_add_f32 v[32:33], v[32:33], v[36:37] neg_lo:[0,1] neg_hi:[0,1]
	v_pk_fma_f32 v[36:37], v[50:51], v[28:29], v[54:55] neg_lo:[0,0,1] neg_hi:[0,0,1]
	v_pk_fma_f32 v[56:57], v[50:51], v[56:57], s[18:19] op_sel_hi:[1,1,0]
	v_ldexp_f32 v52, v24, 1
	v_ldexp_f32 v53, v25, 1
	v_pk_fma_f32 v[24:25], v[50:51], v[24:25], v[36:37]
	v_pk_mul_f32 v[36:37], v[50:51], v[56:57]
	v_pk_mul_f32 v[34:35], v[30:31], s[26:27] op_sel_hi:[1,0]
	v_ldexp_f32 v42, v28, 1
	v_ldexp_f32 v43, v29, 1
	v_pk_fma_f32 v[24:25], v[32:33], v[28:29], v[24:25]
	v_pk_fma_f32 v[28:29], v[50:51], v[56:57], v[36:37] neg_lo:[0,0,1] neg_hi:[0,0,1]
	v_pk_fma_f32 v[38:39], v[30:31], s[26:27], v[34:35] op_sel_hi:[1,0,1] neg_lo:[0,0,1] neg_hi:[0,0,1]
	v_pk_fma_f32 v[28:29], v[32:33], v[56:57], v[28:29]
	v_pk_fma_f32 v[30:31], v[30:31], s[28:29], v[38:39] op_sel_hi:[1,0,1]
	v_pk_add_f32 v[50:51], v[54:55], v[24:25]
	v_pk_add_f32 v[32:33], v[36:37], v[28:29]
	v_mov_b32_e32 v41, v35
	v_pk_add_f32 v[38:39], v[34:35], v[30:31]
	v_mov_b32_e32 v10, v28
	v_pk_add_f32 v[54:55], v[50:51], v[54:55] neg_lo:[0,1] neg_hi:[0,1]
	v_pk_add_f32 v[36:37], v[32:33], v[36:37] neg_lo:[0,1] neg_hi:[0,1]
	v_mov_b32_e32 v35, v32
	v_mov_b32_e32 v27, v39
	;; [unrolled: 1-line block ×3, first 2 shown]
	v_pk_add_f32 v[24:25], v[24:25], v[54:55] neg_lo:[0,1] neg_hi:[0,1]
	v_pk_add_f32 v[28:29], v[28:29], v[36:37] neg_lo:[0,1] neg_hi:[0,1]
	v_pk_add_f32 v[54:55], v[10:11], v[34:35]
	v_mov_b32_e32 v10, v37
	v_mov_b32_e32 v29, v55
	v_pk_add_f32 v[54:55], v[32:33], s[16:17]
	v_pk_add_f32 v[36:37], v[26:27], v[10:11] neg_lo:[0,1] neg_hi:[0,1]
	v_mov_b32_e32 v37, v55
	v_pk_add_f32 v[28:29], v[28:29], s[22:23]
	v_pk_add_f32 v[36:37], v[36:37], s[22:23]
	v_mov_b32_e32 v54, v29
	v_mov_b32_e32 v55, v37
	v_pk_add_f32 v[56:57], v[32:33], s[24:25] op_sel_hi:[1,0]
	v_mov_b32_e32 v29, v36
	v_pk_add_f32 v[32:33], v[32:33], v[54:55] neg_lo:[0,1] neg_hi:[0,1]
	v_pk_add_f32 v[28:29], v[28:29], v[32:33]
	v_pk_add_f32 v[32:33], v[56:57], v[28:29]
	v_pk_add_f32 v[36:37], v[56:57], v[32:33] neg_lo:[0,1] neg_hi:[0,1]
	v_pk_mul_f32 v[54:55], v[50:51], v[32:33]
	v_pk_add_f32 v[28:29], v[28:29], v[36:37]
	v_pk_fma_f32 v[36:37], v[50:51], v[32:33], v[54:55] neg_lo:[0,0,1] neg_hi:[0,0,1]
	v_pk_fma_f32 v[28:29], v[50:51], v[28:29], v[36:37]
	v_pk_fma_f32 v[24:25], v[24:25], v[32:33], v[28:29]
	v_pk_add_f32 v[28:29], v[54:55], v[24:25]
	v_pk_add_f32 v[32:33], v[28:29], v[54:55] neg_lo:[0,1] neg_hi:[0,1]
	v_pk_add_f32 v[36:37], v[42:43], v[28:29]
	v_pk_add_f32 v[24:25], v[24:25], v[32:33] neg_lo:[0,1] neg_hi:[0,1]
	v_pk_add_f32 v[32:33], v[36:37], v[42:43] neg_lo:[0,1] neg_hi:[0,1]
	;; [unrolled: 1-line block ×3, first 2 shown]
	v_pk_add_f32 v[24:25], v[52:53], v[24:25]
	v_pk_add_f32 v[24:25], v[24:25], v[28:29]
	;; [unrolled: 1-line block ×4, first 2 shown]
	v_mov_b32_e32 v40, v38
	v_mov_b32_e32 v26, v32
	;; [unrolled: 1-line block ×4, first 2 shown]
	v_pk_add_f32 v[26:27], v[26:27], v[40:41] neg_lo:[0,1] neg_hi:[0,1]
	v_mov_b32_e32 v47, v25
	v_mov_b32_e32 v43, v29
	v_mov_b32_e32 v25, v29
	v_mov_b32_e32 v29, v33
	v_pk_add_f32 v[40:41], v[44:45], v[26:27] neg_lo:[0,1] neg_hi:[0,1]
	v_mov_b32_e32 v27, v37
	v_mov_b32_e32 v37, v39
	v_pk_add_f32 v[28:29], v[28:29], v[36:37] neg_lo:[0,1] neg_hi:[0,1]
	v_mov_b32_e32 v48, v38
	v_mov_b32_e32 v42, v32
	;; [unrolled: 1-line block ×6, first 2 shown]
	v_pk_add_f32 v[26:27], v[42:43], v[26:27] neg_lo:[0,1] neg_hi:[0,1]
	v_pk_add_f32 v[24:25], v[24:25], v[28:29] neg_lo:[0,1] neg_hi:[0,1]
	;; [unrolled: 1-line block ×5, first 2 shown]
	v_pk_add_f32 v[34:35], v[40:41], v[26:27]
	v_pk_add_f32 v[30:31], v[24:25], v[28:29]
	v_mov_b32_e32 v36, v30
	v_mov_b32_e32 v37, v35
	;; [unrolled: 1-line block ×3, first 2 shown]
	v_pk_add_f32 v[38:39], v[36:37], v[28:29] neg_lo:[0,1] neg_hi:[0,1]
	v_pk_add_f32 v[36:37], v[36:37], v[38:39] neg_lo:[0,1] neg_hi:[0,1]
	v_mov_b32_e32 v25, v27
	v_pk_add_f32 v[28:29], v[28:29], v[36:37] neg_lo:[0,1] neg_hi:[0,1]
	v_pk_add_f32 v[24:25], v[24:25], v[38:39] neg_lo:[0,1] neg_hi:[0,1]
	v_pk_add_f32 v[26:27], v[34:35], v[30:31]
	v_pk_add_f32 v[24:25], v[24:25], v[28:29]
	;; [unrolled: 1-line block ×3, first 2 shown]
	v_pk_add_f32 v[30:31], v[28:29], v[32:33] neg_lo:[0,1] neg_hi:[0,1]
	v_pk_add_f32 v[26:27], v[26:27], v[30:31] neg_lo:[0,1] neg_hi:[0,1]
	v_pk_add_f32 v[24:25], v[24:25], v[26:27]
	v_pk_add_f32 v[26:27], v[28:29], v[24:25]
	v_pk_add_f32 v[28:29], v[26:27], v[28:29] neg_lo:[0,1] neg_hi:[0,1]
	v_pk_add_f32 v[24:25], v[24:25], v[28:29] neg_lo:[0,1] neg_hi:[0,1]
	v_pk_mul_f32 v[28:29], v[12:13], v[26:27]
	v_pk_fma_f32 v[26:27], v[12:13], v[26:27], v[28:29] neg_lo:[0,0,1] neg_hi:[0,0,1]
	v_pk_fma_f32 v[24:25], v[12:13], v[24:25], v[26:27]
	v_pk_add_f32 v[26:27], v[28:29], v[24:25]
	v_cmp_class_f32_e64 s[6:7], v29, v16
	v_cndmask_b32_e64 v31, v27, v29, s[6:7]
	v_cmp_class_f32_e64 s[6:7], v28, v16
	v_cndmask_b32_e64 v30, v26, v28, s[6:7]
	v_pk_add_f32 v[26:27], v[26:27], v[28:29] neg_lo:[0,1] neg_hi:[0,1]
	v_pk_add_f32 v[24:25], v[24:25], v[26:27] neg_lo:[0,1] neg_hi:[0,1]
	v_cmp_class_f32_e64 s[6:7], v31, s33
	v_cndmask_b32_e64 v25, v25, 0, s[6:7]
	v_cmp_eq_f32_e64 s[6:7], s34, v31
	v_cndmask_b32_e64 v27, 0, v17, s[6:7]
	v_cmp_eq_f32_e64 s[6:7], s34, v30
	v_cndmask_b32_e64 v26, 0, v17, s[6:7]
	v_pk_add_f32 v[28:29], v[30:31], v[26:27] neg_lo:[0,1] neg_hi:[0,1]
	v_mul_f32_e32 v10, 0x3fb8aa3b, v29
	v_cmp_class_f32_e64 s[6:7], v30, s33
	v_fma_f32 v31, v29, s35, -v10
	v_rndne_f32_e32 v32, v10
	v_cndmask_b32_e64 v24, v24, 0, s[6:7]
	v_fmac_f32_e32 v31, 0x32a5705f, v29
	v_sub_f32_e32 v10, v10, v32
	v_pk_add_f32 v[24:25], v[26:27], v[24:25]
	v_mul_f32_e32 v26, 0x3fb8aa3b, v28
	v_add_f32_e32 v10, v10, v31
	v_fma_f32 v27, v28, s35, -v26
	v_rndne_f32_e32 v30, v26
	v_exp_f32_e32 v10, v10
	v_cvt_i32_f32_e32 v31, v32
	v_fmac_f32_e32 v27, 0x32a5705f, v28
	v_sub_f32_e32 v26, v26, v30
	v_add_f32_e32 v26, v26, v27
	v_exp_f32_e32 v26, v26
	v_cvt_i32_f32_e32 v30, v30
	v_ldexp_f32 v10, v10, v31
	v_cmp_ngt_f32_e64 s[6:7], s36, v29
	v_cndmask_b32_e64 v10, 0, v10, s[6:7]
	v_cmp_nlt_f32_e64 s[6:7], s34, v29
	v_cndmask_b32_e64 v27, v18, v10, s[6:7]
	v_ldexp_f32 v10, v26, v30
	v_cmp_ngt_f32_e64 s[6:7], s36, v28
	v_cndmask_b32_e64 v10, 0, v10, s[6:7]
	v_cmp_nlt_f32_e64 s[6:7], s34, v28
	v_cndmask_b32_e64 v26, v18, v10, s[6:7]
	v_pk_fma_f32 v[24:25], v[26:27], v[24:25], v[26:27]
	v_cmp_class_f32_e64 s[6:7], v27, v16
	v_cndmask_b32_e64 v10, v25, v27, s[6:7]
	v_cmp_class_f32_e64 s[6:7], v26, v16
	v_cndmask_b32_e64 v24, v24, v26, s[6:7]
	v_cndmask_b32_e64 v25, v0, 1.0, s[4:5]
	v_cndmask_b32_e64 v26, v1, 1.0, s[2:3]
	v_trunc_f32_e32 v0, v12
	v_trunc_f32_e32 v1, v13
	v_cmp_eq_f32_e64 s[2:3], v1, v13
	v_cmp_eq_f32_e64 s[4:5], v0, v12
	v_pk_mul_f32 v[0:1], v[12:13], 0.5 op_sel_hi:[1,0]
	v_trunc_f32_e32 v27, v0
	v_trunc_f32_e32 v28, v1
	v_cmp_neq_f32_e64 s[6:7], v28, v1
	v_cmp_neq_f32_e64 s[8:9], v27, v0
	s_and_b64 s[6:7], s[2:3], s[6:7]
	s_and_b64 s[8:9], s[4:5], s[8:9]
	v_cndmask_b32_e64 v0, 1.0, v26, s[6:7]
	v_cndmask_b32_e64 v1, 1.0, v25, s[8:9]
	v_bfi_b32 v1, s19, v24, v1
	v_bfi_b32 v0, s19, v10, v0
	v_cndmask_b32_e64 v10, v19, v0, s[2:3]
	v_cndmask_b32_e64 v24, v19, v1, s[4:5]
	v_cmp_gt_f32_e64 s[2:3], 0, v25
	v_cndmask_b32_e64 v1, v1, v24, s[2:3]
	v_cmp_gt_f32_e64 s[2:3], 0, v26
	v_cndmask_b32_e64 v24, v21, 1.0, s[0:1]
	v_cndmask_b32_e64 v0, v0, v10, s[2:3]
	v_cndmask_b32_e64 v10, v20, 1.0, vcc
	v_cmp_neq_f32_e64 s[0:1], v24, v12
	v_cmp_gt_f32_e64 s[4:5], 1.0, v59
	v_cmp_neq_f32_e32 vcc, v13, v10
	v_cmp_gt_f32_e64 s[2:3], 1.0, v58
	s_xor_b64 s[0:1], s[0:1], s[4:5]
	s_xor_b64 s[2:3], vcc, s[2:3]
	v_cndmask_b32_e64 v28, v24, 0, s[0:1]
	v_cmp_eq_f32_e32 vcc, 1.0, v59
	v_cndmask_b32_e64 v27, v10, 0, s[2:3]
	v_cndmask_b32_e32 v28, v28, v59, vcc
	v_cmp_eq_f32_e32 vcc, 1.0, v58
	v_cndmask_b32_e32 v27, v27, v58, vcc
	v_cmp_eq_f32_e32 vcc, s37, v10
	v_cndmask_b32_e32 v0, v0, v27, vcc
	v_cmp_eq_f32_e32 vcc, s37, v24
	;; [unrolled: 2-line block ×3, first 2 shown]
	v_cmp_gt_f32_e64 s[10:11], 0, v12
	v_cmp_eq_f32_e64 s[4:5], 0, v26
	v_cmp_gt_f32_e64 s[12:13], 0, v13
	s_xor_b64 s[10:11], s[10:11], vcc
	v_cmp_eq_f32_e64 s[2:3], s37, v59
	v_cndmask_b32_e64 v10, v18, 0, s[10:11]
	s_xor_b64 s[10:11], s[12:13], s[4:5]
	v_cndmask_b32_e64 v27, 0, v25, s[8:9]
	v_cmp_eq_f32_e64 s[0:1], s37, v58
	v_cndmask_b32_e64 v24, v18, 0, s[10:11]
	v_cndmask_b32_e64 v28, 0, v26, s[6:7]
	v_bfi_b32 v10, s19, v10, v27
	s_or_b64 vcc, vcc, s[2:3]
	v_bfi_b32 v24, s19, v24, v28
	v_cndmask_b32_e32 v10, v1, v10, vcc
	s_or_b64 vcc, s[0:1], s[4:5]
	v_cndmask_b32_e32 v0, v0, v24, vcc
	v_cmp_o_f32_e32 vcc, v26, v13
	v_cndmask_b32_e32 v1, v19, v0, vcc
	v_cmp_o_f32_e32 vcc, v25, v12
	v_cndmask_b32_e32 v0, v19, v10, vcc
	v_cmp_eq_f32_e32 vcc, 1.0, v3
	v_cmp_eq_f32_e64 s[0:1], 1.0, v2
	v_cndmask_b32_e64 v13, v14, 1.0, vcc
	v_cndmask_b32_e64 v12, v15, 1.0, s[0:1]
	v_cmp_eq_f32_e64 s[2:3], 0, v13
	v_cmp_eq_f32_e64 s[4:5], 0, v12
	v_cndmask_b32_e64 v44, |v3|, 1.0, s[2:3]
	v_cndmask_b32_e64 v45, |v2|, 1.0, s[4:5]
	v_frexp_mant_f32_e32 v24, v45
	v_cvt_f64_f32_e32 v[26:27], v45
	v_frexp_mant_f32_e32 v25, v44
	v_frexp_exp_i32_f64_e32 v46, v[26:27]
	v_cvt_f64_f32_e32 v[26:27], v44
	v_cmp_gt_f32_e64 s[6:7], s29, v25
	v_cmp_gt_f32_e64 s[8:9], s29, v24
	v_frexp_exp_i32_f64_e32 v47, v[26:27]
	v_cndmask_b32_e64 v27, 1.0, 2.0, s[6:7]
	v_cndmask_b32_e64 v26, 1.0, 2.0, s[8:9]
	v_pk_mul_f32 v[24:25], v[24:25], v[26:27]
	v_pk_add_f32 v[26:27], v[24:25], 1.0 op_sel_hi:[1,0]
	v_rcp_f32_e32 v28, v26
	v_rcp_f32_e32 v29, v27
	v_pk_add_f32 v[30:31], -1.0, v[24:25] op_sel_hi:[0,1]
	v_pk_add_f32 v[32:33], -1.0, v[26:27] op_sel_hi:[0,1]
	v_pk_add_f32 v[24:25], v[24:25], v[32:33] neg_lo:[0,1] neg_hi:[0,1]
	v_pk_mul_f32 v[32:33], v[30:31], v[28:29]
	v_pk_mul_f32 v[34:35], v[26:27], v[32:33]
	v_pk_fma_f32 v[26:27], v[32:33], v[26:27], v[34:35] neg_lo:[0,0,1] neg_hi:[0,0,1]
	v_pk_fma_f32 v[24:25], v[32:33], v[24:25], v[26:27]
	v_pk_add_f32 v[26:27], v[34:35], v[24:25]
	v_pk_add_f32 v[36:37], v[30:31], v[26:27] neg_lo:[0,1] neg_hi:[0,1]
	v_pk_add_f32 v[34:35], v[26:27], v[34:35] neg_lo:[0,1] neg_hi:[0,1]
	;; [unrolled: 1-line block ×5, first 2 shown]
	v_pk_add_f32 v[24:25], v[24:25], v[26:27]
	v_pk_add_f32 v[24:25], v[36:37], v[24:25]
	v_pk_mul_f32 v[24:25], v[28:29], v[24:25]
	v_pk_add_f32 v[26:27], v[32:33], v[24:25]
	v_pk_add_f32 v[28:29], v[26:27], v[32:33] neg_lo:[0,1] neg_hi:[0,1]
	v_pk_add_f32 v[24:25], v[24:25], v[28:29] neg_lo:[0,1] neg_hi:[0,1]
	v_pk_mul_f32 v[28:29], v[26:27], v[26:27]
	v_pk_fma_f32 v[30:31], v[26:27], v[26:27], v[28:29] neg_lo:[0,0,1] neg_hi:[0,0,1]
	v_pk_add_f32 v[32:33], v[24:25], v[24:25]
	v_pk_fma_f32 v[30:31], v[26:27], v[32:33], v[30:31]
	v_pk_add_f32 v[32:33], v[28:29], v[30:31]
	v_pk_add_f32 v[28:29], v[32:33], v[28:29] neg_lo:[0,1] neg_hi:[0,1]
	v_pk_fma_f32 v[38:39], v[32:33], s[16:17], v[8:9] op_sel_hi:[1,0,0]
	v_pk_add_f32 v[28:29], v[30:31], v[28:29] neg_lo:[0,1] neg_hi:[0,1]
	v_pk_mul_f32 v[30:31], v[26:27], v[32:33]
	v_pk_fma_f32 v[38:39], v[32:33], v[38:39], s[18:19] op_sel_hi:[1,1,0]
	v_pk_fma_f32 v[34:35], v[32:33], v[26:27], v[30:31] neg_lo:[0,0,1] neg_hi:[0,0,1]
	v_pk_mul_f32 v[40:41], v[32:33], v[38:39]
	v_pk_fma_f32 v[34:35], v[32:33], v[24:25], v[34:35]
	v_pk_fma_f32 v[32:33], v[32:33], v[38:39], v[40:41] neg_lo:[0,0,1] neg_hi:[0,0,1]
	v_pk_fma_f32 v[34:35], v[28:29], v[26:27], v[34:35]
	v_pk_fma_f32 v[28:29], v[28:29], v[38:39], v[32:33]
	v_pk_add_f32 v[32:33], v[40:41], v[28:29]
	v_pk_add_f32 v[36:37], v[30:31], v[34:35]
	v_pk_add_f32 v[38:39], v[32:33], v[40:41] neg_lo:[0,1] neg_hi:[0,1]
	v_mov_b32_e32 v10, v28
	v_mov_b32_e32 v41, v32
	v_pk_add_f32 v[42:43], v[28:29], v[38:39] neg_lo:[0,1] neg_hi:[0,1]
	v_pk_add_f32 v[40:41], v[10:11], v[40:41]
	v_pk_add_f32 v[30:31], v[36:37], v[30:31] neg_lo:[0,1] neg_hi:[0,1]
	v_mov_b32_e32 v10, v29
	v_mov_b32_e32 v28, v39
	v_pk_add_f32 v[30:31], v[34:35], v[30:31] neg_lo:[0,1] neg_hi:[0,1]
	v_pk_add_f32 v[28:29], v[10:11], v[28:29] neg_lo:[0,1] neg_hi:[0,1]
	v_pk_add_f32 v[34:35], v[32:33], s[16:17]
	v_mov_b32_e32 v43, v41
	v_mov_b32_e32 v29, v35
	v_pk_add_f32 v[40:41], v[42:43], s[22:23]
	v_pk_add_f32 v[28:29], v[28:29], s[22:23]
	v_mov_b32_e32 v34, v41
	v_mov_b32_e32 v35, v29
	v_pk_add_f32 v[34:35], v[32:33], v[34:35] neg_lo:[0,1] neg_hi:[0,1]
	v_mov_b32_e32 v41, v28
	v_pk_add_f32 v[28:29], v[40:41], v[34:35]
	v_pk_add_f32 v[32:33], v[32:33], s[24:25] op_sel_hi:[1,0]
	v_pk_add_f32 v[34:35], v[32:33], v[28:29]
	v_pk_add_f32 v[32:33], v[32:33], v[34:35] neg_lo:[0,1] neg_hi:[0,1]
	v_pk_add_f32 v[28:29], v[28:29], v[32:33]
	v_pk_mul_f32 v[32:33], v[36:37], v[34:35]
	v_pk_fma_f32 v[38:39], v[36:37], v[34:35], v[32:33] neg_lo:[0,0,1] neg_hi:[0,0,1]
	v_subbrev_co_u32_e64 v10, s[8:9], 0, v46, s[8:9]
	v_subbrev_co_u32_e64 v40, s[6:7], 0, v47, s[6:7]
	v_pk_fma_f32 v[28:29], v[36:37], v[28:29], v[38:39]
	v_cvt_f32_i32_e32 v41, v40
	v_cvt_f32_i32_e32 v40, v10
	v_pk_fma_f32 v[28:29], v[30:31], v[34:35], v[28:29]
	v_pk_add_f32 v[30:31], v[32:33], v[28:29]
	v_ldexp_f32 v26, v26, 1
	v_ldexp_f32 v27, v27, 1
	v_pk_add_f32 v[32:33], v[30:31], v[32:33] neg_lo:[0,1] neg_hi:[0,1]
	v_pk_add_f32 v[28:29], v[28:29], v[32:33] neg_lo:[0,1] neg_hi:[0,1]
	v_pk_add_f32 v[32:33], v[26:27], v[30:31]
	v_ldexp_f32 v24, v24, 1
	v_ldexp_f32 v25, v25, 1
	v_pk_mul_f32 v[34:35], v[40:41], s[26:27] op_sel_hi:[1,0]
	v_pk_add_f32 v[26:27], v[32:33], v[26:27] neg_lo:[0,1] neg_hi:[0,1]
	v_pk_fma_f32 v[36:37], v[40:41], s[26:27], v[34:35] op_sel_hi:[1,0,1] neg_lo:[0,0,1] neg_hi:[0,0,1]
	v_pk_add_f32 v[26:27], v[30:31], v[26:27] neg_lo:[0,1] neg_hi:[0,1]
	v_pk_add_f32 v[24:25], v[24:25], v[28:29]
	v_pk_fma_f32 v[36:37], v[40:41], s[28:29], v[36:37] op_sel_hi:[1,0,1]
	v_pk_add_f32 v[24:25], v[24:25], v[26:27]
	v_pk_add_f32 v[38:39], v[34:35], v[36:37]
	;; [unrolled: 1-line block ×4, first 2 shown]
	v_mov_b32_e32 v30, v28
	v_mov_b32_e32 v31, v39
	;; [unrolled: 1-line block ×4, first 2 shown]
	v_pk_add_f32 v[30:31], v[30:31], v[40:41] neg_lo:[0,1] neg_hi:[0,1]
	v_mov_b32_e32 v40, v26
	v_mov_b32_e32 v41, v37
	v_pk_add_f32 v[40:41], v[40:41], v[30:31] neg_lo:[0,1] neg_hi:[0,1]
	v_mov_b32_e32 v42, v28
	v_mov_b32_e32 v43, v27
	;; [unrolled: 1-line block ×3, first 2 shown]
	v_pk_add_f32 v[30:31], v[42:43], v[30:31] neg_lo:[0,1] neg_hi:[0,1]
	v_mov_b32_e32 v42, v38
	v_mov_b32_e32 v43, v25
	v_pk_add_f32 v[30:31], v[42:43], v[30:31] neg_lo:[0,1] neg_hi:[0,1]
	v_mov_b32_e32 v42, v26
	v_mov_b32_e32 v43, v29
	;; [unrolled: 1-line block ×3, first 2 shown]
	v_pk_add_f32 v[32:33], v[42:43], v[32:33] neg_lo:[0,1] neg_hi:[0,1]
	v_mov_b32_e32 v42, v38
	v_mov_b32_e32 v35, v33
	v_pk_add_f32 v[34:35], v[42:43], v[34:35] neg_lo:[0,1] neg_hi:[0,1]
	v_mov_b32_e32 v37, v39
	v_mov_b32_e32 v25, v27
	v_pk_add_f32 v[34:35], v[36:37], v[34:35] neg_lo:[0,1] neg_hi:[0,1]
	v_pk_add_f32 v[24:25], v[24:25], v[32:33] neg_lo:[0,1] neg_hi:[0,1]
	v_pk_add_f32 v[26:27], v[24:25], v[34:35]
	v_pk_add_f32 v[32:33], v[40:41], v[30:31]
	v_mov_b32_e32 v36, v26
	v_mov_b32_e32 v37, v33
	;; [unrolled: 1-line block ×3, first 2 shown]
	v_pk_add_f32 v[38:39], v[36:37], v[34:35] neg_lo:[0,1] neg_hi:[0,1]
	v_pk_add_f32 v[26:27], v[32:33], v[26:27]
	v_pk_add_f32 v[36:37], v[36:37], v[38:39] neg_lo:[0,1] neg_hi:[0,1]
	v_mov_b32_e32 v25, v31
	v_pk_add_f32 v[30:31], v[28:29], v[26:27]
	v_pk_add_f32 v[34:35], v[34:35], v[36:37] neg_lo:[0,1] neg_hi:[0,1]
	v_pk_add_f32 v[24:25], v[24:25], v[38:39] neg_lo:[0,1] neg_hi:[0,1]
	;; [unrolled: 1-line block ×3, first 2 shown]
	v_pk_add_f32 v[24:25], v[24:25], v[34:35]
	v_pk_add_f32 v[26:27], v[26:27], v[28:29] neg_lo:[0,1] neg_hi:[0,1]
	v_pk_add_f32 v[24:25], v[24:25], v[26:27]
	v_pk_add_f32 v[26:27], v[30:31], v[24:25]
	v_pk_add_f32 v[28:29], v[26:27], v[30:31] neg_lo:[0,1] neg_hi:[0,1]
	v_pk_add_f32 v[24:25], v[24:25], v[28:29] neg_lo:[0,1] neg_hi:[0,1]
	v_pk_mul_f32 v[28:29], v[12:13], v[26:27]
	v_pk_fma_f32 v[26:27], v[12:13], v[26:27], v[28:29] neg_lo:[0,0,1] neg_hi:[0,0,1]
	v_pk_fma_f32 v[24:25], v[12:13], v[24:25], v[26:27]
	v_pk_add_f32 v[26:27], v[28:29], v[24:25]
	v_cmp_class_f32_e64 s[6:7], v29, v16
	v_cndmask_b32_e64 v31, v27, v29, s[6:7]
	v_cmp_class_f32_e64 s[6:7], v28, v16
	v_cndmask_b32_e64 v30, v26, v28, s[6:7]
	v_pk_add_f32 v[26:27], v[26:27], v[28:29] neg_lo:[0,1] neg_hi:[0,1]
	v_pk_add_f32 v[24:25], v[24:25], v[26:27] neg_lo:[0,1] neg_hi:[0,1]
	v_cmp_class_f32_e64 s[6:7], v31, s33
	v_cndmask_b32_e64 v25, v25, 0, s[6:7]
	v_cmp_eq_f32_e64 s[6:7], s34, v31
	v_cndmask_b32_e64 v27, 0, v17, s[6:7]
	v_cmp_eq_f32_e64 s[6:7], s34, v30
	v_cndmask_b32_e64 v26, 0, v17, s[6:7]
	v_pk_add_f32 v[28:29], v[30:31], v[26:27] neg_lo:[0,1] neg_hi:[0,1]
	v_mul_f32_e32 v10, 0x3fb8aa3b, v29
	v_cmp_class_f32_e64 s[6:7], v30, s33
	v_fma_f32 v31, v29, s35, -v10
	v_rndne_f32_e32 v32, v10
	v_cndmask_b32_e64 v24, v24, 0, s[6:7]
	v_fmac_f32_e32 v31, 0x32a5705f, v29
	v_sub_f32_e32 v10, v10, v32
	v_pk_add_f32 v[24:25], v[26:27], v[24:25]
	v_mul_f32_e32 v26, 0x3fb8aa3b, v28
	v_add_f32_e32 v10, v10, v31
	v_fma_f32 v27, v28, s35, -v26
	v_rndne_f32_e32 v30, v26
	v_exp_f32_e32 v10, v10
	v_cvt_i32_f32_e32 v31, v32
	v_fmac_f32_e32 v27, 0x32a5705f, v28
	v_sub_f32_e32 v26, v26, v30
	v_add_f32_e32 v26, v26, v27
	v_exp_f32_e32 v26, v26
	v_cvt_i32_f32_e32 v30, v30
	v_ldexp_f32 v10, v10, v31
	v_cmp_ngt_f32_e64 s[6:7], s36, v29
	v_cndmask_b32_e64 v10, 0, v10, s[6:7]
	v_cmp_nlt_f32_e64 s[6:7], s34, v29
	v_cndmask_b32_e64 v27, v18, v10, s[6:7]
	v_ldexp_f32 v10, v26, v30
	v_cmp_ngt_f32_e64 s[6:7], s36, v28
	v_cndmask_b32_e64 v10, 0, v10, s[6:7]
	v_cmp_nlt_f32_e64 s[6:7], s34, v28
	v_cndmask_b32_e64 v26, v18, v10, s[6:7]
	v_pk_fma_f32 v[24:25], v[26:27], v[24:25], v[26:27]
	v_cmp_class_f32_e64 s[6:7], v27, v16
	v_cndmask_b32_e64 v10, v25, v27, s[6:7]
	v_cmp_class_f32_e64 s[6:7], v26, v16
	v_cndmask_b32_e64 v24, v24, v26, s[6:7]
	v_cndmask_b32_e64 v25, v2, 1.0, s[4:5]
	v_cndmask_b32_e64 v26, v3, 1.0, s[2:3]
	v_trunc_f32_e32 v2, v12
	v_trunc_f32_e32 v3, v13
	v_cmp_eq_f32_e64 s[2:3], v3, v13
	v_cmp_eq_f32_e64 s[4:5], v2, v12
	v_pk_mul_f32 v[2:3], v[12:13], 0.5 op_sel_hi:[1,0]
	v_trunc_f32_e32 v27, v2
	v_trunc_f32_e32 v28, v3
	v_cmp_neq_f32_e64 s[6:7], v28, v3
	v_cmp_neq_f32_e64 s[8:9], v27, v2
	s_and_b64 s[6:7], s[2:3], s[6:7]
	s_and_b64 s[8:9], s[4:5], s[8:9]
	v_cndmask_b32_e64 v2, 1.0, v26, s[6:7]
	v_cndmask_b32_e64 v3, 1.0, v25, s[8:9]
	v_bfi_b32 v3, s19, v24, v3
	v_bfi_b32 v2, s19, v10, v2
	v_cndmask_b32_e64 v10, v19, v2, s[2:3]
	v_cndmask_b32_e64 v24, v19, v3, s[4:5]
	v_cmp_gt_f32_e64 s[2:3], 0, v25
	v_cndmask_b32_e64 v3, v3, v24, s[2:3]
	v_cmp_gt_f32_e64 s[2:3], 0, v26
	v_cndmask_b32_e64 v24, v21, 1.0, s[0:1]
	v_cndmask_b32_e64 v2, v2, v10, s[2:3]
	v_cndmask_b32_e64 v10, v20, 1.0, vcc
	v_cmp_neq_f32_e64 s[0:1], v24, v12
	v_cmp_gt_f32_e64 s[4:5], 1.0, v45
	v_cmp_neq_f32_e32 vcc, v13, v10
	v_cmp_gt_f32_e64 s[2:3], 1.0, v44
	s_xor_b64 s[0:1], s[0:1], s[4:5]
	s_xor_b64 s[2:3], vcc, s[2:3]
	v_cndmask_b32_e64 v28, v24, 0, s[0:1]
	v_cmp_eq_f32_e32 vcc, 1.0, v45
	v_cndmask_b32_e64 v27, v10, 0, s[2:3]
	v_cndmask_b32_e32 v28, v28, v45, vcc
	v_cmp_eq_f32_e32 vcc, 1.0, v44
	v_cndmask_b32_e32 v27, v27, v44, vcc
	v_cmp_eq_f32_e32 vcc, s37, v10
	v_cndmask_b32_e32 v2, v2, v27, vcc
	v_cmp_eq_f32_e32 vcc, s37, v24
	v_cndmask_b32_e32 v3, v3, v28, vcc
	v_cmp_eq_f32_e32 vcc, 0, v25
	v_cmp_gt_f32_e64 s[10:11], 0, v12
	v_cmp_eq_f32_e64 s[4:5], 0, v26
	v_cmp_gt_f32_e64 s[12:13], 0, v13
	s_xor_b64 s[10:11], s[10:11], vcc
	v_cmp_eq_f32_e64 s[2:3], s37, v45
	v_cndmask_b32_e64 v10, v18, 0, s[10:11]
	s_xor_b64 s[10:11], s[12:13], s[4:5]
	v_cndmask_b32_e64 v27, 0, v25, s[8:9]
	v_cmp_eq_f32_e64 s[0:1], s37, v44
	v_cndmask_b32_e64 v24, v18, 0, s[10:11]
	v_cndmask_b32_e64 v28, 0, v26, s[6:7]
	v_bfi_b32 v10, s19, v10, v27
	s_or_b64 vcc, vcc, s[2:3]
	v_bfi_b32 v24, s19, v24, v28
	v_cndmask_b32_e32 v10, v3, v10, vcc
	s_or_b64 vcc, s[0:1], s[4:5]
	v_cndmask_b32_e32 v2, v2, v24, vcc
	v_cmp_o_f32_e32 vcc, v26, v13
	v_cndmask_b32_e32 v3, v19, v2, vcc
	v_cmp_o_f32_e32 vcc, v25, v12
	v_cndmask_b32_e32 v2, v19, v10, vcc
	v_cmp_le_i64_e32 vcc, s[20:21], v[4:5]
	v_cmp_lt_u64_e64 s[0:1], s[30:31], v[4:5]
	global_store_dwordx4 v[6:7], v[0:3], off offset:-8
	s_or_b64 s[0:1], vcc, s[0:1]
	v_add_co_u32_e32 v6, vcc, s25, v6
	v_addc_co_u32_e32 v7, vcc, v7, v22, vcc
	s_and_b64 s[0:1], exec, s[0:1]
	v_add_co_u32_e32 v4, vcc, s27, v4
	s_or_b64 s[14:15], s[0:1], s[14:15]
	v_addc_co_u32_e32 v5, vcc, v5, v23, vcc
	s_andn2_b64 exec, exec, s[14:15]
	s_cbranch_execnz .LBB54_24
.LBB54_25:
	s_endpgm
	.section	.rodata,"a",@progbits
	.p2align	6, 0x0
	.amdhsa_kernel _ZN2at6native12_GLOBAL__N_125multi_tensor_apply_kernelINS1_18TensorListMetadataILi1EEENS1_21BinaryOpScalarFunctorIfLi1ELi1ELi0EEEJNS1_13power_functorIfEEfEEEvT_T0_DpT1_
		.amdhsa_group_segment_fixed_size 0
		.amdhsa_private_segment_fixed_size 0
		.amdhsa_kernarg_size 3632
		.amdhsa_user_sgpr_count 6
		.amdhsa_user_sgpr_private_segment_buffer 1
		.amdhsa_user_sgpr_dispatch_ptr 0
		.amdhsa_user_sgpr_queue_ptr 0
		.amdhsa_user_sgpr_kernarg_segment_ptr 1
		.amdhsa_user_sgpr_dispatch_id 0
		.amdhsa_user_sgpr_flat_scratch_init 0
		.amdhsa_user_sgpr_kernarg_preload_length 0
		.amdhsa_user_sgpr_kernarg_preload_offset 0
		.amdhsa_user_sgpr_private_segment_size 0
		.amdhsa_uses_dynamic_stack 0
		.amdhsa_system_sgpr_private_segment_wavefront_offset 0
		.amdhsa_system_sgpr_workgroup_id_x 1
		.amdhsa_system_sgpr_workgroup_id_y 0
		.amdhsa_system_sgpr_workgroup_id_z 0
		.amdhsa_system_sgpr_workgroup_info 0
		.amdhsa_system_vgpr_workitem_id 0
		.amdhsa_next_free_vgpr 60
		.amdhsa_next_free_sgpr 49
		.amdhsa_accum_offset 60
		.amdhsa_reserve_vcc 1
		.amdhsa_reserve_flat_scratch 0
		.amdhsa_float_round_mode_32 0
		.amdhsa_float_round_mode_16_64 0
		.amdhsa_float_denorm_mode_32 3
		.amdhsa_float_denorm_mode_16_64 3
		.amdhsa_dx10_clamp 1
		.amdhsa_ieee_mode 1
		.amdhsa_fp16_overflow 0
		.amdhsa_tg_split 0
		.amdhsa_exception_fp_ieee_invalid_op 0
		.amdhsa_exception_fp_denorm_src 0
		.amdhsa_exception_fp_ieee_div_zero 0
		.amdhsa_exception_fp_ieee_overflow 0
		.amdhsa_exception_fp_ieee_underflow 0
		.amdhsa_exception_fp_ieee_inexact 0
		.amdhsa_exception_int_div_zero 0
	.end_amdhsa_kernel
	.section	.text._ZN2at6native12_GLOBAL__N_125multi_tensor_apply_kernelINS1_18TensorListMetadataILi1EEENS1_21BinaryOpScalarFunctorIfLi1ELi1ELi0EEEJNS1_13power_functorIfEEfEEEvT_T0_DpT1_,"axG",@progbits,_ZN2at6native12_GLOBAL__N_125multi_tensor_apply_kernelINS1_18TensorListMetadataILi1EEENS1_21BinaryOpScalarFunctorIfLi1ELi1ELi0EEEJNS1_13power_functorIfEEfEEEvT_T0_DpT1_,comdat
.Lfunc_end54:
	.size	_ZN2at6native12_GLOBAL__N_125multi_tensor_apply_kernelINS1_18TensorListMetadataILi1EEENS1_21BinaryOpScalarFunctorIfLi1ELi1ELi0EEEJNS1_13power_functorIfEEfEEEvT_T0_DpT1_, .Lfunc_end54-_ZN2at6native12_GLOBAL__N_125multi_tensor_apply_kernelINS1_18TensorListMetadataILi1EEENS1_21BinaryOpScalarFunctorIfLi1ELi1ELi0EEEJNS1_13power_functorIfEEfEEEvT_T0_DpT1_
                                        ; -- End function
	.section	.AMDGPU.csdata,"",@progbits
; Kernel info:
; codeLenInByte = 9148
; NumSgprs: 53
; NumVgprs: 60
; NumAgprs: 0
; TotalNumVgprs: 60
; ScratchSize: 0
; MemoryBound: 0
; FloatMode: 240
; IeeeMode: 1
; LDSByteSize: 0 bytes/workgroup (compile time only)
; SGPRBlocks: 6
; VGPRBlocks: 7
; NumSGPRsForWavesPerEU: 53
; NumVGPRsForWavesPerEU: 60
; AccumOffset: 60
; Occupancy: 8
; WaveLimiterHint : 0
; COMPUTE_PGM_RSRC2:SCRATCH_EN: 0
; COMPUTE_PGM_RSRC2:USER_SGPR: 6
; COMPUTE_PGM_RSRC2:TRAP_HANDLER: 0
; COMPUTE_PGM_RSRC2:TGID_X_EN: 1
; COMPUTE_PGM_RSRC2:TGID_Y_EN: 0
; COMPUTE_PGM_RSRC2:TGID_Z_EN: 0
; COMPUTE_PGM_RSRC2:TIDIG_COMP_CNT: 0
; COMPUTE_PGM_RSRC3_GFX90A:ACCUM_OFFSET: 14
; COMPUTE_PGM_RSRC3_GFX90A:TG_SPLIT: 0
	.text
	.p2align	2                               ; -- Begin function _ZN2at6native12_GLOBAL__N_14pow_IdEEN3c107complexIT_EES6_S6_
	.type	_ZN2at6native12_GLOBAL__N_14pow_IdEEN3c107complexIT_EES6_S6_,@function
_ZN2at6native12_GLOBAL__N_14pow_IdEEN3c107complexIT_EES6_S6_: ; @_ZN2at6native12_GLOBAL__N_14pow_IdEEN3c107complexIT_EES6_S6_
; %bb.0:
	s_waitcnt vmcnt(0) expcnt(0) lgkmcnt(0)
	s_xor_saveexec_b64 s[4:5], -1
	buffer_store_dword v36, off, s[0:3], s32 ; 4-byte Folded Spill
	s_mov_b64 exec, s[4:5]
	v_writelane_b32 v36, s34, 0
	v_writelane_b32 v36, s35, 1
	;; [unrolled: 1-line block ×6, first 2 shown]
	v_cmp_o_f64_e32 vcc, v[0:1], v[2:3]
                                        ; implicit-def: $vgpr8_vgpr9
                                        ; implicit-def: $vgpr12_vgpr13
	s_and_saveexec_b64 s[4:5], vcc
	s_xor_b64 s[10:11], exec, s[4:5]
	s_cbranch_execz .LBB55_28
; %bb.1:
	v_and_b32_e32 v16, 0x7fffffff, v1
	v_and_b32_e32 v15, 0x7fffffff, v3
	v_mov_b32_e32 v14, v2
	v_cmp_lt_f64_e64 s[4:5], |v[0:1]|, |v[2:3]|
	s_mov_b32 s6, 0x85ebc8a0
	v_cndmask_b32_e64 v11, v15, v16, s[4:5]
	v_cndmask_b32_e64 v10, v14, v0, s[4:5]
	s_mov_b32 s7, 0x7fd1ccf3
	v_cmp_nlt_f64_e32 vcc, s[6:7], v[10:11]
                                        ; implicit-def: $vgpr8_vgpr9
                                        ; implicit-def: $vgpr12_vgpr13
	s_and_saveexec_b64 s[6:7], vcc
	s_xor_b64 s[8:9], exec, s[6:7]
	s_cbranch_execz .LBB55_25
; %bb.2:
	v_cndmask_b32_e64 v17, v16, v15, s[4:5]
	v_cndmask_b32_e64 v16, v0, v14, s[4:5]
	v_cmp_neq_f64_e32 vcc, 1.0, v[16:17]
                                        ; implicit-def: $vgpr8_vgpr9
                                        ; implicit-def: $vgpr12_vgpr13
	s_and_saveexec_b64 s[6:7], vcc
	s_xor_b64 s[12:13], exec, s[6:7]
	s_cbranch_execz .LBB55_18
; %bb.3:
	v_max_f64 v[8:9], v[10:11], v[10:11]
	v_max_f64 v[12:13], v[16:17], v[16:17]
	s_mov_b32 s6, 0x4ad4b81f
	v_min_f64 v[14:15], v[12:13], v[8:9]
	s_mov_b32 s7, 0x358dee7a
	v_cmp_ngt_f64_e32 vcc, s[6:7], v[14:15]
	s_mov_b32 s6, 0xc57e649a
	v_max_f64 v[8:9], v[12:13], v[8:9]
	s_mov_b32 s7, 0x4a511b0e
	v_cmp_nlt_f64_e64 s[6:7], s[6:7], v[8:9]
	s_and_b64 s[6:7], s[6:7], vcc
                                        ; implicit-def: $vgpr8_vgpr9
                                        ; implicit-def: $vgpr12_vgpr13
	s_and_saveexec_b64 s[14:15], s[6:7]
	s_xor_b64 s[14:15], exec, s[14:15]
	s_cbranch_execz .LBB55_15
; %bb.4:
	v_cmp_le_f64_e32 vcc, 1.0, v[16:17]
                                        ; implicit-def: $vgpr8_vgpr9
                                        ; implicit-def: $vgpr12_vgpr13
	s_and_saveexec_b64 s[6:7], vcc
	s_xor_b64 s[6:7], exec, s[6:7]
	s_cbranch_execz .LBB55_6
; %bb.5:
	v_add_f64 v[8:9], v[16:17], -1.0
	v_add_f64 v[12:13], v[16:17], 1.0
	v_mul_f64 v[12:13], v[8:9], v[12:13]
	v_fmac_f64_e32 v[12:13], v[10:11], v[10:11]
	v_add_f64 v[8:9], v[12:13], 1.0
	v_add_f64 v[10:11], v[8:9], -1.0
	v_add_f64 v[14:15], v[10:11], -v[8:9]
	v_add_f64 v[14:15], v[14:15], 1.0
	v_add_f64 v[10:11], v[12:13], -v[10:11]
	s_mov_b32 s16, 0x55555555
	v_add_f64 v[10:11], v[10:11], v[14:15]
	v_frexp_mant_f64_e32 v[14:15], v[8:9]
	s_mov_b32 s17, 0x3fe55555
	v_frexp_exp_i32_f64_e32 v16, v[8:9]
	v_cmp_gt_f64_e32 vcc, s[16:17], v[14:15]
	v_subbrev_co_u32_e32 v30, vcc, 0, v16, vcc
	v_sub_u32_e32 v14, 0, v30
	v_ldexp_f64 v[8:9], v[8:9], v14
	v_ldexp_f64 v[10:11], v[10:11], v14
	v_add_f64 v[14:15], v[8:9], -1.0
	v_add_f64 v[20:21], v[8:9], 1.0
	v_add_f64 v[16:17], v[14:15], 1.0
	v_add_f64 v[22:23], v[20:21], -1.0
	v_add_f64 v[16:17], v[8:9], -v[16:17]
	v_add_f64 v[8:9], v[8:9], -v[22:23]
	v_add_f64 v[8:9], v[10:11], v[8:9]
	v_add_f64 v[16:17], v[10:11], v[16:17]
	;; [unrolled: 1-line block ×3, first 2 shown]
	v_rcp_f64_e32 v[22:23], v[10:11]
	v_add_f64 v[18:19], v[14:15], v[16:17]
	v_add_f64 v[14:15], v[18:19], -v[14:15]
	v_add_f64 v[14:15], v[16:17], -v[14:15]
	;; [unrolled: 1-line block ×4, first 2 shown]
	v_fma_f64 v[16:17], -v[10:11], v[22:23], 1.0
	v_fmac_f64_e32 v[22:23], v[16:17], v[22:23]
	v_fma_f64 v[16:17], -v[10:11], v[22:23], 1.0
	v_fmac_f64_e32 v[22:23], v[16:17], v[22:23]
	v_mul_f64 v[16:17], v[18:19], v[22:23]
	v_mul_f64 v[20:21], v[10:11], v[16:17]
	v_fma_f64 v[24:25], v[16:17], v[10:11], -v[20:21]
	v_fmac_f64_e32 v[24:25], v[16:17], v[8:9]
	v_add_f64 v[26:27], v[20:21], v[24:25]
	v_add_f64 v[28:29], v[18:19], -v[26:27]
	v_add_f64 v[18:19], v[18:19], -v[28:29]
	;; [unrolled: 1-line block ×4, first 2 shown]
	v_add_f64 v[14:15], v[14:15], v[18:19]
	v_add_f64 v[18:19], v[20:21], -v[24:25]
	v_add_f64 v[14:15], v[18:19], v[14:15]
	v_add_f64 v[18:19], v[28:29], v[14:15]
	v_add_f64 v[20:21], v[28:29], -v[18:19]
	v_add_f64 v[14:15], v[14:15], v[20:21]
	v_mul_f64 v[20:21], v[22:23], v[18:19]
	v_mul_f64 v[24:25], v[10:11], v[20:21]
	v_fma_f64 v[10:11], v[20:21], v[10:11], -v[24:25]
	v_fmac_f64_e32 v[10:11], v[20:21], v[8:9]
	v_add_f64 v[8:9], v[24:25], v[10:11]
	v_add_f64 v[26:27], v[18:19], -v[8:9]
	v_add_f64 v[18:19], v[18:19], -v[26:27]
	;; [unrolled: 1-line block ×4, first 2 shown]
	v_add_f64 v[8:9], v[14:15], v[8:9]
	v_add_f64 v[10:11], v[24:25], -v[10:11]
	v_add_f64 v[8:9], v[10:11], v[8:9]
	v_add_f64 v[10:11], v[16:17], v[20:21]
	;; [unrolled: 1-line block ×3, first 2 shown]
	v_add_f64 v[14:15], v[10:11], -v[16:17]
	v_mul_f64 v[8:9], v[22:23], v[8:9]
	v_add_f64 v[14:15], v[20:21], -v[14:15]
	v_add_f64 v[8:9], v[14:15], v[8:9]
	v_add_f64 v[14:15], v[10:11], v[8:9]
	v_add_f64 v[10:11], v[14:15], -v[10:11]
	s_mov_b32 s16, 0xbf559e2b
	v_add_f64 v[8:9], v[8:9], -v[10:11]
	v_mul_f64 v[10:11], v[14:15], v[14:15]
	v_mov_b32_e32 v16, 0x6b47b09a
	v_mov_b32_e32 v17, 0x3fc38538
	s_mov_b32 s17, 0x3fc3ab76
	v_fmac_f64_e32 v[16:17], s[16:17], v[10:11]
	v_mov_b32_e32 v18, 0xd7f4df2e
	v_mov_b32_e32 v19, 0x3fc7474d
	v_fmac_f64_e32 v[18:19], v[10:11], v[16:17]
	v_mov_b32_e32 v16, 0x16291751
	v_mov_b32_e32 v17, 0x3fcc71c0
	;; [unrolled: 3-line block ×5, first 2 shown]
	s_mov_b32 s16, 0xfefa39ef
	v_fmac_f64_e32 v[18:19], v[10:11], v[16:17]
	v_cvt_f64_i32_e32 v[16:17], v30
	s_mov_b32 s17, 0x3fe62e42
	v_mul_f64 v[20:21], v[16:17], s[16:17]
	v_fma_f64 v[22:23], v[16:17], s[16:17], -v[20:21]
	s_mov_b32 s16, 0x3b39803f
	s_mov_b32 s17, 0x3c7abc9e
	v_fmac_f64_e32 v[22:23], s[16:17], v[16:17]
	v_add_f64 v[16:17], v[20:21], v[22:23]
	v_add_f64 v[20:21], v[16:17], -v[20:21]
	v_mul_f64 v[10:11], v[14:15], v[10:11]
	v_add_f64 v[20:21], v[22:23], -v[20:21]
	v_ldexp_f64 v[22:23], v[14:15], 1
	v_mul_f64 v[10:11], v[10:11], v[18:19]
	v_add_f64 v[14:15], v[22:23], v[10:11]
	v_add_f64 v[18:19], v[14:15], -v[22:23]
	v_ldexp_f64 v[8:9], v[8:9], 1
	v_add_f64 v[10:11], v[10:11], -v[18:19]
	v_add_f64 v[8:9], v[8:9], v[10:11]
	v_add_f64 v[10:11], v[14:15], v[8:9]
	v_add_f64 v[14:15], v[10:11], -v[14:15]
	v_add_f64 v[8:9], v[8:9], -v[14:15]
	v_add_f64 v[14:15], v[16:17], v[10:11]
	v_add_f64 v[18:19], v[14:15], -v[16:17]
	v_add_f64 v[22:23], v[14:15], -v[18:19]
	;; [unrolled: 1-line block ×4, first 2 shown]
	v_add_f64 v[10:11], v[10:11], v[16:17]
	v_add_f64 v[16:17], v[20:21], v[8:9]
	v_add_f64 v[18:19], v[16:17], -v[20:21]
	v_add_f64 v[10:11], v[16:17], v[10:11]
	v_add_f64 v[22:23], v[16:17], -v[18:19]
	;; [unrolled: 2-line block ×3, first 2 shown]
	v_add_f64 v[8:9], v[8:9], -v[18:19]
	v_add_f64 v[14:15], v[16:17], -v[14:15]
	v_add_f64 v[8:9], v[8:9], v[20:21]
	v_add_f64 v[10:11], v[10:11], -v[14:15]
	s_mov_b32 s16, 0
	v_add_f64 v[8:9], v[8:9], v[10:11]
	s_mov_b32 s17, 0x7ff00000
	v_add_f64 v[8:9], v[16:17], v[8:9]
	v_cmp_eq_f64_e32 vcc, s[16:17], v[12:13]
	v_cndmask_b32_e32 v9, v9, v13, vcc
	v_cndmask_b32_e32 v8, v8, v12, vcc
	v_mul_f64 v[8:9], v[8:9], 0.5
	v_mov_b32_e32 v10, 0x7ff80000
	v_cmp_ngt_f64_e32 vcc, -1.0, v[12:13]
	v_cndmask_b32_e32 v9, v10, v9, vcc
	v_max_f64 v[10:11], |v[2:3]|, |v[2:3]|
	v_max_f64 v[14:15], |v[0:1]|, |v[0:1]|
	v_max_f64 v[16:17], v[14:15], v[10:11]
	v_min_f64 v[10:11], v[14:15], v[10:11]
	v_div_scale_f64 v[14:15], s[16:17], v[16:17], v[16:17], v[10:11]
	v_rcp_f64_e32 v[18:19], v[14:15]
	v_cmp_nge_f64_e32 vcc, -1.0, v[12:13]
	v_cndmask_b32_e32 v8, 0, v8, vcc
	v_cmp_neq_f64_e32 vcc, -1.0, v[12:13]
	v_fma_f64 v[12:13], -v[14:15], v[18:19], 1.0
	v_fmac_f64_e32 v[18:19], v[18:19], v[12:13]
	v_mov_b32_e32 v20, 0xfff00000
	v_fma_f64 v[12:13], -v[14:15], v[18:19], 1.0
	v_cndmask_b32_e32 v9, v20, v9, vcc
	v_fmac_f64_e32 v[18:19], v[18:19], v[12:13]
	v_div_scale_f64 v[12:13], vcc, v[10:11], v[16:17], v[10:11]
	v_mul_f64 v[20:21], v[12:13], v[18:19]
	v_fma_f64 v[12:13], -v[14:15], v[20:21], v[12:13]
	s_mov_b32 s16, 0xb5e68a13
	s_nop 0
	v_div_fmas_f64 v[12:13], v[12:13], v[18:19], v[20:21]
	v_div_fixup_f64 v[10:11], v[12:13], v[16:17], v[10:11]
	v_mul_f64 v[12:13], v[10:11], v[10:11]
	v_mov_b32_e32 v14, 0xbd3237f4
	v_mov_b32_e32 v15, 0xbf23e260
	s_mov_b32 s17, 0x3eeba404
	v_fmac_f64_e32 v[14:15], s[16:17], v[12:13]
	v_mov_b32_e32 v16, 0x69efb384
	v_mov_b32_e32 v17, 0x3f4b2bb0
	v_fmac_f64_e32 v[16:17], v[12:13], v[14:15]
	v_mov_b32_e32 v14, 0xaf56de9b
	v_mov_b32_e32 v15, 0xbf67952d
	;; [unrolled: 3-line block ×18, first 2 shown]
	v_fmac_f64_e32 v[14:15], v[12:13], v[16:17]
	v_mul_f64 v[12:13], v[12:13], v[14:15]
	s_movk_i32 s18, 0x204
	v_fmac_f64_e32 v[10:11], v[10:11], v[12:13]
	v_cmp_class_f64_e64 s[16:17], v[2:3], s18
	v_cmp_class_f64_e64 s[18:19], v[0:1], s18
	v_mov_b32_e32 v0, 0x54442d18
	v_mov_b32_e32 v12, 0x7f3321d2
	v_cmp_gt_i32_e32 vcc, 0, v1
	v_cndmask_b32_e32 v12, v0, v12, vcc
	v_mov_b32_e32 v0, 0x3fe921fb
	v_mov_b32_e32 v13, 0x4002d97c
	v_cndmask_b32_e32 v0, v0, v13, vcc
	s_brev_b32 s21, -2
	s_mov_b32 s20, 0x54442d18
	v_bfi_b32 v13, s21, v0, v3
	v_ashrrev_i32_e32 v0, 31, v1
	s_mov_b32 s21, 0x3ff921fb
	s_mov_b32 s22, 0x400921fb
	v_and_b32_e32 v14, 0x400921fb, v0
	v_and_b32_e32 v15, 0x54442d18, v0
	v_add_f64 v[0:1], -v[10:11], s[20:21]
	v_cndmask_b32_e64 v1, v11, v1, s[4:5]
	v_cndmask_b32_e64 v0, v10, v0, s[4:5]
	s_mov_b32 s21, s22
	v_add_f64 v[10:11], -v[0:1], s[20:21]
	v_cndmask_b32_e32 v1, v1, v11, vcc
	v_cndmask_b32_e32 v0, v0, v10, vcc
	v_cmp_eq_f64_e32 vcc, 0, v[2:3]
	v_cndmask_b32_e32 v0, v0, v15, vcc
	v_cndmask_b32_e32 v1, v1, v14, vcc
	s_and_b64 vcc, s[18:19], s[16:17]
	v_cndmask_b32_e32 v13, v1, v13, vcc
	v_cndmask_b32_e32 v12, v0, v12, vcc
                                        ; implicit-def: $vgpr0_vgpr1
                                        ; implicit-def: $vgpr10_vgpr11
                                        ; implicit-def: $vgpr16_vgpr17
.LBB55_6:
	s_andn2_saveexec_b64 s[16:17], s[6:7]
	s_cbranch_execz .LBB55_14
; %bb.7:
	v_mul_f64 v[14:15], v[10:11], v[10:11]
	s_mov_b32 s6, 0x66666666
	v_fmac_f64_e32 v[14:15], v[16:17], v[16:17]
	s_mov_b32 s7, 0x3fe66666
	v_cmp_ge_f64_e32 vcc, s[6:7], v[14:15]
                                        ; implicit-def: $vgpr8_vgpr9
                                        ; implicit-def: $vgpr12_vgpr13
	s_and_saveexec_b64 s[6:7], vcc
	s_xor_b64 s[6:7], exec, s[6:7]
	s_cbranch_execz .LBB55_9
; %bb.8:
	s_mov_b32 s18, 0x55555555
	v_frexp_mant_f64_e32 v[8:9], v[14:15]
	s_mov_b32 s19, 0x3fe55555
	v_mov_b32_e32 v10, 0x3ff00000
	v_cmp_gt_f64_e32 vcc, s[18:19], v[8:9]
	v_cndmask_b32_e64 v11, v10, 2.0, vcc
	v_mov_b32_e32 v10, 0
	v_mul_f64 v[8:9], v[8:9], v[10:11]
	v_frexp_exp_i32_f64_e32 v12, v[14:15]
	v_add_f64 v[10:11], v[8:9], 1.0
	v_subbrev_co_u32_e32 v24, vcc, 0, v12, vcc
	v_rcp_f64_e32 v[12:13], v[10:11]
	v_add_f64 v[18:19], v[10:11], -1.0
	v_add_f64 v[16:17], v[8:9], -1.0
	v_add_f64 v[8:9], v[8:9], -v[18:19]
	v_fma_f64 v[18:19], -v[10:11], v[12:13], 1.0
	v_fmac_f64_e32 v[12:13], v[18:19], v[12:13]
	v_fma_f64 v[18:19], -v[10:11], v[12:13], 1.0
	v_fmac_f64_e32 v[12:13], v[18:19], v[12:13]
	v_mul_f64 v[18:19], v[16:17], v[12:13]
	v_mul_f64 v[20:21], v[10:11], v[18:19]
	v_fma_f64 v[10:11], v[18:19], v[10:11], -v[20:21]
	v_fmac_f64_e32 v[10:11], v[18:19], v[8:9]
	v_add_f64 v[8:9], v[20:21], v[10:11]
	v_add_f64 v[22:23], v[16:17], -v[8:9]
	v_add_f64 v[20:21], v[8:9], -v[20:21]
	;; [unrolled: 1-line block ×5, first 2 shown]
	v_add_f64 v[8:9], v[10:11], v[8:9]
	v_add_f64 v[8:9], v[22:23], v[8:9]
	v_mul_f64 v[8:9], v[12:13], v[8:9]
	v_add_f64 v[10:11], v[18:19], v[8:9]
	v_add_f64 v[12:13], v[10:11], -v[18:19]
	s_mov_b32 s18, 0xbf559e2b
	v_add_f64 v[8:9], v[8:9], -v[12:13]
	v_mul_f64 v[12:13], v[10:11], v[10:11]
	v_mov_b32_e32 v16, 0x6b47b09a
	v_mov_b32_e32 v17, 0x3fc38538
	s_mov_b32 s19, 0x3fc3ab76
	v_fmac_f64_e32 v[16:17], s[18:19], v[12:13]
	v_mov_b32_e32 v18, 0xd7f4df2e
	v_mov_b32_e32 v19, 0x3fc7474d
	v_fmac_f64_e32 v[18:19], v[12:13], v[16:17]
	v_mov_b32_e32 v16, 0x16291751
	v_mov_b32_e32 v17, 0x3fcc71c0
	;; [unrolled: 3-line block ×5, first 2 shown]
	v_fmac_f64_e32 v[18:19], v[12:13], v[16:17]
	v_ldexp_f64 v[16:17], v[10:11], 1
	v_mul_f64 v[10:11], v[10:11], v[12:13]
	v_mul_f64 v[10:11], v[10:11], v[18:19]
	v_add_f64 v[12:13], v[16:17], v[10:11]
	v_add_f64 v[16:17], v[12:13], -v[16:17]
	v_ldexp_f64 v[8:9], v[8:9], 1
	v_add_f64 v[10:11], v[10:11], -v[16:17]
	v_add_f64 v[8:9], v[8:9], v[10:11]
	v_add_f64 v[10:11], v[12:13], v[8:9]
	v_add_f64 v[12:13], v[10:11], -v[12:13]
	s_mov_b32 s18, 0xfefa39ef
	v_add_f64 v[8:9], v[8:9], -v[12:13]
	v_cvt_f64_i32_e32 v[12:13], v24
	s_mov_b32 s19, 0x3fe62e42
	v_mul_f64 v[16:17], v[12:13], s[18:19]
	v_fma_f64 v[18:19], v[12:13], s[18:19], -v[16:17]
	s_mov_b32 s18, 0x3b39803f
	s_mov_b32 s19, 0x3c7abc9e
	v_fmac_f64_e32 v[18:19], s[18:19], v[12:13]
	v_add_f64 v[12:13], v[16:17], v[18:19]
	v_add_f64 v[16:17], v[12:13], -v[16:17]
	v_add_f64 v[16:17], v[18:19], -v[16:17]
	v_add_f64 v[18:19], v[12:13], v[10:11]
	v_add_f64 v[20:21], v[18:19], -v[12:13]
	v_add_f64 v[22:23], v[18:19], -v[20:21]
	;; [unrolled: 1-line block ×4, first 2 shown]
	v_add_f64 v[10:11], v[10:11], v[12:13]
	v_add_f64 v[12:13], v[16:17], v[8:9]
	v_add_f64 v[20:21], v[12:13], -v[16:17]
	v_add_f64 v[22:23], v[12:13], -v[20:21]
	v_add_f64 v[10:11], v[12:13], v[10:11]
	v_add_f64 v[16:17], v[16:17], -v[22:23]
	v_add_f64 v[8:9], v[8:9], -v[20:21]
	v_add_f64 v[12:13], v[18:19], v[10:11]
	v_add_f64 v[8:9], v[8:9], v[16:17]
	v_add_f64 v[16:17], v[12:13], -v[18:19]
	v_add_f64 v[10:11], v[10:11], -v[16:17]
	v_add_f64 v[8:9], v[8:9], v[10:11]
	v_add_f64 v[8:9], v[12:13], v[8:9]
	v_max_f64 v[10:11], |v[2:3]|, |v[2:3]|
	v_max_f64 v[12:13], |v[0:1]|, |v[0:1]|
	v_max_f64 v[16:17], v[12:13], v[10:11]
	v_min_f64 v[10:11], v[12:13], v[10:11]
	v_div_scale_f64 v[12:13], s[18:19], v[16:17], v[16:17], v[10:11]
	v_rcp_f64_e32 v[18:19], v[12:13]
	v_cmp_neq_f64_e32 vcc, 0, v[14:15]
	v_mul_f64 v[8:9], v[8:9], 0.5
	v_mov_b32_e32 v20, 0xfff00000
	v_fma_f64 v[14:15], -v[12:13], v[18:19], 1.0
	v_fmac_f64_e32 v[18:19], v[18:19], v[14:15]
	v_fma_f64 v[14:15], -v[12:13], v[18:19], 1.0
	v_cndmask_b32_e32 v9, v20, v9, vcc
	v_cndmask_b32_e32 v8, 0, v8, vcc
	v_fmac_f64_e32 v[18:19], v[18:19], v[14:15]
	v_div_scale_f64 v[14:15], vcc, v[10:11], v[16:17], v[10:11]
	v_mul_f64 v[20:21], v[14:15], v[18:19]
	v_fma_f64 v[12:13], -v[12:13], v[20:21], v[14:15]
	s_mov_b32 s18, 0xb5e68a13
	s_nop 0
	v_div_fmas_f64 v[12:13], v[12:13], v[18:19], v[20:21]
	v_div_fixup_f64 v[10:11], v[12:13], v[16:17], v[10:11]
	v_mul_f64 v[12:13], v[10:11], v[10:11]
	v_mov_b32_e32 v14, 0xbd3237f4
	v_mov_b32_e32 v15, 0xbf23e260
	s_mov_b32 s19, 0x3eeba404
	v_fmac_f64_e32 v[14:15], s[18:19], v[12:13]
	v_mov_b32_e32 v16, 0x69efb384
	v_mov_b32_e32 v17, 0x3f4b2bb0
	v_fmac_f64_e32 v[16:17], v[12:13], v[14:15]
	v_mov_b32_e32 v14, 0xaf56de9b
	v_mov_b32_e32 v15, 0xbf67952d
	;; [unrolled: 3-line block ×18, first 2 shown]
	v_fmac_f64_e32 v[14:15], v[12:13], v[16:17]
	v_mul_f64 v[12:13], v[12:13], v[14:15]
	s_movk_i32 s20, 0x204
	v_fmac_f64_e32 v[10:11], v[10:11], v[12:13]
	v_cmp_class_f64_e64 s[18:19], v[2:3], s20
	v_cmp_class_f64_e64 s[20:21], v[0:1], s20
	v_mov_b32_e32 v0, 0x54442d18
	v_mov_b32_e32 v12, 0x7f3321d2
	v_cmp_gt_i32_e32 vcc, 0, v1
	v_cndmask_b32_e32 v12, v0, v12, vcc
	v_mov_b32_e32 v0, 0x3fe921fb
	v_mov_b32_e32 v13, 0x4002d97c
	v_cndmask_b32_e32 v0, v0, v13, vcc
	s_brev_b32 s23, -2
	s_mov_b32 s22, 0x54442d18
	v_bfi_b32 v13, s23, v0, v3
	v_ashrrev_i32_e32 v0, 31, v1
	s_mov_b32 s23, 0x3ff921fb
	s_mov_b32 s24, 0x400921fb
	v_and_b32_e32 v14, 0x400921fb, v0
	v_and_b32_e32 v15, 0x54442d18, v0
	v_add_f64 v[0:1], -v[10:11], s[22:23]
	v_cndmask_b32_e64 v1, v11, v1, s[4:5]
	v_cndmask_b32_e64 v0, v10, v0, s[4:5]
	s_mov_b32 s23, s24
	v_add_f64 v[10:11], -v[0:1], s[22:23]
	v_cndmask_b32_e32 v1, v1, v11, vcc
	v_cndmask_b32_e32 v0, v0, v10, vcc
	v_cmp_eq_f64_e32 vcc, 0, v[2:3]
	v_cndmask_b32_e32 v0, v0, v15, vcc
	v_cndmask_b32_e32 v1, v1, v14, vcc
	s_and_b64 vcc, s[20:21], s[18:19]
	v_cndmask_b32_e32 v13, v1, v13, vcc
	v_cndmask_b32_e32 v12, v0, v12, vcc
                                        ; implicit-def: $vgpr0_vgpr1
                                        ; implicit-def: $vgpr16_vgpr17
                                        ; implicit-def: $vgpr10_vgpr11
.LBB55_9:
	s_andn2_saveexec_b64 s[18:19], s[6:7]
	s_cbranch_execz .LBB55_13
; %bb.10:
	v_and_b32_e32 v13, 0x7ffffff8, v17
	v_mov_b32_e32 v12, 0
	v_add_f64 v[8:9], v[16:17], -v[12:13]
	v_and_b32_e32 v25, -8, v9
	v_mov_b32_e32 v24, v12
	v_and_b32_e32 v15, 0x7ffffff8, v11
	v_mov_b32_e32 v14, v12
	v_add_f64 v[28:29], v[8:9], -v[24:25]
	v_add_f64 v[8:9], v[10:11], -v[14:15]
	v_and_b32_e32 v27, -8, v9
	v_mov_b32_e32 v26, v12
	v_add_f64 v[18:19], v[12:13], v[12:13]
	v_add_f64 v[32:33], v[14:15], v[14:15]
	v_add_f64 v[30:31], v[8:9], -v[26:27]
	v_mul_f64 v[8:9], v[12:13], v[12:13]
	v_mul_f64 v[10:11], v[14:15], v[14:15]
	;; [unrolled: 1-line block ×6, first 2 shown]
	v_add_f64 v[24:25], v[24:25], v[24:25]
	v_add_f64 v[26:27], v[26:27], v[26:27]
	v_mul_f64 v[20:21], v[18:19], v[28:29]
	v_mul_f64 v[18:19], v[32:33], v[30:31]
	;; [unrolled: 1-line block ×6, first 2 shown]
	s_mov_b64 s[20:21], 0
.LBB55_11:                              ; =>This Inner Loop Header: Depth=1
	v_cmp_nlt_f64_e32 vcc, v[8:9], v[10:11]
	v_cndmask_b32_e32 v33, v9, v11, vcc
	v_cndmask_b32_e32 v32, v8, v10, vcc
	v_cmp_nlt_f64_e64 s[6:7], v[32:33], v[16:17]
	v_cndmask_b32_e64 v35, v33, v17, s[6:7]
	v_cndmask_b32_e64 v34, v32, v16, s[6:7]
	v_cndmask_b32_e32 v9, v11, v9, vcc
	v_cndmask_b32_e32 v8, v10, v8, vcc
	s_and_b64 s[22:23], vcc, s[6:7]
	v_cmp_nlt_f64_e32 vcc, v[34:35], v[14:15]
	v_cndmask_b32_e64 v11, v17, v33, s[6:7]
	v_cndmask_b32_e64 v10, v16, v32, s[6:7]
	v_cndmask_b32_e32 v33, v35, v15, vcc
	v_cndmask_b32_e32 v32, v34, v14, vcc
	v_cmp_nlt_f64_e64 s[6:7], v[32:33], v[22:23]
	v_cndmask_b32_e32 v17, v15, v35, vcc
	v_cndmask_b32_e32 v16, v14, v34, vcc
	v_cndmask_b32_e64 v35, v33, v23, s[6:7]
	v_cndmask_b32_e64 v34, v32, v22, s[6:7]
	s_and_b64 s[24:25], vcc, s[6:7]
	v_cmp_nlt_f64_e32 vcc, v[34:35], v[12:13]
	v_cndmask_b32_e64 v15, v23, v33, s[6:7]
	v_cndmask_b32_e64 v14, v22, v32, s[6:7]
	v_cndmask_b32_e32 v33, v35, v13, vcc
	v_cndmask_b32_e32 v32, v34, v12, vcc
	v_cmp_nlt_f64_e64 s[6:7], v[32:33], v[20:21]
	v_cndmask_b32_e32 v23, v13, v35, vcc
	v_cndmask_b32_e32 v22, v12, v34, vcc
	v_cndmask_b32_e64 v35, v33, v21, s[6:7]
	v_cndmask_b32_e64 v34, v32, v20, s[6:7]
	;; [unrolled: 1-line block ×4, first 2 shown]
	s_and_b64 s[6:7], vcc, s[6:7]
	v_cmp_nlt_f64_e32 vcc, v[34:35], v[18:19]
	v_cndmask_b32_e32 v33, v35, v19, vcc
	v_cndmask_b32_e32 v32, v34, v18, vcc
	v_cndmask_b32_e32 v21, v19, v35, vcc
	v_cndmask_b32_e32 v20, v18, v34, vcc
	s_and_b64 s[6:7], s[6:7], vcc
	v_cmp_nlt_f64_e32 vcc, v[32:33], v[24:25]
	v_cndmask_b32_e32 v35, v33, v25, vcc
	v_cndmask_b32_e32 v34, v32, v24, vcc
	v_cndmask_b32_e32 v19, v25, v33, vcc
	v_cndmask_b32_e32 v18, v24, v32, vcc
	s_and_b64 s[6:7], s[6:7], vcc
	;; [unrolled: 6-line block ×4, first 2 shown]
	v_cmp_nlt_f64_e32 vcc, v[34:35], v[30:31]
	s_and_b64 s[6:7], s[6:7], vcc
	s_and_b64 s[6:7], s[6:7], s[24:25]
	s_and_b64 s[6:7], s[6:7], s[22:23]
	v_cndmask_b32_e32 v33, v35, v31, vcc
	v_cndmask_b32_e32 v32, v34, v30, vcc
	s_and_b64 s[6:7], exec, s[6:7]
	v_cndmask_b32_e32 v29, v31, v35, vcc
	v_cndmask_b32_e32 v28, v30, v34, vcc
	s_or_b64 s[20:21], s[6:7], s[20:21]
	v_pk_mov_b32 v[30:31], v[32:33], v[32:33] op_sel:[0,1]
	s_andn2_b64 exec, exec, s[20:21]
	s_cbranch_execnz .LBB55_11
; %bb.12:
	s_or_b64 exec, exec, s[20:21]
	v_add_f64 v[8:9], v[8:9], -1.0
	v_add_f64 v[8:9], v[8:9], v[10:11]
	v_add_f64 v[8:9], v[8:9], v[16:17]
	;; [unrolled: 1-line block ×11, first 2 shown]
	v_add_f64 v[8:9], v[10:11], 1.0
	v_add_f64 v[12:13], v[8:9], -1.0
	v_add_f64 v[14:15], v[12:13], -v[8:9]
	v_add_f64 v[14:15], v[14:15], 1.0
	v_add_f64 v[12:13], v[10:11], -v[12:13]
	s_mov_b32 s6, 0x55555555
	v_add_f64 v[12:13], v[12:13], v[14:15]
	v_frexp_mant_f64_e32 v[14:15], v[8:9]
	s_mov_b32 s7, 0x3fe55555
	v_frexp_exp_i32_f64_e32 v16, v[8:9]
	v_cmp_gt_f64_e32 vcc, s[6:7], v[14:15]
	v_subbrev_co_u32_e32 v30, vcc, 0, v16, vcc
	v_sub_u32_e32 v14, 0, v30
	v_ldexp_f64 v[8:9], v[8:9], v14
	v_ldexp_f64 v[12:13], v[12:13], v14
	v_add_f64 v[14:15], v[8:9], -1.0
	v_add_f64 v[20:21], v[8:9], 1.0
	v_add_f64 v[16:17], v[14:15], 1.0
	v_add_f64 v[22:23], v[20:21], -1.0
	v_add_f64 v[16:17], v[8:9], -v[16:17]
	v_add_f64 v[8:9], v[8:9], -v[22:23]
	v_add_f64 v[8:9], v[12:13], v[8:9]
	v_add_f64 v[16:17], v[12:13], v[16:17]
	;; [unrolled: 1-line block ×3, first 2 shown]
	v_rcp_f64_e32 v[22:23], v[12:13]
	v_add_f64 v[18:19], v[14:15], v[16:17]
	v_add_f64 v[14:15], v[18:19], -v[14:15]
	v_add_f64 v[14:15], v[16:17], -v[14:15]
	;; [unrolled: 1-line block ×4, first 2 shown]
	v_fma_f64 v[16:17], -v[12:13], v[22:23], 1.0
	v_fmac_f64_e32 v[22:23], v[16:17], v[22:23]
	v_fma_f64 v[16:17], -v[12:13], v[22:23], 1.0
	v_fmac_f64_e32 v[22:23], v[16:17], v[22:23]
	v_mul_f64 v[16:17], v[18:19], v[22:23]
	v_mul_f64 v[20:21], v[12:13], v[16:17]
	v_fma_f64 v[24:25], v[16:17], v[12:13], -v[20:21]
	v_fmac_f64_e32 v[24:25], v[16:17], v[8:9]
	v_add_f64 v[26:27], v[20:21], v[24:25]
	v_add_f64 v[28:29], v[18:19], -v[26:27]
	v_add_f64 v[18:19], v[18:19], -v[28:29]
	v_add_f64 v[20:21], v[26:27], -v[20:21]
	v_add_f64 v[18:19], v[18:19], -v[26:27]
	v_add_f64 v[14:15], v[14:15], v[18:19]
	v_add_f64 v[18:19], v[20:21], -v[24:25]
	v_add_f64 v[14:15], v[18:19], v[14:15]
	v_add_f64 v[18:19], v[28:29], v[14:15]
	v_add_f64 v[20:21], v[28:29], -v[18:19]
	v_add_f64 v[14:15], v[14:15], v[20:21]
	v_mul_f64 v[20:21], v[22:23], v[18:19]
	v_mul_f64 v[24:25], v[12:13], v[20:21]
	v_fma_f64 v[12:13], v[20:21], v[12:13], -v[24:25]
	v_fmac_f64_e32 v[12:13], v[20:21], v[8:9]
	v_add_f64 v[8:9], v[24:25], v[12:13]
	v_add_f64 v[26:27], v[18:19], -v[8:9]
	v_add_f64 v[18:19], v[18:19], -v[26:27]
	;; [unrolled: 1-line block ×4, first 2 shown]
	v_add_f64 v[8:9], v[14:15], v[8:9]
	v_add_f64 v[12:13], v[24:25], -v[12:13]
	v_add_f64 v[8:9], v[12:13], v[8:9]
	v_add_f64 v[12:13], v[16:17], v[20:21]
	;; [unrolled: 1-line block ×3, first 2 shown]
	v_add_f64 v[14:15], v[12:13], -v[16:17]
	v_mul_f64 v[8:9], v[22:23], v[8:9]
	v_add_f64 v[14:15], v[20:21], -v[14:15]
	v_add_f64 v[8:9], v[14:15], v[8:9]
	v_add_f64 v[14:15], v[12:13], v[8:9]
	v_add_f64 v[12:13], v[14:15], -v[12:13]
	s_mov_b32 s6, 0xbf559e2b
	v_add_f64 v[8:9], v[8:9], -v[12:13]
	v_mul_f64 v[12:13], v[14:15], v[14:15]
	v_mov_b32_e32 v16, 0x6b47b09a
	v_mov_b32_e32 v17, 0x3fc38538
	s_mov_b32 s7, 0x3fc3ab76
	v_fmac_f64_e32 v[16:17], s[6:7], v[12:13]
	v_mov_b32_e32 v18, 0xd7f4df2e
	v_mov_b32_e32 v19, 0x3fc7474d
	v_fmac_f64_e32 v[18:19], v[12:13], v[16:17]
	v_mov_b32_e32 v16, 0x16291751
	v_mov_b32_e32 v17, 0x3fcc71c0
	;; [unrolled: 3-line block ×5, first 2 shown]
	s_mov_b32 s6, 0xfefa39ef
	v_fmac_f64_e32 v[18:19], v[12:13], v[16:17]
	v_cvt_f64_i32_e32 v[16:17], v30
	s_mov_b32 s7, 0x3fe62e42
	v_mul_f64 v[20:21], v[16:17], s[6:7]
	v_fma_f64 v[22:23], v[16:17], s[6:7], -v[20:21]
	s_mov_b32 s6, 0x3b39803f
	s_mov_b32 s7, 0x3c7abc9e
	v_fmac_f64_e32 v[22:23], s[6:7], v[16:17]
	v_add_f64 v[16:17], v[20:21], v[22:23]
	v_add_f64 v[20:21], v[16:17], -v[20:21]
	v_mul_f64 v[12:13], v[14:15], v[12:13]
	v_add_f64 v[20:21], v[22:23], -v[20:21]
	v_ldexp_f64 v[22:23], v[14:15], 1
	v_mul_f64 v[12:13], v[12:13], v[18:19]
	v_add_f64 v[14:15], v[22:23], v[12:13]
	v_add_f64 v[18:19], v[14:15], -v[22:23]
	v_ldexp_f64 v[8:9], v[8:9], 1
	v_add_f64 v[12:13], v[12:13], -v[18:19]
	v_add_f64 v[8:9], v[8:9], v[12:13]
	v_add_f64 v[12:13], v[14:15], v[8:9]
	v_add_f64 v[14:15], v[12:13], -v[14:15]
	v_add_f64 v[8:9], v[8:9], -v[14:15]
	v_add_f64 v[14:15], v[16:17], v[12:13]
	v_add_f64 v[18:19], v[14:15], -v[16:17]
	v_add_f64 v[22:23], v[14:15], -v[18:19]
	;; [unrolled: 1-line block ×4, first 2 shown]
	v_add_f64 v[12:13], v[12:13], v[16:17]
	v_add_f64 v[16:17], v[20:21], v[8:9]
	v_add_f64 v[18:19], v[16:17], -v[20:21]
	v_add_f64 v[12:13], v[16:17], v[12:13]
	v_add_f64 v[22:23], v[16:17], -v[18:19]
	;; [unrolled: 2-line block ×3, first 2 shown]
	v_add_f64 v[8:9], v[8:9], -v[18:19]
	v_add_f64 v[14:15], v[16:17], -v[14:15]
	v_add_f64 v[8:9], v[8:9], v[20:21]
	v_add_f64 v[12:13], v[12:13], -v[14:15]
	s_mov_b32 s6, 0
	v_add_f64 v[8:9], v[8:9], v[12:13]
	s_mov_b32 s7, 0x7ff00000
	v_add_f64 v[8:9], v[16:17], v[8:9]
	v_cmp_eq_f64_e32 vcc, s[6:7], v[10:11]
	v_cndmask_b32_e32 v9, v9, v11, vcc
	v_cndmask_b32_e32 v8, v8, v10, vcc
	v_mul_f64 v[8:9], v[8:9], 0.5
	v_mov_b32_e32 v12, 0x7ff80000
	v_cmp_ngt_f64_e32 vcc, -1.0, v[10:11]
	v_cndmask_b32_e32 v9, v12, v9, vcc
	v_max_f64 v[12:13], |v[2:3]|, |v[2:3]|
	v_max_f64 v[14:15], |v[0:1]|, |v[0:1]|
	v_max_f64 v[16:17], v[14:15], v[12:13]
	v_min_f64 v[12:13], v[14:15], v[12:13]
	v_div_scale_f64 v[14:15], s[6:7], v[16:17], v[16:17], v[12:13]
	v_rcp_f64_e32 v[18:19], v[14:15]
	v_cmp_nge_f64_e32 vcc, -1.0, v[10:11]
	v_cndmask_b32_e32 v8, 0, v8, vcc
	v_cmp_neq_f64_e32 vcc, -1.0, v[10:11]
	v_fma_f64 v[10:11], -v[14:15], v[18:19], 1.0
	v_fmac_f64_e32 v[18:19], v[18:19], v[10:11]
	v_mov_b32_e32 v20, 0xfff00000
	v_fma_f64 v[10:11], -v[14:15], v[18:19], 1.0
	v_cndmask_b32_e32 v9, v20, v9, vcc
	v_fmac_f64_e32 v[18:19], v[18:19], v[10:11]
	v_div_scale_f64 v[10:11], vcc, v[12:13], v[16:17], v[12:13]
	v_mul_f64 v[20:21], v[10:11], v[18:19]
	v_fma_f64 v[10:11], -v[14:15], v[20:21], v[10:11]
	s_mov_b32 s6, 0xb5e68a13
	s_nop 0
	v_div_fmas_f64 v[10:11], v[10:11], v[18:19], v[20:21]
	v_div_fixup_f64 v[10:11], v[10:11], v[16:17], v[12:13]
	v_mul_f64 v[12:13], v[10:11], v[10:11]
	v_mov_b32_e32 v14, 0xbd3237f4
	v_mov_b32_e32 v15, 0xbf23e260
	s_mov_b32 s7, 0x3eeba404
	v_fmac_f64_e32 v[14:15], s[6:7], v[12:13]
	v_mov_b32_e32 v16, 0x69efb384
	v_mov_b32_e32 v17, 0x3f4b2bb0
	v_fmac_f64_e32 v[16:17], v[12:13], v[14:15]
	v_mov_b32_e32 v14, 0xaf56de9b
	v_mov_b32_e32 v15, 0xbf67952d
	;; [unrolled: 3-line block ×18, first 2 shown]
	v_fmac_f64_e32 v[14:15], v[12:13], v[16:17]
	v_mul_f64 v[12:13], v[12:13], v[14:15]
	s_movk_i32 s20, 0x204
	v_fmac_f64_e32 v[10:11], v[10:11], v[12:13]
	v_cmp_class_f64_e64 s[6:7], v[2:3], s20
	v_cmp_class_f64_e64 s[20:21], v[0:1], s20
	v_mov_b32_e32 v0, 0x54442d18
	v_mov_b32_e32 v12, 0x7f3321d2
	v_cmp_gt_i32_e32 vcc, 0, v1
	v_cndmask_b32_e32 v12, v0, v12, vcc
	v_mov_b32_e32 v0, 0x3fe921fb
	v_mov_b32_e32 v13, 0x4002d97c
	v_cndmask_b32_e32 v0, v0, v13, vcc
	s_brev_b32 s23, -2
	s_mov_b32 s22, 0x54442d18
	v_bfi_b32 v13, s23, v0, v3
	v_ashrrev_i32_e32 v0, 31, v1
	s_mov_b32 s23, 0x3ff921fb
	s_mov_b32 s24, 0x400921fb
	v_and_b32_e32 v14, 0x400921fb, v0
	v_and_b32_e32 v15, 0x54442d18, v0
	v_add_f64 v[0:1], -v[10:11], s[22:23]
	v_cndmask_b32_e64 v1, v11, v1, s[4:5]
	v_cndmask_b32_e64 v0, v10, v0, s[4:5]
	s_mov_b32 s23, s24
	v_add_f64 v[10:11], -v[0:1], s[22:23]
	v_cndmask_b32_e32 v1, v1, v11, vcc
	v_cndmask_b32_e32 v0, v0, v10, vcc
	v_cmp_eq_f64_e32 vcc, 0, v[2:3]
	v_cndmask_b32_e32 v0, v0, v15, vcc
	v_cndmask_b32_e32 v1, v1, v14, vcc
	s_and_b64 vcc, s[20:21], s[6:7]
	v_cndmask_b32_e32 v13, v1, v13, vcc
	v_cndmask_b32_e32 v12, v0, v12, vcc
.LBB55_13:
	s_or_b64 exec, exec, s[18:19]
.LBB55_14:
	s_or_b64 exec, exec, s[16:17]
                                        ; implicit-def: $vgpr0_vgpr1
.LBB55_15:
	s_andn2_saveexec_b64 s[14:15], s[14:15]
	s_cbranch_execz .LBB55_17
; %bb.16:
	v_max_f64 v[12:13], |v[2:3]|, |v[2:3]|
	v_max_f64 v[14:15], |v[0:1]|, |v[0:1]|
	v_max_f64 v[10:11], v[14:15], v[12:13]
	v_frexp_exp_i32_f64_e32 v22, v[10:11]
	v_sub_u32_e32 v16, 0, v22
	v_ldexp_f64 v[8:9], |v[0:1]|, v16
	v_ldexp_f64 v[16:17], |v[2:3]|, v16
	v_mul_f64 v[16:17], v[16:17], v[16:17]
	v_fmac_f64_e32 v[16:17], v[8:9], v[8:9]
	v_rsq_f64_e32 v[8:9], v[16:17]
	v_cmp_eq_f64_e32 vcc, 0, v[16:17]
	s_movk_i32 s20, 0x204
	v_cmp_class_f64_e64 s[16:17], v[0:1], s20
	v_mul_f64 v[18:19], v[16:17], v[8:9]
	v_mul_f64 v[8:9], v[8:9], 0.5
	v_fma_f64 v[20:21], -v[8:9], v[18:19], 0.5
	v_fmac_f64_e32 v[18:19], v[18:19], v[20:21]
	v_fmac_f64_e32 v[8:9], v[8:9], v[20:21]
	v_fma_f64 v[20:21], -v[18:19], v[18:19], v[16:17]
	v_fmac_f64_e32 v[18:19], v[20:21], v[8:9]
	v_cndmask_b32_e32 v9, v19, v17, vcc
	v_cndmask_b32_e32 v8, v18, v16, vcc
	v_cmp_class_f64_e64 s[18:19], v[2:3], s20
	v_ldexp_f64 v[8:9], v[8:9], v22
	v_mov_b32_e32 v0, 0x7ff00000
	s_or_b64 vcc, s[16:17], s[18:19]
	v_cndmask_b32_e32 v17, v9, v0, vcc
	v_cndmask_b32_e64 v16, v8, 0, vcc
	s_mov_b32 s6, 0x55555555
	v_frexp_mant_f64_e32 v[20:21], v[16:17]
	s_mov_b32 s7, 0x3fe55555
	v_mov_b32_e32 v19, 0x3ff00000
	v_cmp_gt_f64_e64 s[6:7], s[6:7], v[20:21]
	v_mov_b32_e32 v18, 0
	v_cndmask_b32_e64 v19, v19, 2.0, s[6:7]
	v_mul_f64 v[18:19], v[20:21], v[18:19]
	v_frexp_exp_i32_f64_e32 v22, v[16:17]
	v_add_f64 v[20:21], v[18:19], 1.0
	v_subbrev_co_u32_e64 v32, s[6:7], 0, v22, s[6:7]
	v_rcp_f64_e32 v[22:23], v[20:21]
	v_add_f64 v[26:27], v[20:21], -1.0
	v_add_f64 v[24:25], v[18:19], -1.0
	v_add_f64 v[18:19], v[18:19], -v[26:27]
	v_fma_f64 v[26:27], -v[20:21], v[22:23], 1.0
	v_fmac_f64_e32 v[22:23], v[26:27], v[22:23]
	v_fma_f64 v[26:27], -v[20:21], v[22:23], 1.0
	v_fmac_f64_e32 v[22:23], v[26:27], v[22:23]
	v_mul_f64 v[26:27], v[24:25], v[22:23]
	v_mul_f64 v[28:29], v[20:21], v[26:27]
	v_fma_f64 v[20:21], v[26:27], v[20:21], -v[28:29]
	v_fmac_f64_e32 v[20:21], v[26:27], v[18:19]
	v_add_f64 v[18:19], v[28:29], v[20:21]
	v_add_f64 v[30:31], v[24:25], -v[18:19]
	v_add_f64 v[28:29], v[18:19], -v[28:29]
	;; [unrolled: 1-line block ×5, first 2 shown]
	v_add_f64 v[18:19], v[20:21], v[18:19]
	v_add_f64 v[18:19], v[30:31], v[18:19]
	v_mul_f64 v[18:19], v[22:23], v[18:19]
	v_add_f64 v[20:21], v[26:27], v[18:19]
	v_add_f64 v[22:23], v[20:21], -v[26:27]
	s_mov_b32 s6, 0xbf559e2b
	v_add_f64 v[18:19], v[18:19], -v[22:23]
	v_mul_f64 v[22:23], v[20:21], v[20:21]
	v_mov_b32_e32 v24, 0x6b47b09a
	v_mov_b32_e32 v25, 0x3fc38538
	s_mov_b32 s7, 0x3fc3ab76
	v_fmac_f64_e32 v[24:25], s[6:7], v[22:23]
	v_mov_b32_e32 v26, 0xd7f4df2e
	v_mov_b32_e32 v27, 0x3fc7474d
	v_fmac_f64_e32 v[26:27], v[22:23], v[24:25]
	v_mov_b32_e32 v24, 0x16291751
	v_mov_b32_e32 v25, 0x3fcc71c0
	;; [unrolled: 3-line block ×5, first 2 shown]
	v_fmac_f64_e32 v[26:27], v[22:23], v[24:25]
	v_ldexp_f64 v[24:25], v[20:21], 1
	v_mul_f64 v[20:21], v[20:21], v[22:23]
	v_mul_f64 v[20:21], v[20:21], v[26:27]
	v_add_f64 v[22:23], v[24:25], v[20:21]
	v_add_f64 v[24:25], v[22:23], -v[24:25]
	v_ldexp_f64 v[18:19], v[18:19], 1
	v_add_f64 v[20:21], v[20:21], -v[24:25]
	v_add_f64 v[18:19], v[18:19], v[20:21]
	v_add_f64 v[20:21], v[22:23], v[18:19]
	v_add_f64 v[22:23], v[20:21], -v[22:23]
	s_mov_b32 s6, 0xfefa39ef
	v_add_f64 v[18:19], v[18:19], -v[22:23]
	v_cvt_f64_i32_e32 v[22:23], v32
	s_mov_b32 s7, 0x3fe62e42
	v_mul_f64 v[24:25], v[22:23], s[6:7]
	v_fma_f64 v[26:27], v[22:23], s[6:7], -v[24:25]
	s_mov_b32 s6, 0x3b39803f
	s_mov_b32 s7, 0x3c7abc9e
	v_fmac_f64_e32 v[26:27], s[6:7], v[22:23]
	v_add_f64 v[22:23], v[24:25], v[26:27]
	v_add_f64 v[24:25], v[22:23], -v[24:25]
	v_add_f64 v[24:25], v[26:27], -v[24:25]
	v_add_f64 v[26:27], v[22:23], v[20:21]
	v_add_f64 v[28:29], v[26:27], -v[22:23]
	v_add_f64 v[30:31], v[26:27], -v[28:29]
	;; [unrolled: 1-line block ×4, first 2 shown]
	v_add_f64 v[20:21], v[20:21], v[22:23]
	v_add_f64 v[22:23], v[24:25], v[18:19]
	v_add_f64 v[28:29], v[22:23], -v[24:25]
	v_add_f64 v[30:31], v[22:23], -v[28:29]
	v_add_f64 v[20:21], v[22:23], v[20:21]
	v_add_f64 v[24:25], v[24:25], -v[30:31]
	v_add_f64 v[18:19], v[18:19], -v[28:29]
	v_add_f64 v[22:23], v[26:27], v[20:21]
	v_add_f64 v[18:19], v[18:19], v[24:25]
	v_add_f64 v[24:25], v[22:23], -v[26:27]
	v_add_f64 v[20:21], v[20:21], -v[24:25]
	v_add_f64 v[18:19], v[18:19], v[20:21]
	v_add_f64 v[18:19], v[22:23], v[18:19]
	v_cmp_class_f64_e64 s[6:7], v[8:9], s20
	v_min_f64 v[12:13], v[14:15], v[12:13]
	v_cndmask_b32_e64 v9, v19, v9, s[6:7]
	v_cndmask_b32_e64 v8, v18, v8, s[6:7]
	v_div_scale_f64 v[14:15], s[6:7], v[10:11], v[10:11], v[12:13]
	v_rcp_f64_e32 v[18:19], v[14:15]
	v_cndmask_b32_e64 v8, v8, 0, vcc
	v_cndmask_b32_e32 v0, v9, v0, vcc
	v_mov_b32_e32 v9, 0x7ff80000
	v_cmp_ngt_f64_e32 vcc, 0, v[16:17]
	v_cndmask_b32_e32 v0, v9, v0, vcc
	v_cmp_nge_f64_e32 vcc, 0, v[16:17]
	v_cndmask_b32_e32 v8, 0, v8, vcc
	v_cmp_neq_f64_e32 vcc, 0, v[16:17]
	v_fma_f64 v[16:17], -v[14:15], v[18:19], 1.0
	v_fmac_f64_e32 v[18:19], v[18:19], v[16:17]
	v_mov_b32_e32 v9, 0xfff00000
	v_fma_f64 v[16:17], -v[14:15], v[18:19], 1.0
	v_cndmask_b32_e32 v9, v9, v0, vcc
	v_fmac_f64_e32 v[18:19], v[18:19], v[16:17]
	v_div_scale_f64 v[16:17], vcc, v[12:13], v[10:11], v[12:13]
	v_mul_f64 v[20:21], v[16:17], v[18:19]
	v_fma_f64 v[14:15], -v[14:15], v[20:21], v[16:17]
	s_mov_b32 s6, 0xb5e68a13
	s_nop 0
	v_div_fmas_f64 v[14:15], v[14:15], v[18:19], v[20:21]
	v_div_fixup_f64 v[10:11], v[14:15], v[10:11], v[12:13]
	v_mul_f64 v[12:13], v[10:11], v[10:11]
	v_mov_b32_e32 v14, 0xbd3237f4
	v_mov_b32_e32 v15, 0xbf23e260
	s_mov_b32 s7, 0x3eeba404
	v_fmac_f64_e32 v[14:15], s[6:7], v[12:13]
	v_mov_b32_e32 v16, 0x69efb384
	v_mov_b32_e32 v17, 0x3f4b2bb0
	v_fmac_f64_e32 v[16:17], v[12:13], v[14:15]
	v_mov_b32_e32 v14, 0xaf56de9b
	v_mov_b32_e32 v15, 0xbf67952d
	;; [unrolled: 3-line block ×18, first 2 shown]
	v_fmac_f64_e32 v[14:15], v[12:13], v[16:17]
	v_mul_f64 v[12:13], v[12:13], v[14:15]
	v_fmac_f64_e32 v[10:11], v[10:11], v[12:13]
	v_mov_b32_e32 v0, 0x54442d18
	v_mov_b32_e32 v12, 0x7f3321d2
	v_cmp_gt_i32_e32 vcc, 0, v1
	v_cndmask_b32_e32 v12, v0, v12, vcc
	v_mov_b32_e32 v0, 0x3fe921fb
	v_mov_b32_e32 v13, 0x4002d97c
	v_cndmask_b32_e32 v0, v0, v13, vcc
	s_brev_b32 s7, -2
	s_mov_b32 s6, 0x54442d18
	v_bfi_b32 v13, s7, v0, v3
	v_ashrrev_i32_e32 v0, 31, v1
	s_mov_b32 s7, 0x3ff921fb
	s_mov_b32 s20, 0x400921fb
	v_and_b32_e32 v14, 0x400921fb, v0
	v_and_b32_e32 v15, 0x54442d18, v0
	v_add_f64 v[0:1], -v[10:11], s[6:7]
	v_cndmask_b32_e64 v1, v11, v1, s[4:5]
	v_cndmask_b32_e64 v0, v10, v0, s[4:5]
	s_mov_b32 s7, s20
	v_add_f64 v[10:11], -v[0:1], s[6:7]
	v_cndmask_b32_e32 v1, v1, v11, vcc
	v_cndmask_b32_e32 v0, v0, v10, vcc
	v_cmp_eq_f64_e32 vcc, 0, v[2:3]
	v_cndmask_b32_e32 v0, v0, v15, vcc
	v_cndmask_b32_e32 v1, v1, v14, vcc
	s_and_b64 vcc, s[16:17], s[18:19]
	v_cndmask_b32_e32 v13, v1, v13, vcc
	v_cndmask_b32_e32 v12, v0, v12, vcc
.LBB55_17:
	s_or_b64 exec, exec, s[14:15]
                                        ; implicit-def: $vgpr10_vgpr11
                                        ; implicit-def: $vgpr0_vgpr1
.LBB55_18:
	s_andn2_saveexec_b64 s[6:7], s[12:13]
	s_cbranch_execz .LBB55_24
; %bb.19:
	s_mov_b32 s12, 0x6a3f9475
	s_mov_b32 s13, 0x20ca2fe7
	v_cmp_ngt_f64_e32 vcc, s[12:13], v[10:11]
                                        ; implicit-def: $vgpr8_vgpr9
                                        ; implicit-def: $vgpr12_vgpr13
	s_and_saveexec_b64 s[12:13], vcc
	s_xor_b64 s[12:13], exec, s[12:13]
	s_cbranch_execz .LBB55_21
; %bb.20:
	v_mul_f64 v[8:9], v[10:11], v[10:11]
	v_add_f64 v[10:11], v[8:9], 1.0
	v_add_f64 v[12:13], v[10:11], -1.0
	v_add_f64 v[14:15], v[12:13], -v[10:11]
	v_add_f64 v[14:15], v[14:15], 1.0
	v_add_f64 v[12:13], v[8:9], -v[12:13]
	s_mov_b32 s14, 0x55555555
	v_add_f64 v[12:13], v[12:13], v[14:15]
	v_frexp_mant_f64_e32 v[14:15], v[10:11]
	s_mov_b32 s15, 0x3fe55555
	v_frexp_exp_i32_f64_e32 v16, v[10:11]
	v_cmp_gt_f64_e32 vcc, s[14:15], v[14:15]
	v_subbrev_co_u32_e32 v30, vcc, 0, v16, vcc
	v_sub_u32_e32 v14, 0, v30
	v_ldexp_f64 v[10:11], v[10:11], v14
	v_ldexp_f64 v[12:13], v[12:13], v14
	v_add_f64 v[14:15], v[10:11], -1.0
	v_add_f64 v[20:21], v[10:11], 1.0
	v_add_f64 v[16:17], v[14:15], 1.0
	v_add_f64 v[22:23], v[20:21], -1.0
	v_add_f64 v[16:17], v[10:11], -v[16:17]
	v_add_f64 v[10:11], v[10:11], -v[22:23]
	v_add_f64 v[10:11], v[12:13], v[10:11]
	v_add_f64 v[16:17], v[12:13], v[16:17]
	;; [unrolled: 1-line block ×3, first 2 shown]
	v_rcp_f64_e32 v[22:23], v[12:13]
	v_add_f64 v[18:19], v[14:15], v[16:17]
	v_add_f64 v[14:15], v[14:15], -v[18:19]
	v_add_f64 v[14:15], v[16:17], v[14:15]
	v_add_f64 v[16:17], v[20:21], -v[12:13]
	v_add_f64 v[10:11], v[10:11], v[16:17]
	v_fma_f64 v[16:17], -v[12:13], v[22:23], 1.0
	v_fmac_f64_e32 v[22:23], v[16:17], v[22:23]
	v_fma_f64 v[16:17], -v[12:13], v[22:23], 1.0
	v_fmac_f64_e32 v[22:23], v[16:17], v[22:23]
	v_mul_f64 v[16:17], v[18:19], v[22:23]
	v_mul_f64 v[20:21], v[12:13], v[16:17]
	v_fma_f64 v[24:25], v[16:17], v[12:13], -v[20:21]
	v_fmac_f64_e32 v[24:25], v[16:17], v[10:11]
	v_add_f64 v[26:27], v[20:21], v[24:25]
	v_add_f64 v[28:29], v[18:19], -v[26:27]
	v_add_f64 v[18:19], v[18:19], -v[28:29]
	;; [unrolled: 1-line block ×4, first 2 shown]
	v_add_f64 v[14:15], v[14:15], v[18:19]
	v_add_f64 v[18:19], v[20:21], -v[24:25]
	v_add_f64 v[14:15], v[18:19], v[14:15]
	v_add_f64 v[18:19], v[28:29], v[14:15]
	v_add_f64 v[20:21], v[28:29], -v[18:19]
	v_add_f64 v[14:15], v[14:15], v[20:21]
	v_mul_f64 v[20:21], v[22:23], v[18:19]
	v_mul_f64 v[24:25], v[12:13], v[20:21]
	v_fma_f64 v[12:13], v[20:21], v[12:13], -v[24:25]
	v_fmac_f64_e32 v[12:13], v[20:21], v[10:11]
	v_add_f64 v[10:11], v[24:25], v[12:13]
	v_add_f64 v[26:27], v[18:19], -v[10:11]
	v_add_f64 v[18:19], v[18:19], -v[26:27]
	;; [unrolled: 1-line block ×4, first 2 shown]
	v_add_f64 v[10:11], v[14:15], v[10:11]
	v_add_f64 v[12:13], v[24:25], -v[12:13]
	v_add_f64 v[10:11], v[12:13], v[10:11]
	v_add_f64 v[12:13], v[16:17], v[20:21]
	;; [unrolled: 1-line block ×3, first 2 shown]
	v_add_f64 v[14:15], v[12:13], -v[16:17]
	v_mul_f64 v[10:11], v[22:23], v[10:11]
	v_add_f64 v[14:15], v[20:21], -v[14:15]
	v_add_f64 v[10:11], v[14:15], v[10:11]
	v_add_f64 v[14:15], v[12:13], v[10:11]
	v_add_f64 v[12:13], v[14:15], -v[12:13]
	s_mov_b32 s14, 0xbf559e2b
	v_add_f64 v[10:11], v[10:11], -v[12:13]
	v_mul_f64 v[12:13], v[14:15], v[14:15]
	v_mov_b32_e32 v16, 0x6b47b09a
	v_mov_b32_e32 v17, 0x3fc38538
	s_mov_b32 s15, 0x3fc3ab76
	v_fmac_f64_e32 v[16:17], s[14:15], v[12:13]
	v_mov_b32_e32 v18, 0xd7f4df2e
	v_mov_b32_e32 v19, 0x3fc7474d
	v_fmac_f64_e32 v[18:19], v[12:13], v[16:17]
	v_mov_b32_e32 v16, 0x16291751
	v_mov_b32_e32 v17, 0x3fcc71c0
	;; [unrolled: 3-line block ×5, first 2 shown]
	s_mov_b32 s14, 0xfefa39ef
	v_fmac_f64_e32 v[18:19], v[12:13], v[16:17]
	v_cvt_f64_i32_e32 v[16:17], v30
	s_mov_b32 s15, 0x3fe62e42
	v_mul_f64 v[20:21], v[16:17], s[14:15]
	v_fma_f64 v[22:23], v[16:17], s[14:15], -v[20:21]
	s_mov_b32 s14, 0x3b39803f
	s_mov_b32 s15, 0x3c7abc9e
	v_fmac_f64_e32 v[22:23], s[14:15], v[16:17]
	v_add_f64 v[16:17], v[20:21], v[22:23]
	v_add_f64 v[20:21], v[16:17], -v[20:21]
	v_mul_f64 v[12:13], v[14:15], v[12:13]
	v_add_f64 v[20:21], v[22:23], -v[20:21]
	v_ldexp_f64 v[22:23], v[14:15], 1
	v_mul_f64 v[12:13], v[12:13], v[18:19]
	v_add_f64 v[14:15], v[22:23], v[12:13]
	v_add_f64 v[18:19], v[14:15], -v[22:23]
	v_ldexp_f64 v[10:11], v[10:11], 1
	v_add_f64 v[12:13], v[12:13], -v[18:19]
	v_add_f64 v[10:11], v[10:11], v[12:13]
	v_add_f64 v[12:13], v[14:15], v[10:11]
	v_add_f64 v[14:15], v[12:13], -v[14:15]
	v_add_f64 v[10:11], v[10:11], -v[14:15]
	v_add_f64 v[14:15], v[16:17], v[12:13]
	v_add_f64 v[18:19], v[14:15], -v[16:17]
	v_add_f64 v[22:23], v[14:15], -v[18:19]
	;; [unrolled: 1-line block ×4, first 2 shown]
	v_add_f64 v[12:13], v[12:13], v[16:17]
	v_add_f64 v[16:17], v[20:21], v[10:11]
	v_add_f64 v[18:19], v[16:17], -v[20:21]
	v_add_f64 v[12:13], v[16:17], v[12:13]
	v_add_f64 v[22:23], v[16:17], -v[18:19]
	;; [unrolled: 2-line block ×3, first 2 shown]
	v_add_f64 v[10:11], v[10:11], -v[18:19]
	v_add_f64 v[14:15], v[16:17], -v[14:15]
	v_add_f64 v[10:11], v[10:11], v[20:21]
	v_add_f64 v[12:13], v[12:13], -v[14:15]
	v_add_f64 v[10:11], v[10:11], v[12:13]
	v_max_f64 v[12:13], |v[2:3]|, |v[2:3]|
	v_max_f64 v[14:15], |v[0:1]|, |v[0:1]|
	v_add_f64 v[10:11], v[16:17], v[10:11]
	v_max_f64 v[16:17], v[14:15], v[12:13]
	v_min_f64 v[12:13], v[14:15], v[12:13]
	v_div_scale_f64 v[14:15], s[16:17], v[16:17], v[16:17], v[12:13]
	v_rcp_f64_e32 v[18:19], v[14:15]
	s_mov_b32 s14, 0
	s_mov_b32 s15, 0x7ff00000
	v_cmp_eq_f64_e32 vcc, s[14:15], v[8:9]
	v_cndmask_b32_e32 v9, v11, v9, vcc
	v_cndmask_b32_e32 v8, v10, v8, vcc
	v_fma_f64 v[10:11], -v[14:15], v[18:19], 1.0
	v_fmac_f64_e32 v[18:19], v[18:19], v[10:11]
	v_fma_f64 v[10:11], -v[14:15], v[18:19], 1.0
	v_fmac_f64_e32 v[18:19], v[18:19], v[10:11]
	v_div_scale_f64 v[10:11], vcc, v[12:13], v[16:17], v[12:13]
	v_mul_f64 v[20:21], v[10:11], v[18:19]
	v_fma_f64 v[10:11], -v[14:15], v[20:21], v[10:11]
	s_mov_b32 s14, 0xb5e68a13
	s_nop 0
	v_div_fmas_f64 v[10:11], v[10:11], v[18:19], v[20:21]
	v_div_fixup_f64 v[10:11], v[10:11], v[16:17], v[12:13]
	v_mul_f64 v[12:13], v[10:11], v[10:11]
	v_mov_b32_e32 v14, 0xbd3237f4
	v_mov_b32_e32 v15, 0xbf23e260
	s_mov_b32 s15, 0x3eeba404
	v_fmac_f64_e32 v[14:15], s[14:15], v[12:13]
	v_mov_b32_e32 v16, 0x69efb384
	v_mov_b32_e32 v17, 0x3f4b2bb0
	v_fmac_f64_e32 v[16:17], v[12:13], v[14:15]
	v_mov_b32_e32 v14, 0xaf56de9b
	v_mov_b32_e32 v15, 0xbf67952d
	;; [unrolled: 3-line block ×18, first 2 shown]
	v_fmac_f64_e32 v[14:15], v[12:13], v[16:17]
	v_mul_f64 v[12:13], v[12:13], v[14:15]
	s_movk_i32 s16, 0x204
	v_fmac_f64_e32 v[10:11], v[10:11], v[12:13]
	v_cmp_class_f64_e64 s[14:15], v[2:3], s16
	v_cmp_class_f64_e64 s[16:17], v[0:1], s16
	v_mov_b32_e32 v0, 0x54442d18
	v_mov_b32_e32 v12, 0x7f3321d2
	v_cmp_gt_i32_e32 vcc, 0, v1
	v_cndmask_b32_e32 v12, v0, v12, vcc
	v_mov_b32_e32 v0, 0x3fe921fb
	v_mov_b32_e32 v13, 0x4002d97c
	v_cndmask_b32_e32 v0, v0, v13, vcc
	s_brev_b32 s19, -2
	s_mov_b32 s18, 0x54442d18
	v_bfi_b32 v13, s19, v0, v3
	v_ashrrev_i32_e32 v0, 31, v1
	s_mov_b32 s19, 0x3ff921fb
	s_mov_b32 s20, 0x400921fb
	v_and_b32_e32 v14, 0x400921fb, v0
	v_and_b32_e32 v15, 0x54442d18, v0
	v_add_f64 v[0:1], -v[10:11], s[18:19]
	v_cndmask_b32_e64 v1, v11, v1, s[4:5]
	v_cndmask_b32_e64 v0, v10, v0, s[4:5]
	s_mov_b32 s19, s20
	v_add_f64 v[10:11], -v[0:1], s[18:19]
	v_cndmask_b32_e32 v1, v1, v11, vcc
	v_cndmask_b32_e32 v0, v0, v10, vcc
	v_cmp_eq_f64_e32 vcc, 0, v[2:3]
	v_cndmask_b32_e32 v0, v0, v15, vcc
	v_cndmask_b32_e32 v1, v1, v14, vcc
	s_and_b64 vcc, s[16:17], s[14:15]
	v_mul_f64 v[8:9], v[8:9], 0.5
	v_cndmask_b32_e32 v13, v1, v13, vcc
	v_cndmask_b32_e32 v12, v0, v12, vcc
                                        ; implicit-def: $vgpr10_vgpr11
                                        ; implicit-def: $vgpr0_vgpr1
.LBB55_21:
	s_andn2_saveexec_b64 s[12:13], s[12:13]
	s_cbranch_execz .LBB55_23
; %bb.22:
	v_max_f64 v[8:9], |v[2:3]|, |v[2:3]|
	v_max_f64 v[12:13], |v[0:1]|, |v[0:1]|
	v_max_f64 v[14:15], v[12:13], v[8:9]
	v_min_f64 v[12:13], v[12:13], v[8:9]
	v_div_scale_f64 v[16:17], s[14:15], v[14:15], v[14:15], v[12:13]
	v_rcp_f64_e32 v[18:19], v[16:17]
	v_mul_f64 v[8:9], v[10:11], 0.5
	v_mul_f64 v[8:9], v[10:11], v[8:9]
	s_mov_b32 s14, 0xb5e68a13
	v_fma_f64 v[10:11], -v[16:17], v[18:19], 1.0
	v_fmac_f64_e32 v[18:19], v[18:19], v[10:11]
	v_fma_f64 v[10:11], -v[16:17], v[18:19], 1.0
	v_fmac_f64_e32 v[18:19], v[18:19], v[10:11]
	v_div_scale_f64 v[10:11], vcc, v[12:13], v[14:15], v[12:13]
	v_mul_f64 v[20:21], v[10:11], v[18:19]
	v_fma_f64 v[10:11], -v[16:17], v[20:21], v[10:11]
	s_mov_b32 s15, 0x3eeba404
	s_nop 0
	v_div_fmas_f64 v[10:11], v[10:11], v[18:19], v[20:21]
	v_div_fixup_f64 v[10:11], v[10:11], v[14:15], v[12:13]
	v_mul_f64 v[12:13], v[10:11], v[10:11]
	v_mov_b32_e32 v14, 0xbd3237f4
	v_mov_b32_e32 v15, 0xbf23e260
	v_fmac_f64_e32 v[14:15], s[14:15], v[12:13]
	v_mov_b32_e32 v16, 0x69efb384
	v_mov_b32_e32 v17, 0x3f4b2bb0
	v_fmac_f64_e32 v[16:17], v[12:13], v[14:15]
	;; [unrolled: 3-line block ×19, first 2 shown]
	v_mul_f64 v[12:13], v[12:13], v[14:15]
	s_movk_i32 s16, 0x204
	v_fmac_f64_e32 v[10:11], v[10:11], v[12:13]
	v_cmp_class_f64_e64 s[14:15], v[2:3], s16
	v_cmp_class_f64_e64 s[16:17], v[0:1], s16
	v_mov_b32_e32 v0, 0x54442d18
	v_mov_b32_e32 v12, 0x7f3321d2
	v_cmp_gt_i32_e32 vcc, 0, v1
	v_cndmask_b32_e32 v12, v0, v12, vcc
	v_mov_b32_e32 v0, 0x3fe921fb
	v_mov_b32_e32 v13, 0x4002d97c
	v_cndmask_b32_e32 v0, v0, v13, vcc
	s_brev_b32 s19, -2
	s_mov_b32 s18, 0x54442d18
	v_bfi_b32 v13, s19, v0, v3
	v_ashrrev_i32_e32 v0, 31, v1
	s_mov_b32 s19, 0x3ff921fb
	s_mov_b32 s20, 0x400921fb
	v_and_b32_e32 v14, 0x400921fb, v0
	v_and_b32_e32 v15, 0x54442d18, v0
	v_add_f64 v[0:1], -v[10:11], s[18:19]
	v_cndmask_b32_e64 v1, v11, v1, s[4:5]
	v_cndmask_b32_e64 v0, v10, v0, s[4:5]
	s_mov_b32 s19, s20
	v_add_f64 v[10:11], -v[0:1], s[18:19]
	v_cndmask_b32_e32 v1, v1, v11, vcc
	v_cndmask_b32_e32 v0, v0, v10, vcc
	v_cmp_eq_f64_e32 vcc, 0, v[2:3]
	v_cndmask_b32_e32 v0, v0, v15, vcc
	v_cndmask_b32_e32 v1, v1, v14, vcc
	s_and_b64 vcc, s[16:17], s[14:15]
	v_cndmask_b32_e32 v13, v1, v13, vcc
	v_cndmask_b32_e32 v12, v0, v12, vcc
.LBB55_23:
	s_or_b64 exec, exec, s[12:13]
.LBB55_24:
	s_or_b64 exec, exec, s[6:7]
                                        ; implicit-def: $vgpr0_vgpr1
.LBB55_25:
	s_andn2_saveexec_b64 s[12:13], s[8:9]
	s_cbranch_execz .LBB55_27
; %bb.26:
	s_mov_b32 s6, 0x8b145769
	s_mov_b32 s7, 0x4005bf0a
	v_div_scale_f64 v[8:9], s[8:9], s[6:7], s[6:7], v[0:1]
	v_rcp_f64_e32 v[10:11], v[8:9]
	s_movk_i32 s14, 0x204
	v_mov_b32_e32 v27, 0x7ff80000
	v_mov_b32_e32 v29, 0x7ff00000
	v_fma_f64 v[12:13], -v[8:9], v[10:11], 1.0
	v_fmac_f64_e32 v[10:11], v[10:11], v[12:13]
	v_fma_f64 v[12:13], -v[8:9], v[10:11], 1.0
	v_fmac_f64_e32 v[10:11], v[10:11], v[12:13]
	v_div_scale_f64 v[12:13], vcc, v[0:1], s[6:7], v[0:1]
	v_mul_f64 v[14:15], v[12:13], v[10:11]
	v_fma_f64 v[8:9], -v[8:9], v[14:15], v[12:13]
	v_div_scale_f64 v[12:13], s[8:9], s[6:7], s[6:7], v[2:3]
	v_rcp_f64_e32 v[16:17], v[12:13]
	v_div_fmas_f64 v[8:9], v[8:9], v[10:11], v[14:15]
	v_div_fixup_f64 v[10:11], v[8:9], s[6:7], v[0:1]
	s_brev_b32 s15, -2
	v_fma_f64 v[8:9], -v[12:13], v[16:17], 1.0
	v_fmac_f64_e32 v[16:17], v[16:17], v[8:9]
	v_fma_f64 v[8:9], -v[12:13], v[16:17], 1.0
	v_fmac_f64_e32 v[16:17], v[16:17], v[8:9]
	v_div_scale_f64 v[8:9], vcc, v[2:3], s[6:7], v[2:3]
	v_mul_f64 v[14:15], v[8:9], v[16:17]
	v_fma_f64 v[8:9], -v[12:13], v[14:15], v[8:9]
	s_mov_b32 s16, 0x400921fb
	s_nop 0
	v_div_fmas_f64 v[8:9], v[8:9], v[16:17], v[14:15]
	v_div_fixup_f64 v[12:13], v[8:9], s[6:7], v[2:3]
	v_max_f64 v[8:9], |v[10:11]|, |v[12:13]|
	v_frexp_exp_i32_f64_e32 v20, v[8:9]
	v_sub_u32_e32 v14, 0, v20
	v_ldexp_f64 v[8:9], |v[10:11]|, v14
	v_ldexp_f64 v[14:15], |v[12:13]|, v14
	v_mul_f64 v[14:15], v[14:15], v[14:15]
	v_fmac_f64_e32 v[14:15], v[8:9], v[8:9]
	v_rsq_f64_e32 v[8:9], v[14:15]
	v_cmp_eq_f64_e32 vcc, 0, v[14:15]
	v_cmp_class_f64_e64 s[6:7], v[10:11], s14
	v_cmp_class_f64_e64 s[8:9], v[12:13], s14
	v_mul_f64 v[16:17], v[14:15], v[8:9]
	v_mul_f64 v[8:9], v[8:9], 0.5
	v_fma_f64 v[18:19], -v[8:9], v[16:17], 0.5
	v_fmac_f64_e32 v[16:17], v[16:17], v[18:19]
	v_fmac_f64_e32 v[8:9], v[8:9], v[18:19]
	v_fma_f64 v[18:19], -v[16:17], v[16:17], v[14:15]
	v_fmac_f64_e32 v[16:17], v[18:19], v[8:9]
	v_cndmask_b32_e32 v9, v17, v15, vcc
	v_cndmask_b32_e32 v8, v16, v14, vcc
	v_ldexp_f64 v[8:9], v[8:9], v20
	v_cmp_o_f64_e32 vcc, v[10:11], v[12:13]
	v_cndmask_b32_e32 v26, 0, v8, vcc
	v_cndmask_b32_e32 v28, v27, v9, vcc
	s_or_b64 s[6:7], s[6:7], s[8:9]
	v_cndmask_b32_e64 v11, v28, v29, s[6:7]
	v_cndmask_b32_e64 v10, v26, 0, s[6:7]
	s_mov_b32 s8, 0x55555555
	v_frexp_mant_f64_e32 v[12:13], v[10:11]
	s_mov_b32 s9, 0x3fe55555
	v_mov_b32_e32 v15, 0x3ff00000
	v_cmp_gt_f64_e64 s[8:9], s[8:9], v[12:13]
	v_mov_b32_e32 v14, 0
	v_cndmask_b32_e64 v15, v15, 2.0, s[8:9]
	v_mul_f64 v[12:13], v[12:13], v[14:15]
	v_frexp_exp_i32_f64_e32 v16, v[10:11]
	v_add_f64 v[14:15], v[12:13], 1.0
	v_subbrev_co_u32_e64 v30, s[8:9], 0, v16, s[8:9]
	v_rcp_f64_e32 v[16:17], v[14:15]
	v_add_f64 v[20:21], v[14:15], -1.0
	v_add_f64 v[18:19], v[12:13], -1.0
	v_add_f64 v[12:13], v[12:13], -v[20:21]
	v_fma_f64 v[20:21], -v[14:15], v[16:17], 1.0
	v_fmac_f64_e32 v[16:17], v[20:21], v[16:17]
	v_fma_f64 v[20:21], -v[14:15], v[16:17], 1.0
	v_fmac_f64_e32 v[16:17], v[20:21], v[16:17]
	v_mul_f64 v[20:21], v[18:19], v[16:17]
	v_mul_f64 v[22:23], v[14:15], v[20:21]
	v_fma_f64 v[14:15], v[20:21], v[14:15], -v[22:23]
	v_fmac_f64_e32 v[14:15], v[20:21], v[12:13]
	v_add_f64 v[12:13], v[22:23], v[14:15]
	v_add_f64 v[24:25], v[18:19], -v[12:13]
	v_add_f64 v[22:23], v[12:13], -v[22:23]
	;; [unrolled: 1-line block ×5, first 2 shown]
	v_add_f64 v[12:13], v[14:15], v[12:13]
	v_add_f64 v[12:13], v[24:25], v[12:13]
	v_mul_f64 v[12:13], v[16:17], v[12:13]
	v_add_f64 v[14:15], v[20:21], v[12:13]
	v_add_f64 v[16:17], v[14:15], -v[20:21]
	s_mov_b32 s8, 0xbf559e2b
	v_add_f64 v[12:13], v[12:13], -v[16:17]
	v_mul_f64 v[16:17], v[14:15], v[14:15]
	v_mov_b32_e32 v18, 0x6b47b09a
	v_mov_b32_e32 v19, 0x3fc38538
	s_mov_b32 s9, 0x3fc3ab76
	v_fmac_f64_e32 v[18:19], s[8:9], v[16:17]
	v_mov_b32_e32 v20, 0xd7f4df2e
	v_mov_b32_e32 v21, 0x3fc7474d
	v_fmac_f64_e32 v[20:21], v[16:17], v[18:19]
	v_mov_b32_e32 v18, 0x16291751
	v_mov_b32_e32 v19, 0x3fcc71c0
	;; [unrolled: 3-line block ×5, first 2 shown]
	v_fmac_f64_e32 v[20:21], v[16:17], v[18:19]
	v_ldexp_f64 v[18:19], v[14:15], 1
	v_mul_f64 v[14:15], v[14:15], v[16:17]
	v_mul_f64 v[14:15], v[14:15], v[20:21]
	v_add_f64 v[16:17], v[18:19], v[14:15]
	v_add_f64 v[18:19], v[16:17], -v[18:19]
	v_ldexp_f64 v[12:13], v[12:13], 1
	v_add_f64 v[14:15], v[14:15], -v[18:19]
	v_add_f64 v[12:13], v[12:13], v[14:15]
	v_add_f64 v[14:15], v[16:17], v[12:13]
	v_add_f64 v[16:17], v[14:15], -v[16:17]
	s_mov_b32 s8, 0xfefa39ef
	v_add_f64 v[12:13], v[12:13], -v[16:17]
	v_cvt_f64_i32_e32 v[16:17], v30
	s_mov_b32 s9, 0x3fe62e42
	v_mul_f64 v[18:19], v[16:17], s[8:9]
	v_fma_f64 v[20:21], v[16:17], s[8:9], -v[18:19]
	s_mov_b32 s8, 0x3b39803f
	s_mov_b32 s9, 0x3c7abc9e
	v_fmac_f64_e32 v[20:21], s[8:9], v[16:17]
	v_add_f64 v[16:17], v[18:19], v[20:21]
	v_add_f64 v[18:19], v[16:17], -v[18:19]
	v_add_f64 v[18:19], v[20:21], -v[18:19]
	v_add_f64 v[20:21], v[16:17], v[14:15]
	v_add_f64 v[22:23], v[20:21], -v[16:17]
	v_add_f64 v[24:25], v[20:21], -v[22:23]
	;; [unrolled: 1-line block ×4, first 2 shown]
	v_add_f64 v[14:15], v[14:15], v[16:17]
	v_add_f64 v[16:17], v[18:19], v[12:13]
	v_add_f64 v[22:23], v[16:17], -v[18:19]
	v_add_f64 v[24:25], v[16:17], -v[22:23]
	v_add_f64 v[14:15], v[16:17], v[14:15]
	v_add_f64 v[18:19], v[18:19], -v[24:25]
	v_add_f64 v[12:13], v[12:13], -v[22:23]
	v_add_f64 v[16:17], v[20:21], v[14:15]
	v_add_f64 v[12:13], v[12:13], v[18:19]
	v_add_f64 v[18:19], v[16:17], -v[20:21]
	s_mov_b32 s8, 0
	v_add_f64 v[14:15], v[14:15], -v[18:19]
	v_and_b32_e32 v9, 0x7fffffff, v9
	s_mov_b32 s9, 0x7ff00000
	v_add_f64 v[12:13], v[12:13], v[14:15]
	v_cmp_eq_f64_e64 s[8:9], s[8:9], v[8:9]
	v_add_f64 v[12:13], v[16:17], v[12:13]
	s_and_b64 vcc, vcc, s[8:9]
	v_cndmask_b32_e32 v9, v13, v28, vcc
	v_cndmask_b32_e32 v8, v12, v26, vcc
	v_max_f64 v[12:13], |v[2:3]|, |v[2:3]|
	v_max_f64 v[14:15], |v[0:1]|, |v[0:1]|
	v_add_f64 v[8:9], v[8:9], 1.0
	v_max_f64 v[16:17], v[14:15], v[12:13]
	v_min_f64 v[12:13], v[14:15], v[12:13]
	v_cndmask_b32_e64 v8, v8, 0, s[6:7]
	v_cndmask_b32_e64 v9, v9, v29, s[6:7]
	v_div_scale_f64 v[14:15], s[6:7], v[16:17], v[16:17], v[12:13]
	v_rcp_f64_e32 v[18:19], v[14:15]
	v_cmp_ngt_f64_e32 vcc, 0, v[10:11]
	v_cndmask_b32_e32 v9, v27, v9, vcc
	v_cmp_nge_f64_e32 vcc, 0, v[10:11]
	v_cndmask_b32_e32 v8, 0, v8, vcc
	v_cmp_neq_f64_e32 vcc, 0, v[10:11]
	v_fma_f64 v[10:11], -v[14:15], v[18:19], 1.0
	v_fmac_f64_e32 v[18:19], v[18:19], v[10:11]
	v_mov_b32_e32 v20, 0xfff00000
	v_fma_f64 v[10:11], -v[14:15], v[18:19], 1.0
	v_cndmask_b32_e32 v9, v20, v9, vcc
	v_fmac_f64_e32 v[18:19], v[18:19], v[10:11]
	v_div_scale_f64 v[10:11], vcc, v[12:13], v[16:17], v[12:13]
	v_mul_f64 v[20:21], v[10:11], v[18:19]
	v_fma_f64 v[10:11], -v[14:15], v[20:21], v[10:11]
	s_mov_b32 s6, 0xb5e68a13
	s_nop 0
	v_div_fmas_f64 v[10:11], v[10:11], v[18:19], v[20:21]
	v_div_fixup_f64 v[10:11], v[10:11], v[16:17], v[12:13]
	v_mul_f64 v[12:13], v[10:11], v[10:11]
	v_mov_b32_e32 v14, 0xbd3237f4
	v_mov_b32_e32 v15, 0xbf23e260
	s_mov_b32 s7, 0x3eeba404
	v_fmac_f64_e32 v[14:15], s[6:7], v[12:13]
	v_mov_b32_e32 v16, 0x69efb384
	v_mov_b32_e32 v17, 0x3f4b2bb0
	v_fmac_f64_e32 v[16:17], v[12:13], v[14:15]
	v_mov_b32_e32 v14, 0xaf56de9b
	v_mov_b32_e32 v15, 0xbf67952d
	;; [unrolled: 3-line block ×18, first 2 shown]
	v_fmac_f64_e32 v[14:15], v[12:13], v[16:17]
	v_mul_f64 v[12:13], v[12:13], v[14:15]
	v_fmac_f64_e32 v[10:11], v[10:11], v[12:13]
	v_cmp_class_f64_e64 s[8:9], v[0:1], s14
	v_mov_b32_e32 v0, 0x54442d18
	v_mov_b32_e32 v12, 0x7f3321d2
	v_cmp_gt_i32_e32 vcc, 0, v1
	v_cndmask_b32_e32 v12, v0, v12, vcc
	v_mov_b32_e32 v0, 0x3fe921fb
	v_mov_b32_e32 v13, 0x4002d97c
	v_cndmask_b32_e32 v0, v0, v13, vcc
	v_cmp_class_f64_e64 s[6:7], v[2:3], s14
	s_mov_b32 s14, 0x54442d18
	v_bfi_b32 v13, s15, v0, v3
	v_ashrrev_i32_e32 v0, 31, v1
	s_mov_b32 s15, 0x3ff921fb
	v_and_b32_e32 v14, 0x400921fb, v0
	v_and_b32_e32 v15, 0x54442d18, v0
	v_add_f64 v[0:1], -v[10:11], s[14:15]
	v_cndmask_b32_e64 v1, v11, v1, s[4:5]
	v_cndmask_b32_e64 v0, v10, v0, s[4:5]
	s_mov_b32 s15, s16
	v_add_f64 v[10:11], -v[0:1], s[14:15]
	v_cndmask_b32_e32 v1, v1, v11, vcc
	v_cndmask_b32_e32 v0, v0, v10, vcc
	v_cmp_eq_f64_e32 vcc, 0, v[2:3]
	v_cndmask_b32_e32 v0, v0, v15, vcc
	v_cndmask_b32_e32 v1, v1, v14, vcc
	s_and_b64 vcc, s[8:9], s[6:7]
	v_cndmask_b32_e32 v13, v1, v13, vcc
	v_cndmask_b32_e32 v12, v0, v12, vcc
.LBB55_27:
	s_or_b64 exec, exec, s[12:13]
                                        ; implicit-def: $vgpr0_vgpr1
.LBB55_28:
	s_andn2_saveexec_b64 s[4:5], s[10:11]
	s_cbranch_execz .LBB55_34
; %bb.29:
	s_mov_b32 s6, 0
	s_brev_b32 s7, 4
	v_cmp_nlt_f64_e64 s[8:9], |v[0:1]|, s[6:7]
	v_cmp_nlt_f64_e64 s[6:7], |v[2:3]|, s[6:7]
	s_or_b64 s[6:7], s[8:9], s[6:7]
                                        ; implicit-def: $vgpr10_vgpr11
	s_and_saveexec_b64 s[8:9], s[6:7]
	s_xor_b64 s[6:7], exec, s[8:9]
; %bb.30:
	v_mul_f64 v[10:11], v[2:3], v[2:3]
	v_fmac_f64_e32 v[10:11], v[0:1], v[0:1]
                                        ; implicit-def: $vgpr0_vgpr1
; %bb.31:
	s_andn2_saveexec_b64 s[6:7], s[6:7]
; %bb.32:
	v_mul_f64 v[8:9], v[2:3], 4.0
	v_mul_f64 v[0:1], v[0:1], 4.0
	v_mul_f64 v[8:9], v[8:9], v[8:9]
	v_fmac_f64_e32 v[8:9], v[0:1], v[0:1]
	v_ldexp_f64 v[10:11], v[8:9], -4
; %bb.33:
	s_or_b64 exec, exec, s[6:7]
	s_mov_b32 s6, 0x55555555
	v_frexp_mant_f64_e32 v[0:1], v[10:11]
	s_mov_b32 s7, 0x3fe55555
	v_mov_b32_e32 v8, 0x3ff00000
	v_cmp_gt_f64_e32 vcc, s[6:7], v[0:1]
	v_cndmask_b32_e64 v9, v8, 2.0, vcc
	v_mov_b32_e32 v8, 0
	v_mul_f64 v[0:1], v[0:1], v[8:9]
	v_add_f64 v[8:9], v[0:1], 1.0
	v_rcp_f64_e32 v[12:13], v[8:9]
	v_add_f64 v[16:17], v[8:9], -1.0
	v_add_f64 v[14:15], v[0:1], -1.0
	v_add_f64 v[0:1], v[0:1], -v[16:17]
	v_fma_f64 v[16:17], -v[8:9], v[12:13], 1.0
	v_fmac_f64_e32 v[12:13], v[16:17], v[12:13]
	v_fma_f64 v[16:17], -v[8:9], v[12:13], 1.0
	v_fmac_f64_e32 v[12:13], v[16:17], v[12:13]
	v_mul_f64 v[16:17], v[14:15], v[12:13]
	v_mul_f64 v[18:19], v[8:9], v[16:17]
	v_fma_f64 v[8:9], v[16:17], v[8:9], -v[18:19]
	v_fmac_f64_e32 v[8:9], v[16:17], v[0:1]
	v_add_f64 v[0:1], v[18:19], v[8:9]
	v_add_f64 v[20:21], v[14:15], -v[0:1]
	v_add_f64 v[18:19], v[0:1], -v[18:19]
	;; [unrolled: 1-line block ×5, first 2 shown]
	v_add_f64 v[0:1], v[8:9], v[0:1]
	v_add_f64 v[0:1], v[20:21], v[0:1]
	v_mul_f64 v[0:1], v[12:13], v[0:1]
	v_add_f64 v[8:9], v[16:17], v[0:1]
	v_add_f64 v[12:13], v[8:9], -v[16:17]
	s_mov_b32 s6, 0xbf559e2b
	v_add_f64 v[0:1], v[0:1], -v[12:13]
	v_mul_f64 v[12:13], v[8:9], v[8:9]
	v_mov_b32_e32 v14, 0x6b47b09a
	v_mov_b32_e32 v15, 0x3fc38538
	s_mov_b32 s7, 0x3fc3ab76
	v_fmac_f64_e32 v[14:15], s[6:7], v[12:13]
	v_mov_b32_e32 v16, 0xd7f4df2e
	v_mov_b32_e32 v17, 0x3fc7474d
	v_fmac_f64_e32 v[16:17], v[12:13], v[14:15]
	v_mov_b32_e32 v14, 0x16291751
	v_mov_b32_e32 v15, 0x3fcc71c0
	;; [unrolled: 3-line block ×5, first 2 shown]
	v_fmac_f64_e32 v[16:17], v[12:13], v[14:15]
	v_ldexp_f64 v[14:15], v[8:9], 1
	v_mul_f64 v[8:9], v[8:9], v[12:13]
	v_mul_f64 v[8:9], v[8:9], v[16:17]
	v_add_f64 v[12:13], v[14:15], v[8:9]
	v_add_f64 v[14:15], v[12:13], -v[14:15]
	v_ldexp_f64 v[0:1], v[0:1], 1
	v_add_f64 v[8:9], v[8:9], -v[14:15]
	v_add_f64 v[0:1], v[0:1], v[8:9]
	v_frexp_exp_i32_f64_e32 v2, v[10:11]
	v_add_f64 v[8:9], v[12:13], v[0:1]
	v_subbrev_co_u32_e32 v2, vcc, 0, v2, vcc
	v_add_f64 v[12:13], v[8:9], -v[12:13]
	s_mov_b32 s6, 0xfefa39ef
	v_add_f64 v[0:1], v[0:1], -v[12:13]
	v_cvt_f64_i32_e32 v[12:13], v2
	s_mov_b32 s7, 0x3fe62e42
	v_mul_f64 v[14:15], v[12:13], s[6:7]
	v_fma_f64 v[16:17], v[12:13], s[6:7], -v[14:15]
	s_mov_b32 s6, 0x3b39803f
	s_mov_b32 s7, 0x3c7abc9e
	v_fmac_f64_e32 v[16:17], s[6:7], v[12:13]
	v_add_f64 v[12:13], v[14:15], v[16:17]
	v_add_f64 v[14:15], v[12:13], -v[14:15]
	v_add_f64 v[14:15], v[16:17], -v[14:15]
	v_add_f64 v[16:17], v[12:13], v[8:9]
	v_add_f64 v[18:19], v[16:17], -v[12:13]
	v_add_f64 v[20:21], v[16:17], -v[18:19]
	;; [unrolled: 1-line block ×4, first 2 shown]
	v_add_f64 v[8:9], v[8:9], v[12:13]
	v_add_f64 v[12:13], v[14:15], v[0:1]
	v_add_f64 v[18:19], v[12:13], -v[14:15]
	v_add_f64 v[20:21], v[12:13], -v[18:19]
	v_add_f64 v[8:9], v[12:13], v[8:9]
	v_add_f64 v[14:15], v[14:15], -v[20:21]
	v_add_f64 v[0:1], v[0:1], -v[18:19]
	v_add_f64 v[12:13], v[16:17], v[8:9]
	v_add_f64 v[0:1], v[0:1], v[14:15]
	v_add_f64 v[14:15], v[12:13], -v[16:17]
	v_add_f64 v[8:9], v[8:9], -v[14:15]
	v_add_f64 v[0:1], v[0:1], v[8:9]
	s_movk_i32 s6, 0x204
	v_add_f64 v[0:1], v[12:13], v[0:1]
	v_cmp_class_f64_e64 vcc, v[10:11], s6
	v_cndmask_b32_e32 v0, v0, v10, vcc
	v_cndmask_b32_e32 v1, v1, v11, vcc
	v_mov_b32_e32 v2, 0x7ff80000
	v_cmp_ngt_f64_e32 vcc, 0, v[10:11]
	v_cndmask_b32_e32 v1, v2, v1, vcc
	v_cmp_nge_f64_e32 vcc, 0, v[10:11]
	v_cndmask_b32_e32 v8, 0, v0, vcc
	v_mov_b32_e32 v0, 0xfff00000
	v_cmp_neq_f64_e32 vcc, 0, v[10:11]
	v_mov_b32_e32 v12, 0
	v_cndmask_b32_e32 v9, v0, v1, vcc
	v_mov_b32_e32 v13, 0x7ff80000
.LBB55_34:
	s_or_b64 exec, exec, s[4:5]
	s_brev_b32 s4, -2
	v_bfi_b32 v13, s4, v13, v3
	v_mul_f64 v[2:3], v[8:9], v[6:7]
	v_mul_f64 v[0:1], v[12:13], v[6:7]
	v_fmac_f64_e32 v[2:3], v[12:13], v[4:5]
	v_fma_f64 v[10:11], v[8:9], v[4:5], -v[0:1]
	v_and_b32_e32 v5, 0x7fffffff, v3
	v_or_b32_e32 v0, v5, v2
	v_cmp_ne_u32_e32 vcc, 0, v0
                                        ; implicit-def: $vgpr0_vgpr1
	s_and_saveexec_b64 s[4:5], vcc
	s_xor_b64 s[8:9], exec, s[4:5]
	s_cbranch_execz .LBB55_76
; %bb.35:
	v_and_b32_e32 v4, 0x7fffffff, v11
	v_or_b32_e32 v0, v4, v10
	v_cmp_ne_u32_e32 vcc, 0, v0
                                        ; implicit-def: $vgpr0_vgpr1
	s_and_saveexec_b64 s[4:5], vcc
	s_xor_b64 s[10:11], exec, s[4:5]
	s_cbranch_execz .LBB55_65
; %bb.36:
	s_mov_b32 s4, 0x7ff00000
	v_cmp_gt_u32_e32 vcc, s4, v5
                                        ; implicit-def: $vgpr0_vgpr1
	s_and_saveexec_b64 s[4:5], vcc
	s_xor_b64 s[12:13], exec, s[4:5]
	s_cbranch_execz .LBB55_58
; %bb.37:
	v_add_u32_e32 v0, 0xbf79d1be, v11
	s_mov_b32 s4, 0x108aa2
	v_cmp_lt_u32_e32 vcc, s4, v0
                                        ; implicit-def: $vgpr0_vgpr1
	s_and_saveexec_b64 s[4:5], vcc
	s_xor_b64 s[6:7], exec, s[4:5]
	s_cbranch_execz .LBB55_47
; %bb.38:
	s_mov_b32 s4, 0
	s_mov_b32 s5, 0x41d00000
	v_cmp_nlt_f64_e64 s[14:15], |v[2:3]|, s[4:5]
                                        ; implicit-def: $vgpr12
                                        ; implicit-def: $vgpr0_vgpr1
                                        ; implicit-def: $vgpr4_vgpr5
	s_and_saveexec_b64 s[4:5], s[14:15]
	s_xor_b64 s[16:17], exec, s[4:5]
	s_cbranch_execz .LBB55_40
; %bb.39:
	s_mov_b32 s4, 0
	s_mov_b32 s5, 0x7b000000
	s_movk_i32 s18, 0xff80
	v_and_b32_e32 v8, 0x7fffffff, v3
	v_ldexp_f64 v[6:7], |v[2:3]|, s18
	v_cmp_ge_f64_e64 vcc, |v[2:3]|, s[4:5]
	v_trig_preop_f64 v[0:1], |v[2:3]|, 0
	v_cndmask_b32_e32 v7, v8, v7, vcc
	v_cndmask_b32_e32 v6, v2, v6, vcc
	v_trig_preop_f64 v[4:5], |v[2:3]|, 1
	v_mul_f64 v[12:13], v[0:1], v[6:7]
	v_mul_f64 v[8:9], v[4:5], v[6:7]
	v_fma_f64 v[0:1], v[0:1], v[6:7], -v[12:13]
	v_add_f64 v[14:15], v[8:9], v[0:1]
	v_add_f64 v[16:17], v[12:13], v[14:15]
	s_mov_b32 s4, 0
	v_ldexp_f64 v[18:19], v[16:17], -2
	s_mov_b32 s5, 0x7ff00000
	v_fract_f64_e32 v[20:21], v[18:19]
	v_cmp_neq_f64_e64 vcc, |v[18:19]|, s[4:5]
	v_cndmask_b32_e32 v19, 0, v21, vcc
	v_cndmask_b32_e32 v18, 0, v20, vcc
	v_add_f64 v[20:21], v[14:15], -v[8:9]
	v_add_f64 v[0:1], v[0:1], -v[20:21]
	;; [unrolled: 1-line block ×4, first 2 shown]
	v_fma_f64 v[4:5], v[4:5], v[6:7], -v[8:9]
	v_trig_preop_f64 v[8:9], |v[2:3]|, 2
	v_add_f64 v[0:1], v[0:1], v[20:21]
	v_mul_f64 v[20:21], v[8:9], v[6:7]
	v_add_f64 v[24:25], v[20:21], v[4:5]
	v_add_f64 v[26:27], v[24:25], v[0:1]
	v_add_f64 v[12:13], v[16:17], -v[12:13]
	v_add_f64 v[16:17], v[26:27], -v[24:25]
	;; [unrolled: 1-line block ×5, first 2 shown]
	v_add_f64 v[0:1], v[0:1], v[16:17]
	v_add_f64 v[16:17], v[24:25], -v[20:21]
	v_add_f64 v[4:5], v[4:5], -v[16:17]
	v_add_f64 v[16:17], v[24:25], -v[16:17]
	v_add_f64 v[16:17], v[20:21], -v[16:17]
	v_add_f64 v[4:5], v[4:5], v[16:17]
	v_add_f64 v[12:13], v[14:15], -v[12:13]
	v_add_f64 v[0:1], v[4:5], v[0:1]
	v_fma_f64 v[4:5], v[8:9], v[6:7], -v[20:21]
	v_add_f64 v[14:15], v[12:13], v[26:27]
	v_add_f64 v[0:1], v[4:5], v[0:1]
	v_ldexp_f64 v[4:5], v[18:19], 2
	v_add_f64 v[6:7], v[14:15], v[4:5]
	v_mov_b32_e32 v8, 0x40100000
	v_cmp_gt_f64_e32 vcc, 0, v[6:7]
	v_mov_b32_e32 v22, 0
	v_cndmask_b32_e32 v23, 0, v8, vcc
	v_add_f64 v[4:5], v[4:5], v[22:23]
	v_add_f64 v[6:7], v[14:15], v[4:5]
	v_cvt_i32_f64_e32 v8, v[6:7]
	v_cvt_f64_i32_e32 v[6:7], v8
	v_add_f64 v[4:5], v[4:5], -v[6:7]
	v_add_f64 v[12:13], v[14:15], -v[12:13]
	v_add_f64 v[6:7], v[14:15], v[4:5]
	v_add_f64 v[12:13], v[26:27], -v[12:13]
	v_add_f64 v[4:5], v[6:7], -v[4:5]
	v_add_f64 v[0:1], v[12:13], v[0:1]
	v_add_f64 v[4:5], v[14:15], -v[4:5]
	v_add_f64 v[0:1], v[0:1], v[4:5]
	v_cmp_le_f64_e32 vcc, 0.5, v[6:7]
	v_mov_b32_e32 v4, 0x3ff00000
	v_cndmask_b32_e32 v23, 0, v4, vcc
	v_addc_co_u32_e64 v12, s[4:5], 0, v8, vcc
	v_add_f64 v[4:5], v[6:7], -v[22:23]
	v_add_f64 v[6:7], v[4:5], v[0:1]
	s_mov_b32 s4, 0x54442d18
	v_add_f64 v[4:5], v[6:7], -v[4:5]
	s_mov_b32 s5, 0x3ff921fb
	v_add_f64 v[0:1], v[0:1], -v[4:5]
	v_mul_f64 v[4:5], v[6:7], s[4:5]
	s_mov_b32 s18, 0x33145c07
	v_fma_f64 v[8:9], v[6:7], s[4:5], -v[4:5]
	s_mov_b32 s19, 0x3c91a626
	v_fmac_f64_e32 v[8:9], s[18:19], v[6:7]
	v_fmac_f64_e32 v[8:9], s[4:5], v[0:1]
	v_add_f64 v[0:1], v[4:5], v[8:9]
	v_add_f64 v[4:5], v[0:1], -v[4:5]
	v_add_f64 v[4:5], v[8:9], -v[4:5]
	s_andn2_saveexec_b64 s[4:5], s[16:17]
	s_cbranch_execz .LBB55_42
	s_branch .LBB55_41
.LBB55_40:
	s_andn2_saveexec_b64 s[4:5], s[16:17]
	s_cbranch_execz .LBB55_42
.LBB55_41:
	s_mov_b32 s16, 0x6dc9c883
	s_mov_b32 s17, 0x3fe45f30
	v_mul_f64 v[0:1], |v[2:3]|, s[16:17]
	s_mov_b32 s16, 0x54442d18
	v_rndne_f64_e32 v[6:7], v[0:1]
	s_mov_b32 s17, 0xbff921fb
	v_fma_f64 v[0:1], v[6:7], s[16:17], |v[2:3]|
	s_mov_b32 s17, 0xbc91a626
	s_mov_b32 s16, 0x33145c00
	v_mul_f64 v[8:9], v[6:7], s[16:17]
	v_add_f64 v[14:15], v[0:1], v[8:9]
	v_fma_f64 v[4:5], s[16:17], v[6:7], v[0:1]
	s_mov_b32 s17, 0x3c91a626
	v_add_f64 v[0:1], v[0:1], -v[14:15]
	v_fma_f64 v[12:13], s[16:17], v[6:7], v[8:9]
	v_add_f64 v[0:1], v[0:1], v[8:9]
	v_add_f64 v[8:9], v[14:15], -v[4:5]
	v_add_f64 v[0:1], v[8:9], v[0:1]
	s_mov_b32 s16, 0x252049c0
	v_add_f64 v[8:9], v[0:1], -v[12:13]
	s_mov_b32 s17, 0xb97b839a
	v_fmac_f64_e32 v[8:9], s[16:17], v[6:7]
	v_add_f64 v[0:1], v[4:5], v[8:9]
	v_add_f64 v[4:5], v[0:1], -v[4:5]
	v_add_f64 v[4:5], v[8:9], -v[4:5]
	v_cvt_i32_f64_e32 v12, v[6:7]
.LBB55_42:
	s_or_b64 exec, exec, s[4:5]
                                        ; implicit-def: $vgpr13
                                        ; implicit-def: $vgpr6_vgpr7
                                        ; implicit-def: $vgpr8_vgpr9
	s_and_saveexec_b64 s[4:5], s[14:15]
	s_xor_b64 s[14:15], exec, s[4:5]
	s_cbranch_execz .LBB55_44
; %bb.43:
	s_mov_b32 s4, 0
	s_mov_b32 s5, 0x7b000000
	s_movk_i32 s16, 0xff80
	v_and_b32_e32 v13, 0x7fffffff, v3
	v_ldexp_f64 v[14:15], |v[2:3]|, s16
	v_cmp_ge_f64_e64 vcc, |v[2:3]|, s[4:5]
	v_trig_preop_f64 v[6:7], |v[2:3]|, 0
	v_cndmask_b32_e32 v15, v13, v15, vcc
	v_cndmask_b32_e32 v14, v2, v14, vcc
	v_trig_preop_f64 v[8:9], |v[2:3]|, 1
	v_mul_f64 v[18:19], v[6:7], v[14:15]
	v_mul_f64 v[16:17], v[8:9], v[14:15]
	v_fma_f64 v[6:7], v[6:7], v[14:15], -v[18:19]
	v_add_f64 v[20:21], v[16:17], v[6:7]
	v_add_f64 v[22:23], v[18:19], v[20:21]
	s_mov_b32 s4, 0
	v_ldexp_f64 v[24:25], v[22:23], -2
	s_mov_b32 s5, 0x7ff00000
	v_fract_f64_e32 v[26:27], v[24:25]
	v_cmp_neq_f64_e64 vcc, |v[24:25]|, s[4:5]
	v_cndmask_b32_e32 v25, 0, v27, vcc
	v_cndmask_b32_e32 v24, 0, v26, vcc
	v_add_f64 v[26:27], v[20:21], -v[16:17]
	v_add_f64 v[6:7], v[6:7], -v[26:27]
	;; [unrolled: 1-line block ×4, first 2 shown]
	v_fma_f64 v[8:9], v[8:9], v[14:15], -v[16:17]
	v_trig_preop_f64 v[16:17], |v[2:3]|, 2
	v_add_f64 v[6:7], v[6:7], v[26:27]
	v_mul_f64 v[26:27], v[16:17], v[14:15]
	v_add_f64 v[30:31], v[26:27], v[8:9]
	v_add_f64 v[32:33], v[30:31], v[6:7]
	v_add_f64 v[18:19], v[22:23], -v[18:19]
	v_add_f64 v[22:23], v[32:33], -v[30:31]
	;; [unrolled: 1-line block ×5, first 2 shown]
	v_add_f64 v[6:7], v[6:7], v[22:23]
	v_add_f64 v[22:23], v[30:31], -v[26:27]
	v_add_f64 v[8:9], v[8:9], -v[22:23]
	;; [unrolled: 1-line block ×4, first 2 shown]
	v_add_f64 v[8:9], v[8:9], v[22:23]
	v_add_f64 v[18:19], v[20:21], -v[18:19]
	v_add_f64 v[6:7], v[8:9], v[6:7]
	v_fma_f64 v[8:9], v[16:17], v[14:15], -v[26:27]
	v_add_f64 v[20:21], v[18:19], v[32:33]
	v_add_f64 v[6:7], v[8:9], v[6:7]
	v_ldexp_f64 v[8:9], v[24:25], 2
	v_add_f64 v[14:15], v[20:21], v[8:9]
	v_mov_b32_e32 v13, 0x40100000
	v_cmp_gt_f64_e32 vcc, 0, v[14:15]
	v_mov_b32_e32 v28, 0
	v_cndmask_b32_e32 v29, 0, v13, vcc
	v_add_f64 v[8:9], v[8:9], v[28:29]
	v_add_f64 v[14:15], v[20:21], v[8:9]
	v_cvt_i32_f64_e32 v13, v[14:15]
	v_cvt_f64_i32_e32 v[14:15], v13
	v_add_f64 v[8:9], v[8:9], -v[14:15]
	v_add_f64 v[18:19], v[20:21], -v[18:19]
	v_add_f64 v[14:15], v[20:21], v[8:9]
	v_add_f64 v[18:19], v[32:33], -v[18:19]
	v_add_f64 v[8:9], v[14:15], -v[8:9]
	v_add_f64 v[6:7], v[18:19], v[6:7]
	v_add_f64 v[8:9], v[20:21], -v[8:9]
	v_add_f64 v[6:7], v[6:7], v[8:9]
	v_cmp_le_f64_e32 vcc, 0.5, v[14:15]
	v_mov_b32_e32 v8, 0x3ff00000
	v_cndmask_b32_e32 v29, 0, v8, vcc
	v_addc_co_u32_e64 v13, s[4:5], 0, v13, vcc
	v_add_f64 v[8:9], v[14:15], -v[28:29]
	v_add_f64 v[14:15], v[8:9], v[6:7]
	s_mov_b32 s4, 0x54442d18
	v_add_f64 v[8:9], v[14:15], -v[8:9]
	s_mov_b32 s5, 0x3ff921fb
	v_add_f64 v[6:7], v[6:7], -v[8:9]
	v_mul_f64 v[8:9], v[14:15], s[4:5]
	s_mov_b32 s16, 0x33145c07
	v_fma_f64 v[16:17], v[14:15], s[4:5], -v[8:9]
	s_mov_b32 s17, 0x3c91a626
	v_fmac_f64_e32 v[16:17], s[16:17], v[14:15]
	v_fmac_f64_e32 v[16:17], s[4:5], v[6:7]
	v_add_f64 v[6:7], v[8:9], v[16:17]
	v_add_f64 v[8:9], v[6:7], -v[8:9]
	v_add_f64 v[8:9], v[16:17], -v[8:9]
	s_andn2_saveexec_b64 s[4:5], s[14:15]
	s_cbranch_execnz .LBB55_45
	s_branch .LBB55_46
.LBB55_44:
	s_andn2_saveexec_b64 s[4:5], s[14:15]
	s_cbranch_execz .LBB55_46
.LBB55_45:
	s_mov_b32 s14, 0x6dc9c883
	s_mov_b32 s15, 0x3fe45f30
	v_mul_f64 v[6:7], |v[2:3]|, s[14:15]
	s_mov_b32 s14, 0x54442d18
	v_rndne_f64_e32 v[14:15], v[6:7]
	s_mov_b32 s15, 0xbff921fb
	v_fma_f64 v[6:7], v[14:15], s[14:15], |v[2:3]|
	s_mov_b32 s15, 0xbc91a626
	s_mov_b32 s14, 0x33145c00
	v_mul_f64 v[16:17], v[14:15], s[14:15]
	v_add_f64 v[20:21], v[6:7], v[16:17]
	v_fma_f64 v[8:9], s[14:15], v[14:15], v[6:7]
	s_mov_b32 s15, 0x3c91a626
	v_add_f64 v[6:7], v[6:7], -v[20:21]
	v_fma_f64 v[18:19], s[14:15], v[14:15], v[16:17]
	v_add_f64 v[6:7], v[6:7], v[16:17]
	v_add_f64 v[16:17], v[20:21], -v[8:9]
	v_add_f64 v[6:7], v[16:17], v[6:7]
	s_mov_b32 s14, 0x252049c0
	v_add_f64 v[16:17], v[6:7], -v[18:19]
	s_mov_b32 s15, 0xb97b839a
	v_fmac_f64_e32 v[16:17], s[14:15], v[14:15]
	v_add_f64 v[6:7], v[8:9], v[16:17]
	v_add_f64 v[8:9], v[6:7], -v[8:9]
	v_add_f64 v[8:9], v[16:17], -v[8:9]
	v_cvt_i32_f64_e32 v13, v[14:15]
.LBB55_46:
	s_or_b64 exec, exec, s[4:5]
	s_mov_b32 s4, 0x652b82fe
	s_mov_b32 s5, 0x3ff71547
	v_mul_f64 v[14:15], v[10:11], s[4:5]
	s_mov_b32 s4, 0xfefa39ef
	v_rndne_f64_e32 v[14:15], v[14:15]
	s_mov_b32 s5, 0xbfe62e42
	v_fma_f64 v[16:17], s[4:5], v[14:15], v[10:11]
	s_mov_b32 s4, 0x3b39803f
	s_mov_b32 s5, 0xbc7abc9e
	v_fmac_f64_e32 v[16:17], s[4:5], v[14:15]
	s_mov_b32 s4, 0x6a5dcb37
	v_mov_b32_e32 v18, 0xfca7ab0c
	v_mov_b32_e32 v19, 0x3e928af3
	s_mov_b32 s5, 0x3e5ade15
	v_fmac_f64_e32 v[18:19], s[4:5], v[16:17]
	v_mov_b32_e32 v20, 0x623fde64
	v_mov_b32_e32 v21, 0x3ec71dee
	v_fmac_f64_e32 v[20:21], v[16:17], v[18:19]
	v_mov_b32_e32 v18, 0x7c89e6b0
	v_mov_b32_e32 v19, 0x3efa0199
	;; [unrolled: 3-line block ×8, first 2 shown]
	v_fmac_f64_e32 v[18:19], v[16:17], v[20:21]
	s_mov_b32 s4, 0
	v_fma_f64 v[18:19], v[16:17], v[18:19], 1.0
	s_mov_b32 s5, 0x40900000
	v_fma_f64 v[16:17], v[16:17], v[18:19], 1.0
	v_cvt_i32_f64_e32 v14, v[14:15]
	v_cmp_nlt_f64_e32 vcc, s[4:5], v[10:11]
	s_mov_b32 s4, 0
	v_ldexp_f64 v[14:15], v[16:17], v14
	v_mov_b32_e32 v16, 0x7ff00000
	s_mov_b32 s5, 0xc090cc00
	v_cndmask_b32_e32 v15, v16, v15, vcc
	v_cmp_ngt_f64_e64 s[4:5], s[4:5], v[10:11]
	s_mov_b32 s18, 0x9037ab78
	v_cndmask_b32_e64 v11, 0, v15, s[4:5]
	s_and_b64 vcc, s[4:5], vcc
	s_mov_b32 s19, 0x3e21eeb6
	s_mov_b32 s4, 0x46cc5e42
	v_cndmask_b32_e32 v10, 0, v14, vcc
	v_mul_f64 v[14:15], v[0:1], v[0:1]
	s_mov_b32 s5, 0xbda907db
	v_pk_mov_b32 v[22:23], s[18:19], s[18:19] op_sel:[0,1]
	s_mov_b32 s18, 0xa17f65f6
	v_mul_f64 v[16:17], v[14:15], 0.5
	v_fma_f64 v[24:25], s[4:5], v[14:15], v[22:23]
	s_mov_b32 s19, 0xbe927e4f
	s_mov_b32 s20, 0x19f4ec90
	v_add_f64 v[18:19], -v[16:17], 1.0
	v_fma_f64 v[24:25], v[14:15], v[24:25], s[18:19]
	s_mov_b32 s21, 0x3efa01a0
	s_mov_b32 s22, 0x16c16967
	;; [unrolled: 1-line block ×3, first 2 shown]
	v_add_f64 v[20:21], -v[18:19], 1.0
	v_fma_f64 v[24:25], v[14:15], v[24:25], s[20:21]
	s_mov_b32 s23, 0xbf56c16c
	s_mov_b32 s17, 0x3fa55555
	v_add_f64 v[16:17], v[20:21], -v[16:17]
	v_fma_f64 v[24:25], v[14:15], v[24:25], s[22:23]
	v_mul_f64 v[20:21], v[14:15], v[14:15]
	v_fma_f64 v[24:25], v[14:15], v[24:25], s[16:17]
	v_fma_f64 v[16:17], v[0:1], -v[4:5], v[16:17]
	s_mov_b32 s24, 0xb42fdfa7
	v_fmac_f64_e32 v[16:17], v[20:21], v[24:25]
	s_mov_b32 s25, 0xbe5ae600
	s_mov_b32 s26, 0xf9a43bb8
	v_add_f64 v[16:17], v[18:19], v[16:17]
	s_mov_b32 s27, 0x3de5e0b2
	v_pk_mov_b32 v[18:19], s[24:25], s[24:25] op_sel:[0,1]
	s_mov_b32 s24, 0x796cde01
	v_fma_f64 v[20:21], s[26:27], v[14:15], v[18:19]
	s_mov_b32 s25, 0x3ec71de3
	s_mov_b32 s28, 0x19e83e5c
	s_mov_b32 s14, 0x11110bb3
	v_fma_f64 v[20:21], v[14:15], v[20:21], s[24:25]
	s_mov_b32 s29, 0xbf2a01a0
	s_mov_b32 s15, 0x3f811111
	v_fma_f64 v[20:21], v[14:15], v[20:21], s[28:29]
	v_fma_f64 v[20:21], v[14:15], v[20:21], s[14:15]
	v_mul_f64 v[24:25], v[0:1], -v[14:15]
	v_mul_f64 v[26:27], v[4:5], 0.5
	v_fmac_f64_e32 v[26:27], v[24:25], v[20:21]
	v_fma_f64 v[4:5], v[14:15], v[26:27], -v[4:5]
	s_mov_b32 s31, 0xbfc55555
	s_mov_b32 s30, s16
	v_fmac_f64_e32 v[4:5], s[30:31], v[24:25]
	v_add_f64 v[0:1], v[0:1], -v[4:5]
	v_and_b32_e32 v4, 1, v12
	v_xor_b32_e32 v1, 0x80000000, v1
	v_cmp_eq_u32_e32 vcc, 0, v4
	v_lshlrev_b32_e32 v4, 30, v12
	v_cndmask_b32_e32 v1, v1, v17, vcc
	v_and_b32_e32 v4, 0x80000000, v4
	v_xor_b32_e32 v1, v1, v4
	v_mul_f64 v[4:5], v[6:7], v[6:7]
	v_mul_f64 v[14:15], v[4:5], 0.5
	v_fmac_f64_e32 v[22:23], s[4:5], v[4:5]
	v_cndmask_b32_e32 v0, v0, v16, vcc
	v_add_f64 v[16:17], -v[14:15], 1.0
	v_fma_f64 v[22:23], v[4:5], v[22:23], s[18:19]
	v_add_f64 v[20:21], -v[16:17], 1.0
	v_fma_f64 v[22:23], v[4:5], v[22:23], s[20:21]
	v_add_f64 v[14:15], v[20:21], -v[14:15]
	v_fma_f64 v[22:23], v[4:5], v[22:23], s[22:23]
	v_mul_f64 v[20:21], v[4:5], v[4:5]
	v_fma_f64 v[22:23], v[4:5], v[22:23], s[16:17]
	v_fma_f64 v[14:15], v[6:7], -v[8:9], v[14:15]
	v_fmac_f64_e32 v[14:15], v[20:21], v[22:23]
	v_fmac_f64_e32 v[18:19], s[26:27], v[4:5]
	v_add_f64 v[14:15], v[16:17], v[14:15]
	v_fma_f64 v[16:17], v[4:5], v[18:19], s[24:25]
	v_fma_f64 v[16:17], v[4:5], v[16:17], s[28:29]
	;; [unrolled: 1-line block ×3, first 2 shown]
	v_mul_f64 v[18:19], v[6:7], -v[4:5]
	v_mul_f64 v[20:21], v[8:9], 0.5
	v_fmac_f64_e32 v[20:21], v[18:19], v[16:17]
	s_movk_i32 vcc_lo, 0x1f8
	v_fma_f64 v[4:5], v[4:5], v[20:21], -v[8:9]
	v_cmp_class_f64_e64 vcc, v[2:3], vcc_lo
	v_fmac_f64_e32 v[4:5], s[30:31], v[18:19]
	v_and_b32_e32 v2, 1, v13
	v_add_f64 v[4:5], v[6:7], -v[4:5]
	v_cmp_eq_u32_e64 s[4:5], 0, v2
	v_cndmask_b32_e64 v2, v14, v4, s[4:5]
	v_cndmask_b32_e64 v4, v15, v5, s[4:5]
	v_lshlrev_b32_e32 v5, 30, v13
	v_xor_b32_e32 v3, v5, v3
	v_and_b32_e32 v3, 0x80000000, v3
	v_mov_b32_e32 v12, 0x7ff80000
	v_xor_b32_e32 v3, v4, v3
	v_cndmask_b32_e32 v0, 0, v0, vcc
	v_cndmask_b32_e32 v1, v12, v1, vcc
	v_cndmask_b32_e32 v2, 0, v2, vcc
	v_cndmask_b32_e32 v3, v12, v3, vcc
	v_mul_f64 v[0:1], v[10:11], v[0:1]
	v_mul_f64 v[2:3], v[10:11], v[2:3]
                                        ; implicit-def: $vgpr10_vgpr11
.LBB55_47:
	s_andn2_saveexec_b64 s[14:15], s[6:7]
	s_cbranch_execz .LBB55_50
; %bb.48:
	s_mov_b32 s4, 0
	s_mov_b32 s5, 0x41d00000
	v_cmp_nlt_f64_e64 s[6:7], |v[2:3]|, s[4:5]
                                        ; implicit-def: $vgpr16
                                        ; implicit-def: $vgpr0_vgpr1
                                        ; implicit-def: $vgpr4_vgpr5
	s_and_saveexec_b64 s[4:5], s[6:7]
	s_xor_b64 s[16:17], exec, s[4:5]
	s_cbranch_execz .LBB55_51
; %bb.49:
	s_mov_b32 s4, 0
	s_mov_b32 s5, 0x7b000000
	s_movk_i32 s18, 0xff80
	v_and_b32_e32 v8, 0x7fffffff, v3
	v_ldexp_f64 v[6:7], |v[2:3]|, s18
	v_cmp_ge_f64_e64 vcc, |v[2:3]|, s[4:5]
	v_trig_preop_f64 v[0:1], |v[2:3]|, 0
	v_cndmask_b32_e32 v7, v8, v7, vcc
	v_cndmask_b32_e32 v6, v2, v6, vcc
	v_trig_preop_f64 v[4:5], |v[2:3]|, 1
	v_mul_f64 v[12:13], v[0:1], v[6:7]
	v_mul_f64 v[8:9], v[4:5], v[6:7]
	v_fma_f64 v[0:1], v[0:1], v[6:7], -v[12:13]
	v_add_f64 v[14:15], v[8:9], v[0:1]
	v_add_f64 v[16:17], v[12:13], v[14:15]
	s_mov_b32 s4, 0
	v_ldexp_f64 v[18:19], v[16:17], -2
	s_mov_b32 s5, 0x7ff00000
	v_fract_f64_e32 v[20:21], v[18:19]
	v_cmp_neq_f64_e64 vcc, |v[18:19]|, s[4:5]
	v_cndmask_b32_e32 v19, 0, v21, vcc
	v_cndmask_b32_e32 v18, 0, v20, vcc
	v_add_f64 v[20:21], v[14:15], -v[8:9]
	v_add_f64 v[0:1], v[0:1], -v[20:21]
	;; [unrolled: 1-line block ×4, first 2 shown]
	v_fma_f64 v[4:5], v[4:5], v[6:7], -v[8:9]
	v_trig_preop_f64 v[8:9], |v[2:3]|, 2
	v_add_f64 v[0:1], v[0:1], v[20:21]
	v_mul_f64 v[20:21], v[8:9], v[6:7]
	v_add_f64 v[24:25], v[20:21], v[4:5]
	v_add_f64 v[26:27], v[24:25], v[0:1]
	v_add_f64 v[12:13], v[16:17], -v[12:13]
	v_add_f64 v[16:17], v[26:27], -v[24:25]
	;; [unrolled: 1-line block ×5, first 2 shown]
	v_add_f64 v[0:1], v[0:1], v[16:17]
	v_add_f64 v[16:17], v[24:25], -v[20:21]
	v_add_f64 v[4:5], v[4:5], -v[16:17]
	;; [unrolled: 1-line block ×4, first 2 shown]
	v_add_f64 v[4:5], v[4:5], v[16:17]
	v_add_f64 v[12:13], v[14:15], -v[12:13]
	v_add_f64 v[0:1], v[4:5], v[0:1]
	v_fma_f64 v[4:5], v[8:9], v[6:7], -v[20:21]
	v_add_f64 v[14:15], v[12:13], v[26:27]
	v_add_f64 v[0:1], v[4:5], v[0:1]
	v_ldexp_f64 v[4:5], v[18:19], 2
	v_add_f64 v[6:7], v[14:15], v[4:5]
	v_mov_b32_e32 v8, 0x40100000
	v_cmp_gt_f64_e32 vcc, 0, v[6:7]
	v_mov_b32_e32 v22, 0
	v_cndmask_b32_e32 v23, 0, v8, vcc
	v_add_f64 v[4:5], v[4:5], v[22:23]
	v_add_f64 v[6:7], v[14:15], v[4:5]
	v_cvt_i32_f64_e32 v8, v[6:7]
	v_cvt_f64_i32_e32 v[6:7], v8
	v_add_f64 v[4:5], v[4:5], -v[6:7]
	v_add_f64 v[12:13], v[14:15], -v[12:13]
	v_add_f64 v[6:7], v[14:15], v[4:5]
	v_add_f64 v[12:13], v[26:27], -v[12:13]
	v_add_f64 v[4:5], v[6:7], -v[4:5]
	v_add_f64 v[0:1], v[12:13], v[0:1]
	v_add_f64 v[4:5], v[14:15], -v[4:5]
	v_add_f64 v[0:1], v[0:1], v[4:5]
	v_cmp_le_f64_e32 vcc, 0.5, v[6:7]
	v_mov_b32_e32 v4, 0x3ff00000
	v_cndmask_b32_e32 v23, 0, v4, vcc
	v_addc_co_u32_e64 v16, s[4:5], 0, v8, vcc
	v_add_f64 v[4:5], v[6:7], -v[22:23]
	v_add_f64 v[6:7], v[4:5], v[0:1]
	s_mov_b32 s4, 0x54442d18
	v_add_f64 v[4:5], v[6:7], -v[4:5]
	s_mov_b32 s5, 0x3ff921fb
	v_add_f64 v[0:1], v[0:1], -v[4:5]
	v_mul_f64 v[4:5], v[6:7], s[4:5]
	s_mov_b32 s18, 0x33145c07
	v_fma_f64 v[8:9], v[6:7], s[4:5], -v[4:5]
	s_mov_b32 s19, 0x3c91a626
	v_fmac_f64_e32 v[8:9], s[18:19], v[6:7]
	v_fmac_f64_e32 v[8:9], s[4:5], v[0:1]
	v_add_f64 v[0:1], v[4:5], v[8:9]
	v_add_f64 v[4:5], v[0:1], -v[4:5]
	v_add_f64 v[4:5], v[8:9], -v[4:5]
	s_andn2_saveexec_b64 s[4:5], s[16:17]
	s_cbranch_execz .LBB55_53
	s_branch .LBB55_52
.LBB55_50:
	s_or_b64 exec, exec, s[14:15]
                                        ; implicit-def: $vgpr10_vgpr11
                                        ; implicit-def: $vgpr4
	s_andn2_saveexec_b64 s[6:7], s[12:13]
	s_cbranch_execnz .LBB55_59
	s_branch .LBB55_64
.LBB55_51:
	s_andn2_saveexec_b64 s[4:5], s[16:17]
	s_cbranch_execz .LBB55_53
.LBB55_52:
	s_mov_b32 s16, 0x6dc9c883
	s_mov_b32 s17, 0x3fe45f30
	v_mul_f64 v[0:1], |v[2:3]|, s[16:17]
	s_mov_b32 s16, 0x54442d18
	v_rndne_f64_e32 v[6:7], v[0:1]
	s_mov_b32 s17, 0xbff921fb
	v_fma_f64 v[0:1], v[6:7], s[16:17], |v[2:3]|
	s_mov_b32 s17, 0xbc91a626
	s_mov_b32 s16, 0x33145c00
	v_mul_f64 v[8:9], v[6:7], s[16:17]
	v_add_f64 v[14:15], v[0:1], v[8:9]
	v_fma_f64 v[4:5], s[16:17], v[6:7], v[0:1]
	s_mov_b32 s17, 0x3c91a626
	v_add_f64 v[0:1], v[0:1], -v[14:15]
	v_fma_f64 v[12:13], s[16:17], v[6:7], v[8:9]
	v_add_f64 v[0:1], v[0:1], v[8:9]
	v_add_f64 v[8:9], v[14:15], -v[4:5]
	v_add_f64 v[0:1], v[8:9], v[0:1]
	s_mov_b32 s16, 0x252049c0
	v_add_f64 v[8:9], v[0:1], -v[12:13]
	s_mov_b32 s17, 0xb97b839a
	v_fmac_f64_e32 v[8:9], s[16:17], v[6:7]
	v_add_f64 v[0:1], v[4:5], v[8:9]
	v_add_f64 v[4:5], v[0:1], -v[4:5]
	v_add_f64 v[4:5], v[8:9], -v[4:5]
	v_cvt_i32_f64_e32 v16, v[6:7]
.LBB55_53:
	s_or_b64 exec, exec, s[4:5]
                                        ; implicit-def: $vgpr17
                                        ; implicit-def: $vgpr6_vgpr7
                                        ; implicit-def: $vgpr8_vgpr9
	s_and_saveexec_b64 s[4:5], s[6:7]
	s_xor_b64 s[6:7], exec, s[4:5]
	s_cbranch_execz .LBB55_55
; %bb.54:
	s_mov_b32 s4, 0
	s_mov_b32 s5, 0x7b000000
	s_movk_i32 s16, 0xff80
	v_and_b32_e32 v14, 0x7fffffff, v3
	v_ldexp_f64 v[12:13], |v[2:3]|, s16
	v_cmp_ge_f64_e64 vcc, |v[2:3]|, s[4:5]
	v_trig_preop_f64 v[6:7], |v[2:3]|, 0
	v_cndmask_b32_e32 v13, v14, v13, vcc
	v_cndmask_b32_e32 v12, v2, v12, vcc
	v_trig_preop_f64 v[8:9], |v[2:3]|, 1
	v_mul_f64 v[18:19], v[6:7], v[12:13]
	v_mul_f64 v[14:15], v[8:9], v[12:13]
	v_fma_f64 v[6:7], v[6:7], v[12:13], -v[18:19]
	v_add_f64 v[20:21], v[14:15], v[6:7]
	v_add_f64 v[22:23], v[18:19], v[20:21]
	s_mov_b32 s4, 0
	v_ldexp_f64 v[24:25], v[22:23], -2
	s_mov_b32 s5, 0x7ff00000
	v_fract_f64_e32 v[26:27], v[24:25]
	v_cmp_neq_f64_e64 vcc, |v[24:25]|, s[4:5]
	v_cndmask_b32_e32 v25, 0, v27, vcc
	v_cndmask_b32_e32 v24, 0, v26, vcc
	v_add_f64 v[26:27], v[20:21], -v[14:15]
	v_add_f64 v[6:7], v[6:7], -v[26:27]
	;; [unrolled: 1-line block ×4, first 2 shown]
	v_fma_f64 v[8:9], v[8:9], v[12:13], -v[14:15]
	v_trig_preop_f64 v[14:15], |v[2:3]|, 2
	v_add_f64 v[6:7], v[6:7], v[26:27]
	v_mul_f64 v[26:27], v[14:15], v[12:13]
	v_add_f64 v[30:31], v[26:27], v[8:9]
	v_add_f64 v[32:33], v[30:31], v[6:7]
	v_add_f64 v[18:19], v[22:23], -v[18:19]
	v_add_f64 v[22:23], v[32:33], -v[30:31]
	;; [unrolled: 1-line block ×5, first 2 shown]
	v_add_f64 v[6:7], v[6:7], v[22:23]
	v_add_f64 v[22:23], v[30:31], -v[26:27]
	v_add_f64 v[8:9], v[8:9], -v[22:23]
	;; [unrolled: 1-line block ×4, first 2 shown]
	v_add_f64 v[8:9], v[8:9], v[22:23]
	v_add_f64 v[18:19], v[20:21], -v[18:19]
	v_add_f64 v[6:7], v[8:9], v[6:7]
	v_fma_f64 v[8:9], v[14:15], v[12:13], -v[26:27]
	v_add_f64 v[20:21], v[18:19], v[32:33]
	v_add_f64 v[6:7], v[8:9], v[6:7]
	v_ldexp_f64 v[8:9], v[24:25], 2
	v_add_f64 v[12:13], v[20:21], v[8:9]
	v_mov_b32_e32 v14, 0x40100000
	v_cmp_gt_f64_e32 vcc, 0, v[12:13]
	v_mov_b32_e32 v28, 0
	v_cndmask_b32_e32 v29, 0, v14, vcc
	v_add_f64 v[8:9], v[8:9], v[28:29]
	v_add_f64 v[12:13], v[20:21], v[8:9]
	v_cvt_i32_f64_e32 v14, v[12:13]
	v_cvt_f64_i32_e32 v[12:13], v14
	v_add_f64 v[8:9], v[8:9], -v[12:13]
	v_add_f64 v[18:19], v[20:21], -v[18:19]
	v_add_f64 v[12:13], v[20:21], v[8:9]
	v_add_f64 v[18:19], v[32:33], -v[18:19]
	v_add_f64 v[8:9], v[12:13], -v[8:9]
	v_add_f64 v[6:7], v[18:19], v[6:7]
	v_add_f64 v[8:9], v[20:21], -v[8:9]
	v_add_f64 v[6:7], v[6:7], v[8:9]
	v_cmp_le_f64_e32 vcc, 0.5, v[12:13]
	v_mov_b32_e32 v8, 0x3ff00000
	v_cndmask_b32_e32 v29, 0, v8, vcc
	v_addc_co_u32_e64 v17, s[4:5], 0, v14, vcc
	v_add_f64 v[8:9], v[12:13], -v[28:29]
	v_add_f64 v[12:13], v[8:9], v[6:7]
	s_mov_b32 s4, 0x54442d18
	v_add_f64 v[8:9], v[12:13], -v[8:9]
	s_mov_b32 s5, 0x3ff921fb
	v_add_f64 v[6:7], v[6:7], -v[8:9]
	v_mul_f64 v[8:9], v[12:13], s[4:5]
	s_mov_b32 s16, 0x33145c07
	v_fma_f64 v[14:15], v[12:13], s[4:5], -v[8:9]
	s_mov_b32 s17, 0x3c91a626
	v_fmac_f64_e32 v[14:15], s[16:17], v[12:13]
	v_fmac_f64_e32 v[14:15], s[4:5], v[6:7]
	v_add_f64 v[6:7], v[8:9], v[14:15]
	v_add_f64 v[8:9], v[6:7], -v[8:9]
	v_add_f64 v[8:9], v[14:15], -v[8:9]
	s_andn2_saveexec_b64 s[4:5], s[6:7]
	s_cbranch_execnz .LBB55_56
	s_branch .LBB55_57
.LBB55_55:
	s_andn2_saveexec_b64 s[4:5], s[6:7]
	s_cbranch_execz .LBB55_57
.LBB55_56:
	s_mov_b32 s6, 0x6dc9c883
	s_mov_b32 s7, 0x3fe45f30
	v_mul_f64 v[6:7], |v[2:3]|, s[6:7]
	s_mov_b32 s6, 0x54442d18
	v_rndne_f64_e32 v[12:13], v[6:7]
	s_mov_b32 s7, 0xbff921fb
	v_fma_f64 v[6:7], v[12:13], s[6:7], |v[2:3]|
	s_mov_b32 s7, 0xbc91a626
	s_mov_b32 s6, 0x33145c00
	v_mul_f64 v[14:15], v[12:13], s[6:7]
	v_add_f64 v[20:21], v[6:7], v[14:15]
	v_fma_f64 v[8:9], s[6:7], v[12:13], v[6:7]
	s_mov_b32 s7, 0x3c91a626
	v_add_f64 v[6:7], v[6:7], -v[20:21]
	v_fma_f64 v[18:19], s[6:7], v[12:13], v[14:15]
	v_add_f64 v[6:7], v[6:7], v[14:15]
	v_add_f64 v[14:15], v[20:21], -v[8:9]
	v_add_f64 v[6:7], v[14:15], v[6:7]
	s_mov_b32 s6, 0x252049c0
	v_add_f64 v[14:15], v[6:7], -v[18:19]
	s_mov_b32 s7, 0xb97b839a
	v_fmac_f64_e32 v[14:15], s[6:7], v[12:13]
	v_add_f64 v[6:7], v[8:9], v[14:15]
	v_add_f64 v[8:9], v[6:7], -v[8:9]
	v_add_f64 v[8:9], v[14:15], -v[8:9]
	v_cvt_i32_f64_e32 v17, v[12:13]
.LBB55_57:
	s_or_b64 exec, exec, s[4:5]
	s_mov_b32 s4, 0x9037ab78
	s_mov_b32 s5, 0x3e21eeb6
	s_mov_b32 s16, 0x46cc5e42
	v_mul_f64 v[18:19], v[0:1], v[0:1]
	s_mov_b32 s17, 0xbda907db
	v_pk_mov_b32 v[12:13], s[4:5], s[4:5] op_sel:[0,1]
	s_mov_b32 s18, 0xa17f65f6
	v_mul_f64 v[14:15], v[18:19], 0.5
	v_fma_f64 v[24:25], s[16:17], v[18:19], v[12:13]
	s_mov_b32 s19, 0xbe927e4f
	s_mov_b32 s20, 0x19f4ec90
	v_add_f64 v[20:21], -v[14:15], 1.0
	v_fma_f64 v[24:25], v[18:19], v[24:25], s[18:19]
	s_mov_b32 s21, 0x3efa01a0
	s_mov_b32 s22, 0x16c16967
	v_fma_f64 v[24:25], v[18:19], v[24:25], s[20:21]
	s_mov_b32 s23, 0xbf56c16c
	s_mov_b32 s24, 0x55555555
	v_add_f64 v[26:27], -v[20:21], 1.0
	v_fma_f64 v[24:25], v[18:19], v[24:25], s[22:23]
	s_mov_b32 s25, 0x3fa55555
	v_add_f64 v[14:15], v[26:27], -v[14:15]
	v_mul_f64 v[22:23], v[18:19], v[18:19]
	v_fma_f64 v[24:25], v[18:19], v[24:25], s[24:25]
	v_fma_f64 v[14:15], v[0:1], -v[4:5], v[14:15]
	s_mov_b32 s4, 0xb42fdfa7
	v_fmac_f64_e32 v[14:15], v[22:23], v[24:25]
	s_mov_b32 s5, 0xbe5ae600
	s_mov_b32 s26, 0xf9a43bb8
	v_add_f64 v[20:21], v[20:21], v[14:15]
	s_mov_b32 s27, 0x3de5e0b2
	v_pk_mov_b32 v[14:15], s[4:5], s[4:5] op_sel:[0,1]
	s_mov_b32 s28, 0x796cde01
	v_fma_f64 v[24:25], s[26:27], v[18:19], v[14:15]
	s_mov_b32 s29, 0x3ec71de3
	s_mov_b32 s30, 0x19e83e5c
	v_fma_f64 v[24:25], v[18:19], v[24:25], s[28:29]
	s_mov_b32 s31, 0xbf2a01a0
	;; [unrolled: 3-line block ×3, first 2 shown]
	v_mul_f64 v[22:23], v[0:1], -v[18:19]
	v_fma_f64 v[24:25], v[18:19], v[24:25], s[34:35]
	v_mul_f64 v[26:27], v[4:5], 0.5
	s_mov_b32 s4, 0x19ba0da4
	v_fmac_f64_e32 v[26:27], v[22:23], v[24:25]
	s_mov_b32 s5, 0xc0937be3
	v_fma_f64 v[4:5], v[18:19], v[26:27], -v[4:5]
	s_mov_b32 s37, 0xbfc55555
	s_mov_b32 s36, s24
	v_add_f64 v[10:11], v[10:11], s[4:5]
	s_mov_b32 s4, 0x652b82fe
	v_fmac_f64_e32 v[4:5], s[36:37], v[22:23]
	s_mov_b32 s5, 0x3ff71547
	v_and_b32_e32 v28, 1, v16
	v_add_f64 v[0:1], v[0:1], -v[4:5]
	v_mul_f64 v[18:19], v[10:11], s[4:5]
	s_mov_b32 s4, 0xfefa39ef
	v_xor_b32_e32 v1, 0x80000000, v1
	v_cmp_eq_u32_e32 vcc, 0, v28
	v_rndne_f64_e32 v[18:19], v[18:19]
	s_mov_b32 s5, 0xbfe62e42
	v_cndmask_b32_e32 v0, v0, v20, vcc
	v_cndmask_b32_e32 v1, v1, v21, vcc
	v_fma_f64 v[20:21], s[4:5], v[18:19], v[10:11]
	s_mov_b32 s4, 0x3b39803f
	s_mov_b32 s5, 0xbc7abc9e
	v_fmac_f64_e32 v[20:21], s[4:5], v[18:19]
	s_mov_b32 s4, 0x6a5dcb37
	v_mov_b32_e32 v22, 0xfca7ab0c
	v_mov_b32_e32 v23, 0x3e928af3
	s_mov_b32 s5, 0x3e5ade15
	v_fmac_f64_e32 v[22:23], s[4:5], v[20:21]
	v_mov_b32_e32 v24, 0x623fde64
	v_mov_b32_e32 v25, 0x3ec71dee
	v_fmac_f64_e32 v[24:25], v[20:21], v[22:23]
	v_mov_b32_e32 v22, 0x7c89e6b0
	v_mov_b32_e32 v23, 0x3efa0199
	;; [unrolled: 3-line block ×8, first 2 shown]
	v_fmac_f64_e32 v[22:23], v[20:21], v[24:25]
	s_movk_i32 s6, 0x1f8
	v_fma_f64 v[22:23], v[20:21], v[22:23], 1.0
	s_mov_b32 s4, 0
	v_cmp_class_f64_e64 vcc, v[2:3], s6
	v_fma_f64 v[20:21], v[20:21], v[22:23], 1.0
	v_cvt_i32_f64_e32 v2, v[18:19]
	s_mov_b32 s5, 0x40900000
	s_mov_b32 s6, 0
	v_ldexp_f64 v[18:19], v[20:21], v2
	v_mov_b32_e32 v2, 0x7ff00000
	v_cmp_nlt_f64_e64 s[4:5], s[4:5], v[10:11]
	s_mov_b32 s7, 0xc090cc00
	v_mul_f64 v[20:21], v[6:7], v[6:7]
	v_cndmask_b32_e64 v2, v2, v19, s[4:5]
	v_cmp_ngt_f64_e64 s[6:7], s[6:7], v[10:11]
	v_mul_f64 v[22:23], v[20:21], 0.5
	v_fmac_f64_e32 v[12:13], s[16:17], v[20:21]
	v_cndmask_b32_e64 v2, 0, v2, s[6:7]
	v_add_f64 v[24:25], -v[22:23], 1.0
	v_fma_f64 v[12:13], v[20:21], v[12:13], s[18:19]
	v_and_b32_e32 v5, 0xfffff, v2
	v_lshrrev_b32_e32 v2, 20, v2
	v_add_f64 v[26:27], -v[24:25], 1.0
	v_fma_f64 v[12:13], v[20:21], v[12:13], s[20:21]
	v_add_u32_e32 v2, 0xffffff09, v2
	v_add_f64 v[22:23], v[26:27], -v[22:23]
	v_fma_f64 v[12:13], v[20:21], v[12:13], s[22:23]
	v_fmac_f64_e32 v[14:15], s[26:27], v[20:21]
	v_or_b32_e32 v11, 0x7fe00000, v5
	v_lshrrev_b16_e32 v5, 15, v2
	v_mul_f64 v[26:27], v[20:21], v[20:21]
	v_fma_f64 v[12:13], v[20:21], v[12:13], s[24:25]
	v_fma_f64 v[22:23], v[6:7], -v[8:9], v[22:23]
	v_fma_f64 v[14:15], v[20:21], v[14:15], s[28:29]
	v_add_u16_e32 v5, v2, v5
	v_fmac_f64_e32 v[22:23], v[26:27], v[12:13]
	v_fma_f64 v[14:15], v[20:21], v[14:15], s[30:31]
	s_and_b64 s[4:5], s[6:7], s[4:5]
	v_ashrrev_i16_e32 v5, 1, v5
	v_add_f64 v[12:13], v[24:25], v[22:23]
	v_fma_f64 v[14:15], v[20:21], v[14:15], s[34:35]
	v_mul_f64 v[22:23], v[6:7], -v[20:21]
	v_mul_f64 v[24:25], v[8:9], 0.5
	v_cndmask_b32_e64 v10, 0, v18, s[4:5]
	v_bfe_i32 v18, v5, 0, 16
	v_fmac_f64_e32 v[24:25], v[22:23], v[14:15]
	v_mov_b32_e32 v19, 0x3ff00000
	v_sub_u32_e32 v2, v2, v18
	v_fma_f64 v[8:9], v[20:21], v[24:25], -v[8:9]
	v_lshl_add_u32 v5, v18, 20, v19
	v_lshl_add_u32 v19, v2, 20, v19
	v_fmac_f64_e32 v[8:9], s[36:37], v[22:23]
	v_and_b32_e32 v2, 1, v17
	v_add_f64 v[6:7], v[6:7], -v[8:9]
	v_cmp_eq_u32_e64 s[4:5], 0, v2
	v_cndmask_b32_e64 v2, v12, v6, s[4:5]
	v_cndmask_b32_e64 v6, v13, v7, s[4:5]
	v_lshlrev_b32_e32 v7, 30, v17
	v_lshlrev_b32_e32 v4, 30, v16
	v_xor_b32_e32 v3, v7, v3
	v_and_b32_e32 v4, 0x80000000, v4
	v_and_b32_e32 v3, 0x80000000, v3
	v_xor_b32_e32 v1, v1, v4
	v_mov_b32_e32 v16, 0x7ff80000
	v_xor_b32_e32 v3, v6, v3
	v_cndmask_b32_e32 v0, 0, v0, vcc
	v_cndmask_b32_e32 v1, v16, v1, vcc
	;; [unrolled: 1-line block ×4, first 2 shown]
	v_mov_b32_e32 v4, 0
	v_mul_f64 v[0:1], v[10:11], v[0:1]
	v_mul_f64 v[2:3], v[10:11], v[2:3]
	;; [unrolled: 1-line block ×3, first 2 shown]
	v_mov_b32_e32 v18, v4
	v_mul_f64 v[2:3], v[2:3], v[4:5]
	v_mul_f64 v[0:1], v[0:1], v[18:19]
	;; [unrolled: 1-line block ×3, first 2 shown]
	s_or_b64 exec, exec, s[14:15]
                                        ; implicit-def: $vgpr10_vgpr11
                                        ; implicit-def: $vgpr4
.LBB55_58:
	s_andn2_saveexec_b64 s[6:7], s[12:13]
	s_cbranch_execz .LBB55_64
.LBB55_59:
	s_mov_b32 s4, 0x7ff00000
	v_cmp_ne_u32_e32 vcc, 0, v10
	v_cmp_ne_u32_e64 s[4:5], s4, v4
	s_or_b64 s[4:5], vcc, s[4:5]
	v_add_f64 v[2:3], v[2:3], -v[2:3]
	s_and_saveexec_b64 s[12:13], s[4:5]
	s_xor_b64 s[4:5], exec, s[12:13]
; %bb.60:
                                        ; implicit-def: $vgpr10_vgpr11
; %bb.61:
	s_or_saveexec_b64 s[4:5], s[4:5]
	v_pk_mov_b32 v[0:1], v[2:3], v[2:3] op_sel:[0,1]
	s_xor_b64 exec, exec, s[4:5]
; %bb.62:
	v_cmp_lt_i64_e32 vcc, -1, v[10:11]
	v_cndmask_b32_e32 v1, 0, v11, vcc
	v_cndmask_b32_e32 v0, 0, v10, vcc
	;; [unrolled: 1-line block ×4, first 2 shown]
; %bb.63:
	s_or_b64 exec, exec, s[4:5]
.LBB55_64:
	s_or_b64 exec, exec, s[6:7]
.LBB55_65:
	s_andn2_saveexec_b64 s[6:7], s[10:11]
	s_cbranch_execz .LBB55_75
; %bb.66:
	s_mov_b32 s4, 0
	s_mov_b32 s5, 0x41d00000
	v_cmp_nlt_f64_e64 s[10:11], |v[2:3]|, s[4:5]
	v_trig_preop_f64 v[10:11], |v[2:3]|, 0
	v_trig_preop_f64 v[8:9], |v[2:3]|, 1
	;; [unrolled: 1-line block ×3, first 2 shown]
                                        ; implicit-def: $vgpr16
                                        ; implicit-def: $vgpr0_vgpr1
                                        ; implicit-def: $vgpr4_vgpr5
	s_and_saveexec_b64 s[4:5], s[10:11]
	s_xor_b64 s[12:13], exec, s[4:5]
	s_cbranch_execz .LBB55_68
; %bb.67:
	s_mov_b32 s4, 0
	s_mov_b32 s5, 0x7b000000
	s_movk_i32 s14, 0xff80
	v_and_b32_e32 v4, 0x7fffffff, v3
	v_ldexp_f64 v[0:1], |v[2:3]|, s14
	v_cmp_ge_f64_e64 vcc, |v[2:3]|, s[4:5]
	v_cndmask_b32_e32 v1, v4, v1, vcc
	v_cndmask_b32_e32 v0, v2, v0, vcc
	v_mul_f64 v[12:13], v[10:11], v[0:1]
	v_mul_f64 v[4:5], v[8:9], v[0:1]
	v_fma_f64 v[14:15], v[10:11], v[0:1], -v[12:13]
	v_add_f64 v[16:17], v[4:5], v[14:15]
	v_add_f64 v[18:19], v[12:13], v[16:17]
	s_mov_b32 s4, 0
	v_ldexp_f64 v[20:21], v[18:19], -2
	s_mov_b32 s5, 0x7ff00000
	v_fract_f64_e32 v[22:23], v[20:21]
	v_cmp_neq_f64_e64 vcc, |v[20:21]|, s[4:5]
	v_cndmask_b32_e32 v21, 0, v23, vcc
	v_cndmask_b32_e32 v20, 0, v22, vcc
	v_add_f64 v[22:23], v[16:17], -v[4:5]
	v_add_f64 v[14:15], v[14:15], -v[22:23]
	;; [unrolled: 1-line block ×4, first 2 shown]
	v_add_f64 v[14:15], v[14:15], v[22:23]
	v_fma_f64 v[4:5], v[8:9], v[0:1], -v[4:5]
	v_mul_f64 v[22:23], v[6:7], v[0:1]
	v_add_f64 v[26:27], v[22:23], v[4:5]
	v_add_f64 v[28:29], v[26:27], v[14:15]
	v_add_f64 v[12:13], v[18:19], -v[12:13]
	v_add_f64 v[18:19], v[28:29], -v[26:27]
	;; [unrolled: 1-line block ×5, first 2 shown]
	v_add_f64 v[14:15], v[14:15], v[18:19]
	v_add_f64 v[18:19], v[26:27], -v[22:23]
	v_add_f64 v[4:5], v[4:5], -v[18:19]
	;; [unrolled: 1-line block ×5, first 2 shown]
	v_add_f64 v[16:17], v[12:13], v[28:29]
	v_add_f64 v[4:5], v[4:5], v[18:19]
	v_add_f64 v[12:13], v[16:17], -v[12:13]
	v_add_f64 v[4:5], v[4:5], v[14:15]
	v_fma_f64 v[0:1], v[6:7], v[0:1], -v[22:23]
	v_add_f64 v[12:13], v[28:29], -v[12:13]
	v_add_f64 v[0:1], v[0:1], v[4:5]
	v_ldexp_f64 v[4:5], v[20:21], 2
	v_add_f64 v[0:1], v[12:13], v[0:1]
	v_add_f64 v[12:13], v[16:17], v[4:5]
	v_mov_b32_e32 v14, 0x40100000
	v_cmp_gt_f64_e32 vcc, 0, v[12:13]
	v_mov_b32_e32 v24, 0
	v_cndmask_b32_e32 v25, 0, v14, vcc
	v_add_f64 v[4:5], v[4:5], v[24:25]
	v_add_f64 v[12:13], v[16:17], v[4:5]
	v_cvt_i32_f64_e32 v14, v[12:13]
	v_cvt_f64_i32_e32 v[12:13], v14
	v_add_f64 v[4:5], v[4:5], -v[12:13]
	v_add_f64 v[12:13], v[16:17], v[4:5]
	v_add_f64 v[4:5], v[12:13], -v[4:5]
	v_add_f64 v[4:5], v[16:17], -v[4:5]
	v_add_f64 v[0:1], v[0:1], v[4:5]
	v_cmp_le_f64_e32 vcc, 0.5, v[12:13]
	v_mov_b32_e32 v4, 0x3ff00000
	v_cndmask_b32_e32 v25, 0, v4, vcc
	v_addc_co_u32_e64 v16, s[4:5], 0, v14, vcc
	v_add_f64 v[4:5], v[12:13], -v[24:25]
	v_add_f64 v[12:13], v[4:5], v[0:1]
	s_mov_b32 s4, 0x54442d18
	v_add_f64 v[4:5], v[12:13], -v[4:5]
	s_mov_b32 s5, 0x3ff921fb
	v_add_f64 v[0:1], v[0:1], -v[4:5]
	v_mul_f64 v[4:5], v[12:13], s[4:5]
	s_mov_b32 s14, 0x33145c07
	v_fma_f64 v[14:15], v[12:13], s[4:5], -v[4:5]
	s_mov_b32 s15, 0x3c91a626
	v_fmac_f64_e32 v[14:15], s[14:15], v[12:13]
	v_fmac_f64_e32 v[14:15], s[4:5], v[0:1]
	v_add_f64 v[0:1], v[4:5], v[14:15]
	v_add_f64 v[4:5], v[0:1], -v[4:5]
	v_add_f64 v[4:5], v[14:15], -v[4:5]
	s_andn2_saveexec_b64 s[4:5], s[12:13]
	s_cbranch_execz .LBB55_70
	s_branch .LBB55_69
.LBB55_68:
	s_andn2_saveexec_b64 s[4:5], s[12:13]
	s_cbranch_execz .LBB55_70
.LBB55_69:
	s_mov_b32 s12, 0x6dc9c883
	s_mov_b32 s13, 0x3fe45f30
	v_mul_f64 v[0:1], |v[2:3]|, s[12:13]
	s_mov_b32 s12, 0x54442d18
	v_rndne_f64_e32 v[12:13], v[0:1]
	s_mov_b32 s13, 0xbff921fb
	v_fma_f64 v[0:1], v[12:13], s[12:13], |v[2:3]|
	s_mov_b32 s13, 0xbc91a626
	s_mov_b32 s12, 0x33145c00
	v_mul_f64 v[14:15], v[12:13], s[12:13]
	v_add_f64 v[18:19], v[0:1], v[14:15]
	v_fma_f64 v[4:5], s[12:13], v[12:13], v[0:1]
	s_mov_b32 s13, 0x3c91a626
	v_add_f64 v[0:1], v[0:1], -v[18:19]
	v_fma_f64 v[16:17], s[12:13], v[12:13], v[14:15]
	v_add_f64 v[0:1], v[0:1], v[14:15]
	v_add_f64 v[14:15], v[18:19], -v[4:5]
	v_add_f64 v[0:1], v[14:15], v[0:1]
	s_mov_b32 s12, 0x252049c0
	v_add_f64 v[14:15], v[0:1], -v[16:17]
	s_mov_b32 s13, 0xb97b839a
	v_fmac_f64_e32 v[14:15], s[12:13], v[12:13]
	v_add_f64 v[0:1], v[4:5], v[14:15]
	v_add_f64 v[4:5], v[0:1], -v[4:5]
	v_add_f64 v[4:5], v[14:15], -v[4:5]
	v_cvt_i32_f64_e32 v16, v[12:13]
.LBB55_70:
	s_or_b64 exec, exec, s[4:5]
                                        ; implicit-def: $vgpr17
                                        ; implicit-def: $vgpr12_vgpr13
                                        ; implicit-def: $vgpr14_vgpr15
	s_and_saveexec_b64 s[4:5], s[10:11]
	s_xor_b64 s[10:11], exec, s[4:5]
	s_cbranch_execz .LBB55_72
; %bb.71:
	s_mov_b32 s4, 0
	s_mov_b32 s5, 0x7b000000
	s_movk_i32 s12, 0xff80
	v_and_b32_e32 v14, 0x7fffffff, v3
	v_ldexp_f64 v[12:13], |v[2:3]|, s12
	v_cmp_ge_f64_e64 vcc, |v[2:3]|, s[4:5]
	v_cndmask_b32_e32 v13, v14, v13, vcc
	v_cndmask_b32_e32 v12, v2, v12, vcc
	v_mul_f64 v[18:19], v[10:11], v[12:13]
	v_mul_f64 v[14:15], v[8:9], v[12:13]
	v_fma_f64 v[10:11], v[10:11], v[12:13], -v[18:19]
	v_add_f64 v[20:21], v[14:15], v[10:11]
	v_add_f64 v[22:23], v[18:19], v[20:21]
	s_mov_b32 s4, 0
	v_ldexp_f64 v[24:25], v[22:23], -2
	s_mov_b32 s5, 0x7ff00000
	v_fract_f64_e32 v[26:27], v[24:25]
	v_cmp_neq_f64_e64 vcc, |v[24:25]|, s[4:5]
	v_cndmask_b32_e32 v25, 0, v27, vcc
	v_cndmask_b32_e32 v24, 0, v26, vcc
	v_add_f64 v[26:27], v[20:21], -v[14:15]
	v_add_f64 v[10:11], v[10:11], -v[26:27]
	v_add_f64 v[26:27], v[20:21], -v[26:27]
	v_add_f64 v[26:27], v[14:15], -v[26:27]
	v_fma_f64 v[8:9], v[8:9], v[12:13], -v[14:15]
	v_mul_f64 v[14:15], v[6:7], v[12:13]
	v_add_f64 v[10:11], v[10:11], v[26:27]
	v_add_f64 v[26:27], v[14:15], v[8:9]
	;; [unrolled: 1-line block ×3, first 2 shown]
	v_add_f64 v[18:19], v[22:23], -v[18:19]
	v_add_f64 v[22:23], v[30:31], -v[26:27]
	;; [unrolled: 1-line block ×5, first 2 shown]
	v_add_f64 v[10:11], v[10:11], v[22:23]
	v_add_f64 v[22:23], v[26:27], -v[14:15]
	v_add_f64 v[8:9], v[8:9], -v[22:23]
	;; [unrolled: 1-line block ×4, first 2 shown]
	v_add_f64 v[8:9], v[8:9], v[22:23]
	v_add_f64 v[18:19], v[20:21], -v[18:19]
	v_add_f64 v[8:9], v[8:9], v[10:11]
	v_fma_f64 v[6:7], v[6:7], v[12:13], -v[14:15]
	v_add_f64 v[20:21], v[18:19], v[30:31]
	v_add_f64 v[6:7], v[6:7], v[8:9]
	v_ldexp_f64 v[8:9], v[24:25], 2
	v_add_f64 v[10:11], v[20:21], v[8:9]
	v_mov_b32_e32 v12, 0x40100000
	v_cmp_gt_f64_e32 vcc, 0, v[10:11]
	v_mov_b32_e32 v28, 0
	v_cndmask_b32_e32 v29, 0, v12, vcc
	v_add_f64 v[8:9], v[8:9], v[28:29]
	v_add_f64 v[10:11], v[20:21], v[8:9]
	v_cvt_i32_f64_e32 v12, v[10:11]
	v_cvt_f64_i32_e32 v[10:11], v12
	v_add_f64 v[8:9], v[8:9], -v[10:11]
	v_add_f64 v[18:19], v[20:21], -v[18:19]
	v_add_f64 v[10:11], v[20:21], v[8:9]
	v_add_f64 v[18:19], v[30:31], -v[18:19]
	v_add_f64 v[8:9], v[10:11], -v[8:9]
	v_add_f64 v[6:7], v[18:19], v[6:7]
	v_add_f64 v[8:9], v[20:21], -v[8:9]
	v_add_f64 v[6:7], v[6:7], v[8:9]
	v_cmp_le_f64_e32 vcc, 0.5, v[10:11]
	v_mov_b32_e32 v8, 0x3ff00000
	v_cndmask_b32_e32 v29, 0, v8, vcc
	v_addc_co_u32_e64 v17, s[4:5], 0, v12, vcc
	v_add_f64 v[8:9], v[10:11], -v[28:29]
	v_add_f64 v[10:11], v[8:9], v[6:7]
	s_mov_b32 s4, 0x54442d18
	v_add_f64 v[8:9], v[10:11], -v[8:9]
	s_mov_b32 s5, 0x3ff921fb
	v_add_f64 v[6:7], v[6:7], -v[8:9]
	v_mul_f64 v[8:9], v[10:11], s[4:5]
	s_mov_b32 s12, 0x33145c07
	v_fma_f64 v[14:15], v[10:11], s[4:5], -v[8:9]
	s_mov_b32 s13, 0x3c91a626
	v_fmac_f64_e32 v[14:15], s[12:13], v[10:11]
	v_fmac_f64_e32 v[14:15], s[4:5], v[6:7]
	v_add_f64 v[12:13], v[8:9], v[14:15]
	v_add_f64 v[6:7], v[12:13], -v[8:9]
	v_add_f64 v[14:15], v[14:15], -v[6:7]
	s_andn2_saveexec_b64 s[4:5], s[10:11]
	s_cbranch_execnz .LBB55_73
	s_branch .LBB55_74
.LBB55_72:
	s_andn2_saveexec_b64 s[4:5], s[10:11]
	s_cbranch_execz .LBB55_74
.LBB55_73:
	s_mov_b32 s10, 0x6dc9c883
	s_mov_b32 s11, 0x3fe45f30
	v_mul_f64 v[6:7], |v[2:3]|, s[10:11]
	s_mov_b32 s10, 0x54442d18
	v_rndne_f64_e32 v[6:7], v[6:7]
	s_mov_b32 s11, 0xbff921fb
	v_fma_f64 v[8:9], v[6:7], s[10:11], |v[2:3]|
	s_mov_b32 s11, 0xbc91a626
	s_mov_b32 s10, 0x33145c00
	v_mul_f64 v[12:13], v[6:7], s[10:11]
	v_add_f64 v[18:19], v[8:9], v[12:13]
	v_fma_f64 v[10:11], s[10:11], v[6:7], v[8:9]
	s_mov_b32 s11, 0x3c91a626
	v_add_f64 v[8:9], v[8:9], -v[18:19]
	v_fma_f64 v[14:15], s[10:11], v[6:7], v[12:13]
	v_add_f64 v[8:9], v[8:9], v[12:13]
	v_add_f64 v[12:13], v[18:19], -v[10:11]
	v_add_f64 v[8:9], v[12:13], v[8:9]
	s_mov_b32 s10, 0x252049c0
	v_add_f64 v[8:9], v[8:9], -v[14:15]
	s_mov_b32 s11, 0xb97b839a
	v_fmac_f64_e32 v[8:9], s[10:11], v[6:7]
	v_add_f64 v[12:13], v[10:11], v[8:9]
	v_add_f64 v[10:11], v[12:13], -v[10:11]
	v_add_f64 v[14:15], v[8:9], -v[10:11]
	v_cvt_i32_f64_e32 v17, v[6:7]
.LBB55_74:
	s_or_b64 exec, exec, s[4:5]
	s_mov_b32 s10, 0x9037ab78
	s_mov_b32 s11, 0x3e21eeb6
	;; [unrolled: 1-line block ×3, first 2 shown]
	v_mul_f64 v[6:7], v[0:1], v[0:1]
	s_mov_b32 s5, 0xbda907db
	v_pk_mov_b32 v[20:21], s[10:11], s[10:11] op_sel:[0,1]
	s_mov_b32 s10, 0xa17f65f6
	v_mul_f64 v[8:9], v[6:7], 0.5
	v_fma_f64 v[22:23], s[4:5], v[6:7], v[20:21]
	s_mov_b32 s11, 0xbe927e4f
	s_mov_b32 s12, 0x19f4ec90
	v_add_f64 v[10:11], -v[8:9], 1.0
	v_fma_f64 v[22:23], v[6:7], v[22:23], s[10:11]
	s_mov_b32 s13, 0x3efa01a0
	s_mov_b32 s14, 0x16c16967
	v_add_f64 v[18:19], -v[10:11], 1.0
	v_fma_f64 v[22:23], v[6:7], v[22:23], s[12:13]
	s_mov_b32 s15, 0xbf56c16c
	s_mov_b32 s16, 0x55555555
	v_add_f64 v[8:9], v[18:19], -v[8:9]
	v_fma_f64 v[22:23], v[6:7], v[22:23], s[14:15]
	s_mov_b32 s17, 0x3fa55555
	v_mul_f64 v[18:19], v[6:7], v[6:7]
	v_fma_f64 v[22:23], v[6:7], v[22:23], s[16:17]
	v_fma_f64 v[8:9], v[0:1], -v[4:5], v[8:9]
	s_mov_b32 s18, 0xb42fdfa7
	v_fmac_f64_e32 v[8:9], v[18:19], v[22:23]
	s_mov_b32 s19, 0xbe5ae600
	s_mov_b32 s20, 0xf9a43bb8
	v_add_f64 v[8:9], v[10:11], v[8:9]
	s_mov_b32 s21, 0x3de5e0b2
	v_pk_mov_b32 v[10:11], s[18:19], s[18:19] op_sel:[0,1]
	s_mov_b32 s18, 0x796cde01
	v_fma_f64 v[18:19], s[20:21], v[6:7], v[10:11]
	s_mov_b32 s19, 0x3ec71de3
	s_mov_b32 s22, 0x19e83e5c
	v_fma_f64 v[18:19], v[6:7], v[18:19], s[18:19]
	s_mov_b32 s23, 0xbf2a01a0
	;; [unrolled: 3-line block ×3, first 2 shown]
	v_fma_f64 v[18:19], v[6:7], v[18:19], s[24:25]
	v_mul_f64 v[22:23], v[0:1], -v[6:7]
	v_mul_f64 v[24:25], v[4:5], 0.5
	v_fmac_f64_e32 v[24:25], v[22:23], v[18:19]
	v_fma_f64 v[4:5], v[6:7], v[24:25], -v[4:5]
	s_mov_b32 s27, 0xbfc55555
	s_mov_b32 s26, s16
	v_fmac_f64_e32 v[4:5], s[26:27], v[22:23]
	v_add_f64 v[0:1], v[0:1], -v[4:5]
	v_and_b32_e32 v4, 1, v16
	v_xor_b32_e32 v1, 0x80000000, v1
	v_cmp_eq_u32_e32 vcc, 0, v4
	v_lshlrev_b32_e32 v4, 30, v16
	v_cndmask_b32_e32 v1, v1, v9, vcc
	v_and_b32_e32 v4, 0x80000000, v4
	v_xor_b32_e32 v1, v1, v4
	v_mul_f64 v[4:5], v[12:13], v[12:13]
	v_mul_f64 v[6:7], v[4:5], 0.5
	v_fmac_f64_e32 v[20:21], s[4:5], v[4:5]
	v_cndmask_b32_e32 v0, v0, v8, vcc
	v_add_f64 v[8:9], -v[6:7], 1.0
	v_fma_f64 v[20:21], v[4:5], v[20:21], s[10:11]
	v_add_f64 v[18:19], -v[8:9], 1.0
	v_fma_f64 v[20:21], v[4:5], v[20:21], s[12:13]
	v_add_f64 v[6:7], v[18:19], -v[6:7]
	v_fma_f64 v[20:21], v[4:5], v[20:21], s[14:15]
	v_mul_f64 v[18:19], v[4:5], v[4:5]
	v_fma_f64 v[20:21], v[4:5], v[20:21], s[16:17]
	v_fma_f64 v[6:7], v[12:13], -v[14:15], v[6:7]
	v_fmac_f64_e32 v[6:7], v[18:19], v[20:21]
	v_fmac_f64_e32 v[10:11], s[20:21], v[4:5]
	v_add_f64 v[6:7], v[8:9], v[6:7]
	v_fma_f64 v[8:9], v[4:5], v[10:11], s[18:19]
	v_fma_f64 v[8:9], v[4:5], v[8:9], s[22:23]
	;; [unrolled: 1-line block ×3, first 2 shown]
	v_mul_f64 v[10:11], v[12:13], -v[4:5]
	v_mul_f64 v[18:19], v[14:15], 0.5
	v_fmac_f64_e32 v[18:19], v[10:11], v[8:9]
	s_movk_i32 s28, 0x1f8
	v_fma_f64 v[4:5], v[4:5], v[18:19], -v[14:15]
	v_cmp_class_f64_e64 vcc, v[2:3], s28
	v_fmac_f64_e32 v[4:5], s[26:27], v[10:11]
	v_and_b32_e32 v2, 1, v17
	v_add_f64 v[4:5], v[12:13], -v[4:5]
	v_cmp_eq_u32_e64 s[4:5], 0, v2
	v_cndmask_b32_e64 v2, v6, v4, s[4:5]
	v_cndmask_b32_e64 v4, v7, v5, s[4:5]
	v_lshlrev_b32_e32 v5, 30, v17
	v_xor_b32_e32 v3, v5, v3
	v_and_b32_e32 v3, 0x80000000, v3
	v_mov_b32_e32 v16, 0x7ff80000
	v_xor_b32_e32 v3, v4, v3
	v_cndmask_b32_e32 v0, 0, v0, vcc
	v_cndmask_b32_e32 v1, v16, v1, vcc
	;; [unrolled: 1-line block ×4, first 2 shown]
.LBB55_75:
	s_or_b64 exec, exec, s[6:7]
                                        ; implicit-def: $vgpr10_vgpr11
.LBB55_76:
	s_andn2_saveexec_b64 s[6:7], s[8:9]
	s_cbranch_execz .LBB55_78
; %bb.77:
	s_mov_b32 s4, 0x652b82fe
	s_mov_b32 s5, 0x3ff71547
	v_mul_f64 v[0:1], v[10:11], s[4:5]
	s_mov_b32 s4, 0xfefa39ef
	v_rndne_f64_e32 v[0:1], v[0:1]
	s_mov_b32 s5, 0xbfe62e42
	v_fma_f64 v[4:5], s[4:5], v[0:1], v[10:11]
	s_mov_b32 s4, 0x3b39803f
	s_mov_b32 s5, 0xbc7abc9e
	v_fmac_f64_e32 v[4:5], s[4:5], v[0:1]
	s_mov_b32 s4, 0x6a5dcb37
	v_mov_b32_e32 v6, 0xfca7ab0c
	v_mov_b32_e32 v7, 0x3e928af3
	s_mov_b32 s5, 0x3e5ade15
	v_fmac_f64_e32 v[6:7], s[4:5], v[4:5]
	v_mov_b32_e32 v8, 0x623fde64
	v_mov_b32_e32 v9, 0x3ec71dee
	v_fmac_f64_e32 v[8:9], v[4:5], v[6:7]
	v_mov_b32_e32 v6, 0x7c89e6b0
	v_mov_b32_e32 v7, 0x3efa0199
	;; [unrolled: 3-line block ×8, first 2 shown]
	s_mov_b32 s4, 0
	v_fmac_f64_e32 v[6:7], v[4:5], v[8:9]
	s_mov_b32 s5, 0x40900000
	v_fma_f64 v[6:7], v[4:5], v[6:7], 1.0
	v_cmp_nlt_f64_e32 vcc, s[4:5], v[10:11]
	s_mov_b32 s4, 0
	v_fma_f64 v[4:5], v[4:5], v[6:7], 1.0
	v_cvt_i32_f64_e32 v0, v[0:1]
	s_mov_b32 s5, 0xc090cc00
	v_ldexp_f64 v[0:1], v[4:5], v0
	v_mov_b32_e32 v4, 0x7ff00000
	v_cmp_ngt_f64_e64 s[4:5], s[4:5], v[10:11]
	v_cndmask_b32_e32 v1, v4, v1, vcc
	s_and_b64 vcc, s[4:5], vcc
	v_cndmask_b32_e64 v1, 0, v1, s[4:5]
	v_cndmask_b32_e32 v0, 0, v0, vcc
.LBB55_78:
	s_or_b64 exec, exec, s[6:7]
	v_readlane_b32 s30, v36, 4
	v_readlane_b32 s31, v36, 5
	;; [unrolled: 1-line block ×6, first 2 shown]
	s_xor_saveexec_b64 s[4:5], -1
	buffer_load_dword v36, off, s[0:3], s32 ; 4-byte Folded Reload
	s_mov_b64 exec, s[4:5]
	s_waitcnt vmcnt(0)
	s_setpc_b64 s[30:31]
.Lfunc_end55:
	.size	_ZN2at6native12_GLOBAL__N_14pow_IdEEN3c107complexIT_EES6_S6_, .Lfunc_end55-_ZN2at6native12_GLOBAL__N_14pow_IdEEN3c107complexIT_EES6_S6_
                                        ; -- End function
	.section	.AMDGPU.csdata,"",@progbits
; Function info:
; codeLenInByte = 21692
; NumSgprs: 42
; NumVgprs: 37
; NumAgprs: 0
; TotalNumVgprs: 37
; ScratchSize: 8
; MemoryBound: 0
	.section	.text._ZN2at6native12_GLOBAL__N_125multi_tensor_apply_kernelINS1_18TensorListMetadataILi1EEENS1_21BinaryOpScalarFunctorIN3c107complexIdEELi1ELi1ELi0EEEJNS1_13power_functorIS8_EES8_EEEvT_T0_DpT1_,"axG",@progbits,_ZN2at6native12_GLOBAL__N_125multi_tensor_apply_kernelINS1_18TensorListMetadataILi1EEENS1_21BinaryOpScalarFunctorIN3c107complexIdEELi1ELi1ELi0EEEJNS1_13power_functorIS8_EES8_EEEvT_T0_DpT1_,comdat
	.globl	_ZN2at6native12_GLOBAL__N_125multi_tensor_apply_kernelINS1_18TensorListMetadataILi1EEENS1_21BinaryOpScalarFunctorIN3c107complexIdEELi1ELi1ELi0EEEJNS1_13power_functorIS8_EES8_EEEvT_T0_DpT1_ ; -- Begin function _ZN2at6native12_GLOBAL__N_125multi_tensor_apply_kernelINS1_18TensorListMetadataILi1EEENS1_21BinaryOpScalarFunctorIN3c107complexIdEELi1ELi1ELi0EEEJNS1_13power_functorIS8_EES8_EEEvT_T0_DpT1_
	.p2align	8
	.type	_ZN2at6native12_GLOBAL__N_125multi_tensor_apply_kernelINS1_18TensorListMetadataILi1EEENS1_21BinaryOpScalarFunctorIN3c107complexIdEELi1ELi1ELi0EEEJNS1_13power_functorIS8_EES8_EEEvT_T0_DpT1_,@function
_ZN2at6native12_GLOBAL__N_125multi_tensor_apply_kernelINS1_18TensorListMetadataILi1EEENS1_21BinaryOpScalarFunctorIN3c107complexIdEELi1ELi1ELi0EEEJNS1_13power_functorIS8_EES8_EEEvT_T0_DpT1_: ; @_ZN2at6native12_GLOBAL__N_125multi_tensor_apply_kernelINS1_18TensorListMetadataILi1EEENS1_21BinaryOpScalarFunctorIN3c107complexIdEELi1ELi1ELi0EEEJNS1_13power_functorIS8_EES8_EEEvT_T0_DpT1_
; %bb.0:
	v_mov_b32_e32 v50, v0
	v_mov_b32_e32 v0, s8
	global_load_ubyte v0, v0, s[4:5] offset:1760
	s_load_dwordx4 s[48:51], s[4:5], 0xd30
	s_add_u32 flat_scratch_lo, s6, s9
	s_addc_u32 flat_scratch_hi, s7, 0
	s_add_u32 s0, s0, s9
	s_addc_u32 s1, s1, 0
	s_mov_b64 s[38:39], s[4:5]
	s_add_u32 s4, s38, s8
	s_mul_hi_u32 s5, s8, 3
	s_mul_i32 s8, s8, 3
	s_addc_u32 s6, s39, 0
	s_add_u32 s4, s4, s8
	s_addc_u32 s5, s6, s5
	s_load_dword s4, s[4:5], 0x820
	s_mov_b32 s9, 0
	s_mov_b32 s32, 0
	s_waitcnt vmcnt(0)
	v_readfirstlane_b32 s5, v0
	s_lshl_b32 s5, s5, 3
	s_load_dwordx2 s[52:53], s[38:39], s5 offset:0x0
	s_load_dwordx2 s[6:7], s[38:39], s5 offset:0x370
	s_waitcnt lgkmcnt(0)
	s_ashr_i32 s5, s4, 31
	s_lshl_b64 s[54:55], s[4:5], 20
	s_add_u32 s33, s52, s54
	s_addc_u32 s62, s53, s55
	s_and_b32 s8, s33, 63
	s_lshl_b64 s[4:5], s[4:5], 16
	s_sub_u32 s46, s6, s4
	s_subb_u32 s47, s7, s5
	s_and_b32 s4, s6, 3
	s_mov_b32 s5, s9
	s_or_b64 s[4:5], s[8:9], s[4:5]
	s_cmp_eq_u64 s[4:5], 0
	s_cbranch_scc1 .LBB56_21
; %bb.1:
	v_cmp_lt_i64_e64 s[4:5], s[46:47], 1
	s_and_b64 vcc, exec, s[4:5]
	s_cbranch_vccnz .LBB56_20
; %bb.2:
	s_load_dword s4, s[38:39], 0xd4c
	v_mov_b32_e32 v0, 0x10000
	v_mov_b32_e32 v1, 0
	v_cmp_lt_u64_e32 vcc, s[46:47], v[0:1]
	v_mov_b32_e32 v53, 0
	s_waitcnt lgkmcnt(0)
	s_and_b32 s6, s4, 0xffff
	s_and_b64 s[4:5], vcc, exec
	s_mul_i32 s8, s6, 3
	v_lshlrev_b32_e32 v52, 4, v50
	v_add_co_u32_e32 v37, vcc, s6, v50
	v_addc_co_u32_e64 v57, s[4:5], 0, 0, vcc
	v_mad_u64_u32 v[54:55], s[4:5], s6, 48, v[52:53]
	v_add_co_u32_e32 v53, vcc, s8, v50
	v_addc_co_u32_e64 v59, s[4:5], 0, 0, vcc
	s_cselect_b32 s57, s47, 0
	s_cselect_b32 s56, s46, 0x10000
	s_lshl_b32 s4, s6, 5
	s_lshl_b32 s7, s6, 1
	v_add_co_u32_e32 v0, vcc, s4, v52
	v_addc_co_u32_e64 v51, s[4:5], 0, 0, vcc
	v_add_co_u32_e32 v60, vcc, s7, v50
	s_lshl_b32 s63, s6, 2
	s_lshl_b32 s64, s6, 6
	v_or_b32_e32 v54, 8, v54
	v_lshlrev_b32_e32 v56, 4, v37
	v_or_b32_e32 v58, 8, v0
	v_addc_co_u32_e64 v61, s[4:5], 0, 0, vcc
	s_mov_b64 s[58:59], 0
	s_branch .LBB56_4
.LBB56_3:                               ;   in Loop: Header=BB56_4 Depth=1
	s_or_b64 exec, exec, s[42:43]
	s_add_u32 s58, s58, s63
	s_addc_u32 s59, s59, 0
	s_waitcnt vmcnt(0)
	v_pk_mov_b32 v[0:1], s[46:47], s[46:47] op_sel:[0,1]
	v_cmp_lt_i64_e32 vcc, s[58:59], v[0:1]
	v_mov_b32_e32 v0, 0x10000
	v_mov_b32_e32 v1, 0
	v_cmp_lt_u64_e64 s[4:5], s[58:59], v[0:1]
	s_and_b64 s[4:5], vcc, s[4:5]
	s_add_u32 s33, s33, s64
	s_addc_u32 s62, s62, 0
	s_and_b64 vcc, exec, s[4:5]
	s_cbranch_vccz .LBB56_20
.LBB56_4:                               ; =>This Inner Loop Header: Depth=1
	v_mov_b32_e32 v1, s59
	v_add_co_u32_e32 v0, vcc, s58, v50
	v_addc_co_u32_e32 v1, vcc, 0, v1, vcc
	v_pk_mov_b32 v[44:45], 0, 0
	v_cmp_gt_u64_e32 vcc, s[56:57], v[0:1]
	v_pk_mov_b32 v[2:3], v[44:45], v[44:45] op_sel:[0,1]
	v_pk_mov_b32 v[0:1], v[44:45], v[44:45] op_sel:[0,1]
	s_and_saveexec_b64 s[6:7], vcc
	s_cbranch_execz .LBB56_6
; %bb.5:                                ;   in Loop: Header=BB56_4 Depth=1
	v_mov_b32_e32 v1, s62
	v_add_co_u32_e64 v0, s[4:5], s33, v52
	v_addc_co_u32_e64 v1, s[4:5], 0, v1, s[4:5]
	global_load_dwordx4 v[0:3], v[0:1], off
.LBB56_6:                               ;   in Loop: Header=BB56_4 Depth=1
	s_or_b64 exec, exec, s[6:7]
	v_mov_b32_e32 v5, s59
	v_add_co_u32_e64 v4, s[4:5], s58, v37
	v_addc_co_u32_e64 v5, s[4:5], v57, v5, s[4:5]
	v_cmp_gt_u64_e64 s[44:45], s[56:57], v[4:5]
	v_pk_mov_b32 v[42:43], v[44:45], v[44:45] op_sel:[0,1]
	s_and_saveexec_b64 s[6:7], s[44:45]
	s_cbranch_execz .LBB56_8
; %bb.7:                                ;   in Loop: Header=BB56_4 Depth=1
	v_mov_b32_e32 v5, s62
	v_add_co_u32_e64 v4, s[4:5], s33, v56
	v_addc_co_u32_e64 v5, s[4:5], 0, v5, s[4:5]
	global_load_dwordx4 v[42:45], v[4:5], off
.LBB56_8:                               ;   in Loop: Header=BB56_4 Depth=1
	s_or_b64 exec, exec, s[6:7]
	v_mov_b32_e32 v5, s59
	v_add_co_u32_e64 v4, s[4:5], s58, v60
	v_addc_co_u32_e64 v5, s[4:5], v61, v5, s[4:5]
	v_pk_mov_b32 v[40:41], 0, 0
	v_cmp_gt_u64_e64 s[42:43], s[56:57], v[4:5]
	v_pk_mov_b32 v[48:49], v[40:41], v[40:41] op_sel:[0,1]
	v_pk_mov_b32 v[46:47], v[40:41], v[40:41] op_sel:[0,1]
	s_and_saveexec_b64 s[6:7], s[42:43]
	s_cbranch_execz .LBB56_10
; %bb.9:                                ;   in Loop: Header=BB56_4 Depth=1
	v_mov_b32_e32 v5, s62
	v_add_co_u32_e64 v4, s[4:5], s33, v58
	v_addc_co_u32_e64 v5, s[4:5], v5, v51, s[4:5]
	global_load_dwordx4 v[46:49], v[4:5], off offset:-8
.LBB56_10:                              ;   in Loop: Header=BB56_4 Depth=1
	s_or_b64 exec, exec, s[6:7]
	v_mov_b32_e32 v5, s59
	v_add_co_u32_e64 v4, s[4:5], s58, v53
	v_addc_co_u32_e64 v5, s[4:5], v59, v5, s[4:5]
	v_cmp_gt_u64_e64 s[40:41], s[56:57], v[4:5]
	v_pk_mov_b32 v[38:39], v[40:41], v[40:41] op_sel:[0,1]
	s_and_saveexec_b64 s[6:7], s[40:41]
	s_cbranch_execnz .LBB56_15
; %bb.11:                               ;   in Loop: Header=BB56_4 Depth=1
	s_or_b64 exec, exec, s[6:7]
	s_and_saveexec_b64 s[60:61], vcc
	s_cbranch_execnz .LBB56_16
.LBB56_12:                              ;   in Loop: Header=BB56_4 Depth=1
	s_or_b64 exec, exec, s[60:61]
	s_and_saveexec_b64 s[60:61], s[44:45]
	s_cbranch_execnz .LBB56_17
.LBB56_13:                              ;   in Loop: Header=BB56_4 Depth=1
	s_or_b64 exec, exec, s[60:61]
	s_and_saveexec_b64 s[44:45], s[42:43]
	s_cbranch_execnz .LBB56_18
.LBB56_14:                              ;   in Loop: Header=BB56_4 Depth=1
	s_or_b64 exec, exec, s[44:45]
	s_and_saveexec_b64 s[42:43], s[40:41]
	s_cbranch_execz .LBB56_3
	s_branch .LBB56_19
.LBB56_15:                              ;   in Loop: Header=BB56_4 Depth=1
	v_mov_b32_e32 v5, s62
	v_add_co_u32_e64 v4, s[4:5], s33, v54
	v_addc_co_u32_e64 v5, s[4:5], v5, v55, s[4:5]
	global_load_dwordx4 v[38:41], v[4:5], off offset:-8
	s_or_b64 exec, exec, s[6:7]
	s_and_saveexec_b64 s[60:61], vcc
	s_cbranch_execz .LBB56_12
.LBB56_16:                              ;   in Loop: Header=BB56_4 Depth=1
	v_mov_b32_e32 v4, s48
	v_mov_b32_e32 v5, s49
	;; [unrolled: 1-line block ×4, first 2 shown]
	s_getpc_b64 s[4:5]
	s_add_u32 s4, s4, _ZN2at6native12_GLOBAL__N_14pow_IdEEN3c107complexIT_EES6_S6_@rel32@lo+4
	s_addc_u32 s5, s5, _ZN2at6native12_GLOBAL__N_14pow_IdEEN3c107complexIT_EES6_S6_@rel32@hi+12
	s_swappc_b64 s[30:31], s[4:5]
	v_mov_b32_e32 v5, s62
	v_add_co_u32_e32 v4, vcc, s33, v52
	v_addc_co_u32_e32 v5, vcc, 0, v5, vcc
	global_store_dwordx4 v[4:5], v[0:3], off
	s_or_b64 exec, exec, s[60:61]
	s_and_saveexec_b64 s[60:61], s[44:45]
	s_cbranch_execz .LBB56_13
.LBB56_17:                              ;   in Loop: Header=BB56_4 Depth=1
	s_waitcnt vmcnt(0)
	v_mov_b32_e32 v0, v42
	v_mov_b32_e32 v1, v43
	;; [unrolled: 1-line block ×8, first 2 shown]
	s_getpc_b64 s[4:5]
	s_add_u32 s4, s4, _ZN2at6native12_GLOBAL__N_14pow_IdEEN3c107complexIT_EES6_S6_@rel32@lo+4
	s_addc_u32 s5, s5, _ZN2at6native12_GLOBAL__N_14pow_IdEEN3c107complexIT_EES6_S6_@rel32@hi+12
	s_swappc_b64 s[30:31], s[4:5]
	v_mov_b32_e32 v5, s62
	v_add_co_u32_e32 v4, vcc, s33, v56
	v_addc_co_u32_e32 v5, vcc, 0, v5, vcc
	global_store_dwordx4 v[4:5], v[0:3], off
	s_or_b64 exec, exec, s[60:61]
	s_and_saveexec_b64 s[44:45], s[42:43]
	s_cbranch_execz .LBB56_14
.LBB56_18:                              ;   in Loop: Header=BB56_4 Depth=1
	s_waitcnt vmcnt(0)
	v_mov_b32_e32 v0, v46
	v_mov_b32_e32 v1, v47
	v_mov_b32_e32 v2, v48
	v_mov_b32_e32 v3, v49
	v_mov_b32_e32 v4, s48
	v_mov_b32_e32 v5, s49
	v_mov_b32_e32 v6, s50
	v_mov_b32_e32 v7, s51
	s_getpc_b64 s[4:5]
	s_add_u32 s4, s4, _ZN2at6native12_GLOBAL__N_14pow_IdEEN3c107complexIT_EES6_S6_@rel32@lo+4
	s_addc_u32 s5, s5, _ZN2at6native12_GLOBAL__N_14pow_IdEEN3c107complexIT_EES6_S6_@rel32@hi+12
	s_swappc_b64 s[30:31], s[4:5]
	v_mov_b32_e32 v5, s62
	v_add_co_u32_e32 v4, vcc, s33, v58
	v_addc_co_u32_e32 v5, vcc, v5, v51, vcc
	global_store_dwordx4 v[4:5], v[0:3], off offset:-8
	s_or_b64 exec, exec, s[44:45]
	s_and_saveexec_b64 s[42:43], s[40:41]
	s_cbranch_execz .LBB56_3
.LBB56_19:                              ;   in Loop: Header=BB56_4 Depth=1
	s_waitcnt vmcnt(0)
	v_mov_b32_e32 v0, v38
	v_mov_b32_e32 v1, v39
	;; [unrolled: 1-line block ×8, first 2 shown]
	s_getpc_b64 s[4:5]
	s_add_u32 s4, s4, _ZN2at6native12_GLOBAL__N_14pow_IdEEN3c107complexIT_EES6_S6_@rel32@lo+4
	s_addc_u32 s5, s5, _ZN2at6native12_GLOBAL__N_14pow_IdEEN3c107complexIT_EES6_S6_@rel32@hi+12
	s_swappc_b64 s[30:31], s[4:5]
	v_mov_b32_e32 v5, s62
	v_add_co_u32_e32 v4, vcc, s33, v54
	v_addc_co_u32_e32 v5, vcc, v5, v55, vcc
	global_store_dwordx4 v[4:5], v[0:3], off offset:-8
	s_branch .LBB56_3
.LBB56_20:
	s_cbranch_execz .LBB56_22
	s_branch .LBB56_25
.LBB56_21:
.LBB56_22:
	v_mov_b32_e32 v55, 0
	v_lshlrev_b32_e32 v54, 2, v50
	s_mov_b32 s4, 0
	v_cmp_gt_i64_e32 vcc, s[46:47], v[54:55]
	s_and_saveexec_b64 s[6:7], vcc
	s_cbranch_execz .LBB56_25
; %bb.23:
	s_load_dword s5, s[38:39], 0xd4c
	v_lshlrev_b32_e32 v0, 6, v50
	s_mov_b64 s[38:39], 0
	s_mov_b64 s[40:41], 0xffff
	v_mov_b32_e32 v37, s4
	s_waitcnt lgkmcnt(0)
	s_and_b32 s5, s5, 0xffff
	s_lshl_b32 s33, s5, 2
	s_add_u32 s6, s52, s54
	s_addc_u32 s7, s53, s55
	v_mov_b32_e32 v1, s7
	v_add_co_u32_e32 v56, vcc, s6, v0
	v_add_lshl_u32 v54, v50, s5, 2
	v_addc_co_u32_e32 v57, vcc, 0, v1, vcc
	s_lshl_b32 s42, s5, 6
	v_mov_b32_e32 v58, s4
.LBB56_24:                              ; =>This Inner Loop Header: Depth=1
	global_load_dwordx4 v[0:3], v[56:57], off
	global_load_dwordx4 v[38:41], v[56:57], off offset:16
	global_load_dwordx4 v[42:45], v[56:57], off offset:48
	;; [unrolled: 1-line block ×3, first 2 shown]
	v_mov_b32_e32 v4, s48
	v_mov_b32_e32 v5, s49
	;; [unrolled: 1-line block ×4, first 2 shown]
	s_getpc_b64 s[44:45]
	s_add_u32 s44, s44, _ZN2at6native12_GLOBAL__N_14pow_IdEEN3c107complexIT_EES6_S6_@rel32@lo+4
	s_addc_u32 s45, s45, _ZN2at6native12_GLOBAL__N_14pow_IdEEN3c107complexIT_EES6_S6_@rel32@hi+12
	s_swappc_b64 s[30:31], s[44:45]
	v_mov_b32_e32 v50, v0
	v_mov_b32_e32 v51, v1
	v_mov_b32_e32 v52, v2
	v_mov_b32_e32 v53, v3
	v_mov_b32_e32 v0, v38
	v_mov_b32_e32 v1, v39
	v_mov_b32_e32 v2, v40
	v_mov_b32_e32 v3, v41
	v_mov_b32_e32 v4, s48
	v_mov_b32_e32 v5, s49
	v_mov_b32_e32 v6, s50
	v_mov_b32_e32 v7, s51
	s_swappc_b64 s[30:31], s[44:45]
	v_mov_b32_e32 v38, v0
	v_mov_b32_e32 v39, v1
	v_mov_b32_e32 v40, v2
	v_mov_b32_e32 v41, v3
	v_mov_b32_e32 v0, v46
	v_mov_b32_e32 v1, v47
	v_mov_b32_e32 v2, v48
	v_mov_b32_e32 v3, v49
	v_mov_b32_e32 v4, s48
	v_mov_b32_e32 v5, s49
	v_mov_b32_e32 v6, s50
	v_mov_b32_e32 v7, s51
	;; [unrolled: 13-line block ×3, first 2 shown]
	s_swappc_b64 s[30:31], s[44:45]
	v_cmp_le_i64_e32 vcc, s[46:47], v[54:55]
	v_cmp_lt_u64_e64 s[4:5], s[40:41], v[54:55]
	s_or_b64 s[4:5], vcc, s[4:5]
	global_store_dwordx4 v[56:57], v[50:53], off
	global_store_dwordx4 v[56:57], v[38:41], off offset:16
	global_store_dwordx4 v[56:57], v[46:49], off offset:32
	v_add_co_u32_e64 v54, s[6:7], s33, v54
	global_store_dwordx4 v[56:57], v[0:3], off offset:48
	v_add_co_u32_e32 v56, vcc, s42, v56
	s_and_b64 s[4:5], exec, s[4:5]
	v_addc_co_u32_e64 v55, s[6:7], v55, v37, s[6:7]
	s_or_b64 s[38:39], s[4:5], s[38:39]
	v_addc_co_u32_e32 v57, vcc, v57, v58, vcc
	s_andn2_b64 exec, exec, s[38:39]
	s_cbranch_execnz .LBB56_24
.LBB56_25:
	s_endpgm
	.section	.rodata,"a",@progbits
	.p2align	6, 0x0
	.amdhsa_kernel _ZN2at6native12_GLOBAL__N_125multi_tensor_apply_kernelINS1_18TensorListMetadataILi1EEENS1_21BinaryOpScalarFunctorIN3c107complexIdEELi1ELi1ELi0EEEJNS1_13power_functorIS8_EES8_EEEvT_T0_DpT1_
		.amdhsa_group_segment_fixed_size 0
		.amdhsa_private_segment_fixed_size 8
		.amdhsa_kernarg_size 3648
		.amdhsa_user_sgpr_count 8
		.amdhsa_user_sgpr_private_segment_buffer 1
		.amdhsa_user_sgpr_dispatch_ptr 0
		.amdhsa_user_sgpr_queue_ptr 0
		.amdhsa_user_sgpr_kernarg_segment_ptr 1
		.amdhsa_user_sgpr_dispatch_id 0
		.amdhsa_user_sgpr_flat_scratch_init 1
		.amdhsa_user_sgpr_kernarg_preload_length 0
		.amdhsa_user_sgpr_kernarg_preload_offset 0
		.amdhsa_user_sgpr_private_segment_size 0
		.amdhsa_uses_dynamic_stack 0
		.amdhsa_system_sgpr_private_segment_wavefront_offset 1
		.amdhsa_system_sgpr_workgroup_id_x 1
		.amdhsa_system_sgpr_workgroup_id_y 0
		.amdhsa_system_sgpr_workgroup_id_z 0
		.amdhsa_system_sgpr_workgroup_info 0
		.amdhsa_system_vgpr_workitem_id 0
		.amdhsa_next_free_vgpr 62
		.amdhsa_next_free_sgpr 65
		.amdhsa_accum_offset 64
		.amdhsa_reserve_vcc 1
		.amdhsa_reserve_flat_scratch 1
		.amdhsa_float_round_mode_32 0
		.amdhsa_float_round_mode_16_64 0
		.amdhsa_float_denorm_mode_32 3
		.amdhsa_float_denorm_mode_16_64 3
		.amdhsa_dx10_clamp 1
		.amdhsa_ieee_mode 1
		.amdhsa_fp16_overflow 0
		.amdhsa_tg_split 0
		.amdhsa_exception_fp_ieee_invalid_op 0
		.amdhsa_exception_fp_denorm_src 0
		.amdhsa_exception_fp_ieee_div_zero 0
		.amdhsa_exception_fp_ieee_overflow 0
		.amdhsa_exception_fp_ieee_underflow 0
		.amdhsa_exception_fp_ieee_inexact 0
		.amdhsa_exception_int_div_zero 0
	.end_amdhsa_kernel
	.section	.text._ZN2at6native12_GLOBAL__N_125multi_tensor_apply_kernelINS1_18TensorListMetadataILi1EEENS1_21BinaryOpScalarFunctorIN3c107complexIdEELi1ELi1ELi0EEEJNS1_13power_functorIS8_EES8_EEEvT_T0_DpT1_,"axG",@progbits,_ZN2at6native12_GLOBAL__N_125multi_tensor_apply_kernelINS1_18TensorListMetadataILi1EEENS1_21BinaryOpScalarFunctorIN3c107complexIdEELi1ELi1ELi0EEEJNS1_13power_functorIS8_EES8_EEEvT_T0_DpT1_,comdat
.Lfunc_end56:
	.size	_ZN2at6native12_GLOBAL__N_125multi_tensor_apply_kernelINS1_18TensorListMetadataILi1EEENS1_21BinaryOpScalarFunctorIN3c107complexIdEELi1ELi1ELi0EEEJNS1_13power_functorIS8_EES8_EEEvT_T0_DpT1_, .Lfunc_end56-_ZN2at6native12_GLOBAL__N_125multi_tensor_apply_kernelINS1_18TensorListMetadataILi1EEENS1_21BinaryOpScalarFunctorIN3c107complexIdEELi1ELi1ELi0EEEJNS1_13power_functorIS8_EES8_EEEvT_T0_DpT1_
                                        ; -- End function
	.section	.AMDGPU.csdata,"",@progbits
; Kernel info:
; codeLenInByte = 1564
; NumSgprs: 71
; NumVgprs: 62
; NumAgprs: 0
; TotalNumVgprs: 62
; ScratchSize: 8
; MemoryBound: 1
; FloatMode: 240
; IeeeMode: 1
; LDSByteSize: 0 bytes/workgroup (compile time only)
; SGPRBlocks: 8
; VGPRBlocks: 7
; NumSGPRsForWavesPerEU: 71
; NumVGPRsForWavesPerEU: 62
; AccumOffset: 64
; Occupancy: 8
; WaveLimiterHint : 0
; COMPUTE_PGM_RSRC2:SCRATCH_EN: 1
; COMPUTE_PGM_RSRC2:USER_SGPR: 8
; COMPUTE_PGM_RSRC2:TRAP_HANDLER: 0
; COMPUTE_PGM_RSRC2:TGID_X_EN: 1
; COMPUTE_PGM_RSRC2:TGID_Y_EN: 0
; COMPUTE_PGM_RSRC2:TGID_Z_EN: 0
; COMPUTE_PGM_RSRC2:TIDIG_COMP_CNT: 0
; COMPUTE_PGM_RSRC3_GFX90A:ACCUM_OFFSET: 15
; COMPUTE_PGM_RSRC3_GFX90A:TG_SPLIT: 0
	.text
	.p2align	2                               ; -- Begin function _ZN2at6native12_GLOBAL__N_14pow_IfEEN3c107complexIT_EES6_S6_
	.type	_ZN2at6native12_GLOBAL__N_14pow_IfEEN3c107complexIT_EES6_S6_,@function
_ZN2at6native12_GLOBAL__N_14pow_IfEEN3c107complexIT_EES6_S6_: ; @_ZN2at6native12_GLOBAL__N_14pow_IfEEN3c107complexIT_EES6_S6_
; %bb.0:
	s_waitcnt vmcnt(0) expcnt(0) lgkmcnt(0)
	v_cmp_o_f32_e32 vcc, v0, v1
                                        ; implicit-def: $vgpr6
                                        ; implicit-def: $vgpr7
	s_and_saveexec_b64 s[4:5], vcc
	s_xor_b64 s[8:9], exec, s[4:5]
	s_cbranch_execz .LBB57_28
; %bb.1:
	v_cmp_lt_f32_e64 s[4:5], |v0|, |v1|
	v_cndmask_b32_e64 v4, v1, v0, s[4:5]
	s_mov_b32 s6, 0x77f684df
	v_cmp_ngt_f32_e64 s[6:7], |v4|, s6
                                        ; implicit-def: $vgpr6
                                        ; implicit-def: $vgpr7
	s_and_saveexec_b64 s[10:11], s[6:7]
	s_xor_b64 s[10:11], exec, s[10:11]
	s_cbranch_execz .LBB57_25
; %bb.2:
	v_cndmask_b32_e64 v5, v0, v1, s[4:5]
	v_and_b32_e32 v5, 0x7fffffff, v5
	v_and_b32_e32 v4, 0x7fffffff, v4
	v_cmp_neq_f32_e32 vcc, 1.0, v5
                                        ; implicit-def: $vgpr6
                                        ; implicit-def: $vgpr7
	s_and_saveexec_b64 s[6:7], vcc
	s_xor_b64 s[12:13], exec, s[6:7]
	s_cbranch_execz .LBB57_18
; %bb.3:
	v_max_f32_e32 v6, v4, v4
	v_max_f32_e32 v7, v5, v5
	v_min_f32_e32 v8, v7, v6
	s_mov_b32 s6, 0x358637bd
	v_cmp_ngt_f32_e32 vcc, s6, v8
	v_max_f32_e32 v6, v7, v6
	s_mov_b32 s6, 0x49742400
	v_cmp_nlt_f32_e64 s[6:7], s6, v6
	s_and_b64 s[6:7], s[6:7], vcc
                                        ; implicit-def: $vgpr6
                                        ; implicit-def: $vgpr7
	s_and_saveexec_b64 s[14:15], s[6:7]
	s_xor_b64 s[14:15], exec, s[14:15]
	s_cbranch_execz .LBB57_15
; %bb.4:
	s_mov_b32 s7, 1.0
	v_cmp_le_f32_e32 vcc, 1.0, v5
                                        ; implicit-def: $vgpr6
                                        ; implicit-def: $vgpr7
	s_and_saveexec_b64 s[16:17], vcc
	s_xor_b64 s[16:17], exec, s[16:17]
	s_cbranch_execz .LBB57_6
; %bb.5:
	s_mov_b32 s6, -1.0
	v_pk_add_f32 v[6:7], v[4:5], s[6:7] op_sel:[1,0]
	v_mov_b32_e32 v8, v7
	v_pk_mul_f32 v[6:7], v[6:7], v[8:9]
	v_pk_fma_f32 v[4:5], v[4:5], v[4:5], v[6:7]
	v_add_f32_e32 v7, 1.0, v4
	v_add_f32_e32 v5, -1.0, v7
	v_mov_b32_e32 v6, v5
	v_pk_add_f32 v[8:9], v[4:5], v[6:7] neg_lo:[0,1] neg_hi:[0,1]
	v_add_f32_e32 v5, 1.0, v9
	v_add_f32_e32 v5, v8, v5
	v_frexp_mant_f32_e32 v6, v7
	s_mov_b32 s6, 0x3f2aaaab
	v_cvt_f64_f32_e32 v[8:9], v7
	v_frexp_exp_i32_f64_e32 v8, v[8:9]
	v_cmp_gt_f32_e32 vcc, s6, v6
	v_subbrev_co_u32_e32 v14, vcc, 0, v8, vcc
	v_sub_u32_e32 v6, 0, v14
	v_ldexp_f32 v7, v7, v6
	v_ldexp_f32 v5, v5, v6
	v_add_f32_e32 v6, -1.0, v7
	v_add_f32_e32 v9, 1.0, v7
	v_add_f32_e32 v8, 1.0, v6
	v_add_f32_e32 v10, -1.0, v9
	v_sub_f32_e32 v8, v7, v8
	v_sub_f32_e32 v7, v7, v10
	v_add_f32_e32 v8, v5, v8
	v_add_f32_e32 v5, v5, v7
	v_add_f32_e32 v15, v9, v5
	v_rcp_f32_e32 v16, v15
	v_sub_f32_e32 v7, v15, v9
	v_sub_f32_e32 v5, v5, v7
	v_add_f32_e32 v7, v6, v8
	v_sub_f32_e32 v6, v7, v6
	v_mul_f32_e32 v18, v7, v16
	v_sub_f32_e32 v17, v8, v6
	v_mul_f32_e32 v8, v15, v18
	v_fma_f32 v10, v18, v15, -v8
	v_fmac_f32_e32 v10, v18, v5
	v_add_f32_e32 v6, v8, v10
	v_sub_f32_e32 v9, v7, v6
	v_pk_add_f32 v[12:13], v[6:7], v[8:9] neg_lo:[0,1] neg_hi:[0,1]
	v_mov_b32_e32 v11, v6
	v_pk_add_f32 v[6:7], v[12:13], v[10:11] neg_lo:[0,1] neg_hi:[0,1]
	v_add_f32_e32 v7, v17, v7
	v_add_f32_e32 v6, v6, v7
	;; [unrolled: 1-line block ×3, first 2 shown]
	v_mul_f32_e32 v17, v16, v7
	v_mul_f32_e32 v8, v15, v17
	v_fma_f32 v10, v17, v15, -v8
	v_fmac_f32_e32 v10, v17, v5
	v_sub_f32_e32 v5, v9, v7
	v_add_f32_e32 v5, v6, v5
	v_add_f32_e32 v6, v8, v10
	v_sub_f32_e32 v9, v7, v6
	v_pk_add_f32 v[12:13], v[6:7], v[8:9] neg_lo:[0,1] neg_hi:[0,1]
	v_mov_b32_e32 v11, v6
	v_pk_add_f32 v[6:7], v[12:13], v[10:11] neg_lo:[0,1] neg_hi:[0,1]
	v_add_f32_e32 v5, v5, v7
	v_add_f32_e32 v5, v6, v5
	v_add_f32_e32 v6, v18, v17
	v_add_f32_e32 v5, v9, v5
	v_sub_f32_e32 v7, v6, v18
	v_mul_f32_e32 v5, v16, v5
	v_sub_f32_e32 v7, v17, v7
	v_add_f32_e32 v5, v7, v5
	v_add_f32_e32 v9, v6, v5
	v_mul_f32_e32 v10, v9, v9
	v_mov_b32_e32 v8, 0x3ecc95a3
	v_fmac_f32_e32 v8, 0x3e9b6dac, v10
	v_mov_b32_e32 v7, 0x3f2aaada
	v_fmac_f32_e32 v7, v10, v8
	v_cvt_f32_i32_e32 v8, v14
	v_sub_f32_e32 v6, v9, v6
	v_sub_f32_e32 v5, v5, v6
	v_ldexp_f32 v11, v9, 1
	v_mul_f32_e32 v9, v9, v10
	v_mov_b32_e32 v6, 0x3f317218
	s_mov_b32 s6, 0x3f317218
	v_pk_mul_f32 v[6:7], v[8:9], v[6:7]
	v_fma_f32 v10, v8, s6, -v6
	v_fmac_f32_e32 v10, 0xb102e308, v8
	v_pk_add_f32 v[8:9], v[6:7], v[10:11]
	v_sub_f32_e32 v11, v9, v11
	v_ldexp_f32 v5, v5, 1
	v_sub_f32_e32 v11, v7, v11
	v_add_f32_e32 v13, v5, v11
	v_mov_b32_e32 v12, v6
	v_pk_add_f32 v[6:7], v[8:9], v[6:7] neg_lo:[0,1] neg_hi:[0,1]
	v_pk_add_f32 v[14:15], v[8:9], v[12:13]
	v_mov_b32_e32 v7, v15
	v_mov_b32_e32 v11, v8
	v_pk_add_f32 v[16:17], v[10:11], v[6:7] neg_lo:[0,1] neg_hi:[0,1]
	v_pk_add_f32 v[6:7], v[10:11], v[6:7]
	v_mov_b32_e32 v10, v7
	v_pk_add_f32 v[18:19], v[10:11], v[8:9] neg_lo:[0,1] neg_hi:[0,1]
	v_mov_b32_e32 v5, v18
	v_pk_add_f32 v[20:21], v[14:15], v[4:5] neg_lo:[0,1] neg_hi:[0,1]
	v_mov_b32_e32 v6, v15
	v_mov_b32_e32 v14, v9
	;; [unrolled: 1-line block ×4, first 2 shown]
	v_pk_add_f32 v[6:7], v[6:7], v[14:15] neg_lo:[0,1] neg_hi:[0,1]
	v_mov_b32_e32 v12, v13
	v_mov_b32_e32 v13, v8
	v_pk_add_f32 v[6:7], v[12:13], v[6:7] neg_lo:[0,1] neg_hi:[0,1]
	v_mov_b32_e32 v20, v16
	v_pk_add_f32 v[8:9], v[20:21], v[6:7]
	v_mov_b32_e32 v12, v9
	v_pk_add_f32 v[12:13], v[8:9], v[12:13]
	v_pk_add_f32 v[10:11], v[10:11], v[12:13]
	v_mov_b32_e32 v9, v10
	v_pk_add_f32 v[14:15], v[8:9], v[16:17] neg_lo:[0,1] neg_hi:[0,1]
	v_mov_b32_e32 v7, v12
	v_sub_f32_e32 v5, v8, v14
	v_pk_add_f32 v[6:7], v[6:7], v[14:15] neg_lo:[0,1] neg_hi:[0,1]
	v_sub_f32_e32 v5, v16, v5
	v_add_f32_e32 v5, v6, v5
	v_add_f32_e32 v5, v5, v7
	s_mov_b32 s6, 0x7f800000
	v_add_f32_e32 v5, v10, v5
	v_cmp_eq_f32_e32 vcc, s6, v4
	v_cndmask_b32_e32 v5, v5, v4, vcc
	v_mov_b32_e32 v6, 0x7fc00000
	v_cmp_ngt_f32_e32 vcc, -1.0, v4
	v_cndmask_b32_e32 v5, v6, v5, vcc
	v_mov_b32_e32 v6, 0xff800000
	v_cmp_neq_f32_e32 vcc, -1.0, v4
	s_mov_b32 s6, 0x33800000
	v_cndmask_b32_e32 v5, v6, v5, vcc
	v_cmp_lt_f32_e64 vcc, |v4|, s6
	v_cndmask_b32_e32 v4, v5, v4, vcc
	v_mul_f32_e32 v6, 0.5, v4
	v_max_f32_e64 v4, |v1|, |v1|
	v_max_f32_e64 v5, |v0|, |v0|
	v_min_f32_e32 v7, v5, v4
	v_max_f32_e32 v4, v5, v4
	v_frexp_mant_f32_e32 v5, v4
	v_rcp_f32_e32 v5, v5
	v_frexp_exp_i32_f32_e32 v4, v4
	v_frexp_exp_i32_f32_e32 v8, v7
	v_frexp_mant_f32_e32 v7, v7
	v_mul_f32_e32 v5, v7, v5
	v_sub_u32_e32 v4, v8, v4
	v_ldexp_f32 v4, v5, v4
	v_mul_f32_e32 v5, v4, v4
	v_mov_b32_e32 v7, 0xbc7a590c
	v_fmac_f32_e32 v7, 0x3b2d2a58, v5
	v_mov_b32_e32 v8, 0x3d29fb3f
	v_fmac_f32_e32 v8, v5, v7
	;; [unrolled: 2-line block ×7, first 2 shown]
	v_mul_f32_e32 v5, v5, v7
	v_fmac_f32_e32 v4, v4, v5
	v_sub_f32_e32 v5, 0x3fc90fdb, v4
	v_cndmask_b32_e64 v4, v4, v5, s[4:5]
	v_sub_f32_e32 v5, 0x40490fdb, v4
	v_cmp_gt_f32_e32 vcc, 0, v0
	v_cndmask_b32_e32 v4, v4, v5, vcc
	v_mov_b32_e32 v5, 0x40490fdb
	v_cmp_gt_i32_e64 s[6:7], 0, v0
	v_cndmask_b32_e64 v5, 0, v5, s[6:7]
	v_cmp_eq_f32_e64 s[6:7], 0, v1
	s_movk_i32 s18, 0x204
	v_cndmask_b32_e64 v4, v4, v5, s[6:7]
	v_mov_b32_e32 v5, 0x3f490fdb
	v_mov_b32_e32 v7, 0x4016cbe4
	v_cmp_class_f32_e64 s[6:7], v0, s18
	v_cmp_class_f32_e64 s[18:19], v1, s18
	v_cndmask_b32_e32 v5, v5, v7, vcc
	s_and_b64 vcc, s[6:7], s[18:19]
	v_cndmask_b32_e32 v7, v4, v5, vcc
                                        ; implicit-def: $vgpr4_vgpr5
.LBB57_6:
	s_andn2_saveexec_b64 s[16:17], s[16:17]
	s_cbranch_execz .LBB57_14
; %bb.7:
	v_pk_mul_f32 v[6:7], v[4:5], v[4:5]
	v_add_f32_e32 v8, v7, v6
	s_mov_b32 s6, 0x3f333333
	v_cmp_ge_f32_e32 vcc, s6, v8
                                        ; implicit-def: $vgpr6
                                        ; implicit-def: $vgpr7
	s_and_saveexec_b64 s[6:7], vcc
	s_xor_b64 s[18:19], exec, s[6:7]
	s_cbranch_execz .LBB57_9
; %bb.8:
	s_mov_b32 s6, 0x800000
	v_mov_b32_e32 v4, 0x4f800000
	v_cmp_gt_f32_e32 vcc, s6, v8
	v_cndmask_b32_e32 v4, 1.0, v4, vcc
	v_mul_f32_e32 v4, v8, v4
	v_log_f32_e32 v4, v4
	s_mov_b32 s6, 0x3f317217
	s_movk_i32 s20, 0x204
	v_mul_f32_e32 v5, 0x3f317217, v4
	v_fma_f32 v6, v4, s6, -v5
	v_fmac_f32_e32 v6, 0x3377d1cf, v4
	s_mov_b32 s6, 0x7f800000
	v_add_f32_e32 v5, v5, v6
	v_cmp_lt_f32_e64 s[6:7], |v4|, s6
	v_cndmask_b32_e64 v4, v4, v5, s[6:7]
	v_mov_b32_e32 v5, 0x41b17218
	v_cndmask_b32_e32 v5, 0, v5, vcc
	v_sub_f32_e32 v4, v4, v5
	v_mul_f32_e32 v6, 0.5, v4
	v_max_f32_e64 v4, |v1|, |v1|
	v_max_f32_e64 v5, |v0|, |v0|
	v_min_f32_e32 v7, v5, v4
	v_max_f32_e32 v4, v5, v4
	v_frexp_mant_f32_e32 v5, v4
	v_rcp_f32_e32 v5, v5
	v_frexp_exp_i32_f32_e32 v4, v4
	v_frexp_exp_i32_f32_e32 v8, v7
	v_frexp_mant_f32_e32 v7, v7
	v_mul_f32_e32 v5, v7, v5
	v_sub_u32_e32 v4, v8, v4
	v_ldexp_f32 v4, v5, v4
	v_mul_f32_e32 v5, v4, v4
	v_mov_b32_e32 v7, 0xbc7a590c
	v_fmac_f32_e32 v7, 0x3b2d2a58, v5
	v_mov_b32_e32 v8, 0x3d29fb3f
	v_fmac_f32_e32 v8, v5, v7
	;; [unrolled: 2-line block ×7, first 2 shown]
	v_mul_f32_e32 v5, v5, v7
	v_fmac_f32_e32 v4, v4, v5
	v_sub_f32_e32 v5, 0x3fc90fdb, v4
	v_cndmask_b32_e64 v4, v4, v5, s[4:5]
	v_sub_f32_e32 v5, 0x40490fdb, v4
	v_cmp_gt_f32_e32 vcc, 0, v0
	v_cndmask_b32_e32 v4, v4, v5, vcc
	v_mov_b32_e32 v5, 0x40490fdb
	v_cmp_gt_i32_e64 s[6:7], 0, v0
	v_cndmask_b32_e64 v5, 0, v5, s[6:7]
	v_cmp_eq_f32_e64 s[6:7], 0, v1
	v_cndmask_b32_e64 v4, v4, v5, s[6:7]
	v_mov_b32_e32 v5, 0x3f490fdb
	v_mov_b32_e32 v7, 0x4016cbe4
	v_cmp_class_f32_e64 s[6:7], v0, s20
	v_cmp_class_f32_e64 s[20:21], v1, s20
	v_cndmask_b32_e32 v5, v5, v7, vcc
	s_and_b64 vcc, s[6:7], s[20:21]
	v_cndmask_b32_e32 v7, v4, v5, vcc
                                        ; implicit-def: $vgpr4_vgpr5
.LBB57_9:
	s_andn2_saveexec_b64 s[18:19], s[18:19]
	s_cbranch_execz .LBB57_13
; %bb.10:
	v_and_b32_e32 v7, 0x7fff0000, v4
	v_and_b32_e32 v6, 0x7fff0000, v5
	v_pk_add_f32 v[4:5], v[4:5], v[6:7] op_sel:[1,0] op_sel_hi:[0,1] neg_lo:[0,1] neg_hi:[0,1]
	v_and_b32_e32 v9, 0xffff0000, v5
	v_and_b32_e32 v8, 0xffff0000, v4
	v_add_f32_e32 v12, v6, v6
	v_pk_add_f32 v[16:17], v[4:5], v[8:9] neg_lo:[0,1] neg_hi:[0,1]
	v_pk_mul_f32 v[4:5], v[6:7], v[6:7]
	v_mul_f32_e32 v11, v12, v8
	v_add_f32_e32 v14, v7, v7
	v_pk_mul_f32 v[6:7], v[8:9], v[8:9]
	v_add_f32_e32 v8, v8, v8
	v_mul_f32_e32 v10, v14, v9
	v_mul_f32_e32 v13, v12, v16
	;; [unrolled: 1-line block ×4, first 2 shown]
	v_add_f32_e32 v8, v9, v9
	v_mul_f32_e32 v15, v8, v17
	v_pk_mul_f32 v[8:9], v[16:17], v[16:17]
	s_mov_b64 s[20:21], 0
.LBB57_11:                              ; =>This Inner Loop Header: Depth=1
	v_cmp_nlt_f32_e32 vcc, v4, v5
	v_cndmask_b32_e32 v16, v4, v5, vcc
	v_cmp_nlt_f32_e64 s[6:7], v16, v11
	v_cndmask_b32_e64 v17, v16, v11, s[6:7]
	v_cndmask_b32_e32 v4, v5, v4, vcc
	s_and_b64 s[22:23], vcc, s[6:7]
	v_cmp_nlt_f32_e32 vcc, v17, v10
	v_cndmask_b32_e64 v5, v11, v16, s[6:7]
	v_cndmask_b32_e32 v16, v17, v10, vcc
	v_cmp_nlt_f32_e64 s[6:7], v16, v6
	v_cndmask_b32_e32 v11, v10, v17, vcc
	v_cndmask_b32_e64 v17, v16, v6, s[6:7]
	s_and_b64 s[24:25], vcc, s[6:7]
	v_cmp_nlt_f32_e32 vcc, v17, v7
	v_cndmask_b32_e64 v10, v6, v16, s[6:7]
	v_cndmask_b32_e32 v16, v17, v7, vcc
	v_cmp_nlt_f32_e64 s[6:7], v16, v13
	v_cndmask_b32_e32 v6, v7, v17, vcc
	v_cndmask_b32_e64 v17, v16, v13, s[6:7]
	v_cndmask_b32_e64 v7, v13, v16, s[6:7]
	s_and_b64 s[6:7], vcc, s[6:7]
	v_cmp_nlt_f32_e32 vcc, v17, v12
	v_cndmask_b32_e32 v16, v17, v12, vcc
	v_cndmask_b32_e32 v13, v12, v17, vcc
	s_and_b64 s[6:7], s[6:7], vcc
	v_cmp_nlt_f32_e32 vcc, v16, v14
	v_cndmask_b32_e32 v17, v16, v14, vcc
	v_cndmask_b32_e32 v12, v14, v16, vcc
	s_and_b64 s[6:7], s[6:7], vcc
	;; [unrolled: 4-line block ×4, first 2 shown]
	v_cmp_nlt_f32_e32 vcc, v17, v9
	s_and_b64 s[6:7], s[6:7], vcc
	s_and_b64 s[6:7], s[6:7], s[24:25]
	s_and_b64 s[6:7], s[6:7], s[22:23]
	s_and_b64 s[6:7], exec, s[6:7]
	v_cndmask_b32_e32 v8, v9, v17, vcc
	s_or_b64 s[20:21], s[6:7], s[20:21]
	v_cndmask_b32_e32 v9, v17, v9, vcc
	s_andn2_b64 exec, exec, s[20:21]
	s_cbranch_execnz .LBB57_11
; %bb.12:
	s_or_b64 exec, exec, s[20:21]
	v_add_f32_e32 v4, -1.0, v4
	v_add_f32_e32 v4, v4, v5
	v_add_f32_e32 v4, v4, v11
	;; [unrolled: 1-line block ×11, first 2 shown]
	v_add_f32_e32 v7, 1.0, v4
	v_add_f32_e32 v5, -1.0, v7
	v_mov_b32_e32 v6, v5
	v_pk_add_f32 v[8:9], v[4:5], v[6:7] neg_lo:[0,1] neg_hi:[0,1]
	v_add_f32_e32 v5, 1.0, v9
	v_add_f32_e32 v5, v8, v5
	v_frexp_mant_f32_e32 v6, v7
	s_mov_b32 s6, 0x3f2aaaab
	v_cvt_f64_f32_e32 v[8:9], v7
	v_frexp_exp_i32_f64_e32 v8, v[8:9]
	v_cmp_gt_f32_e32 vcc, s6, v6
	v_subbrev_co_u32_e32 v14, vcc, 0, v8, vcc
	v_sub_u32_e32 v6, 0, v14
	v_ldexp_f32 v7, v7, v6
	v_ldexp_f32 v5, v5, v6
	v_add_f32_e32 v6, -1.0, v7
	v_add_f32_e32 v9, 1.0, v7
	v_add_f32_e32 v8, 1.0, v6
	v_add_f32_e32 v10, -1.0, v9
	v_sub_f32_e32 v8, v7, v8
	v_sub_f32_e32 v7, v7, v10
	v_add_f32_e32 v8, v5, v8
	v_add_f32_e32 v5, v5, v7
	;; [unrolled: 1-line block ×3, first 2 shown]
	v_rcp_f32_e32 v16, v15
	v_sub_f32_e32 v7, v15, v9
	v_sub_f32_e32 v5, v5, v7
	v_add_f32_e32 v7, v6, v8
	v_sub_f32_e32 v6, v7, v6
	v_mul_f32_e32 v18, v7, v16
	v_sub_f32_e32 v17, v8, v6
	v_mul_f32_e32 v8, v15, v18
	v_fma_f32 v10, v18, v15, -v8
	v_fmac_f32_e32 v10, v18, v5
	v_add_f32_e32 v6, v8, v10
	v_sub_f32_e32 v9, v7, v6
	v_pk_add_f32 v[12:13], v[6:7], v[8:9] neg_lo:[0,1] neg_hi:[0,1]
	v_mov_b32_e32 v11, v6
	v_pk_add_f32 v[6:7], v[12:13], v[10:11] neg_lo:[0,1] neg_hi:[0,1]
	v_add_f32_e32 v7, v17, v7
	v_add_f32_e32 v6, v6, v7
	;; [unrolled: 1-line block ×3, first 2 shown]
	v_mul_f32_e32 v17, v16, v7
	v_mul_f32_e32 v8, v15, v17
	v_fma_f32 v10, v17, v15, -v8
	v_fmac_f32_e32 v10, v17, v5
	v_sub_f32_e32 v5, v9, v7
	v_add_f32_e32 v5, v6, v5
	v_add_f32_e32 v6, v8, v10
	v_sub_f32_e32 v9, v7, v6
	v_pk_add_f32 v[12:13], v[6:7], v[8:9] neg_lo:[0,1] neg_hi:[0,1]
	v_mov_b32_e32 v11, v6
	v_pk_add_f32 v[6:7], v[12:13], v[10:11] neg_lo:[0,1] neg_hi:[0,1]
	v_add_f32_e32 v5, v5, v7
	v_add_f32_e32 v5, v6, v5
	v_add_f32_e32 v6, v18, v17
	v_add_f32_e32 v5, v9, v5
	v_sub_f32_e32 v7, v6, v18
	v_mul_f32_e32 v5, v16, v5
	v_sub_f32_e32 v7, v17, v7
	v_add_f32_e32 v5, v7, v5
	v_add_f32_e32 v9, v6, v5
	v_mul_f32_e32 v10, v9, v9
	v_mov_b32_e32 v8, 0x3ecc95a3
	v_fmac_f32_e32 v8, 0x3e9b6dac, v10
	v_mov_b32_e32 v7, 0x3f2aaada
	v_fmac_f32_e32 v7, v10, v8
	v_cvt_f32_i32_e32 v8, v14
	v_sub_f32_e32 v6, v9, v6
	v_sub_f32_e32 v5, v5, v6
	v_ldexp_f32 v11, v9, 1
	v_mul_f32_e32 v9, v9, v10
	v_mov_b32_e32 v6, 0x3f317218
	s_mov_b32 s6, 0x3f317218
	v_pk_mul_f32 v[6:7], v[8:9], v[6:7]
	v_fma_f32 v10, v8, s6, -v6
	v_fmac_f32_e32 v10, 0xb102e308, v8
	v_pk_add_f32 v[8:9], v[6:7], v[10:11]
	v_sub_f32_e32 v11, v9, v11
	v_ldexp_f32 v5, v5, 1
	v_sub_f32_e32 v11, v7, v11
	v_add_f32_e32 v13, v5, v11
	v_mov_b32_e32 v12, v6
	v_pk_add_f32 v[6:7], v[8:9], v[6:7] neg_lo:[0,1] neg_hi:[0,1]
	v_pk_add_f32 v[14:15], v[8:9], v[12:13]
	v_mov_b32_e32 v7, v15
	v_mov_b32_e32 v11, v8
	v_pk_add_f32 v[16:17], v[10:11], v[6:7] neg_lo:[0,1] neg_hi:[0,1]
	v_pk_add_f32 v[6:7], v[10:11], v[6:7]
	v_mov_b32_e32 v10, v7
	v_pk_add_f32 v[18:19], v[10:11], v[8:9] neg_lo:[0,1] neg_hi:[0,1]
	v_mov_b32_e32 v5, v18
	v_pk_add_f32 v[20:21], v[14:15], v[4:5] neg_lo:[0,1] neg_hi:[0,1]
	v_mov_b32_e32 v6, v15
	v_mov_b32_e32 v14, v9
	;; [unrolled: 1-line block ×4, first 2 shown]
	v_pk_add_f32 v[6:7], v[6:7], v[14:15] neg_lo:[0,1] neg_hi:[0,1]
	v_mov_b32_e32 v12, v13
	v_mov_b32_e32 v13, v8
	v_pk_add_f32 v[6:7], v[12:13], v[6:7] neg_lo:[0,1] neg_hi:[0,1]
	v_mov_b32_e32 v20, v16
	v_pk_add_f32 v[8:9], v[20:21], v[6:7]
	v_mov_b32_e32 v12, v9
	v_pk_add_f32 v[12:13], v[8:9], v[12:13]
	v_pk_add_f32 v[10:11], v[10:11], v[12:13]
	v_mov_b32_e32 v9, v10
	v_pk_add_f32 v[14:15], v[8:9], v[16:17] neg_lo:[0,1] neg_hi:[0,1]
	v_mov_b32_e32 v7, v12
	v_sub_f32_e32 v5, v8, v14
	v_pk_add_f32 v[6:7], v[6:7], v[14:15] neg_lo:[0,1] neg_hi:[0,1]
	v_sub_f32_e32 v5, v16, v5
	v_add_f32_e32 v5, v6, v5
	v_add_f32_e32 v5, v5, v7
	s_mov_b32 s6, 0x7f800000
	v_add_f32_e32 v5, v10, v5
	v_cmp_eq_f32_e32 vcc, s6, v4
	v_cndmask_b32_e32 v5, v5, v4, vcc
	v_mov_b32_e32 v6, 0x7fc00000
	v_cmp_ngt_f32_e32 vcc, -1.0, v4
	v_cndmask_b32_e32 v5, v6, v5, vcc
	v_mov_b32_e32 v6, 0xff800000
	v_cmp_neq_f32_e32 vcc, -1.0, v4
	s_mov_b32 s6, 0x33800000
	v_cndmask_b32_e32 v5, v6, v5, vcc
	v_cmp_lt_f32_e64 vcc, |v4|, s6
	v_cndmask_b32_e32 v4, v5, v4, vcc
	v_mul_f32_e32 v6, 0.5, v4
	v_max_f32_e64 v4, |v1|, |v1|
	v_max_f32_e64 v5, |v0|, |v0|
	v_min_f32_e32 v7, v5, v4
	v_max_f32_e32 v4, v5, v4
	v_frexp_mant_f32_e32 v5, v4
	v_rcp_f32_e32 v5, v5
	v_frexp_exp_i32_f32_e32 v4, v4
	v_frexp_exp_i32_f32_e32 v8, v7
	v_frexp_mant_f32_e32 v7, v7
	v_mul_f32_e32 v5, v7, v5
	v_sub_u32_e32 v4, v8, v4
	v_ldexp_f32 v4, v5, v4
	v_mul_f32_e32 v5, v4, v4
	v_mov_b32_e32 v7, 0xbc7a590c
	v_fmac_f32_e32 v7, 0x3b2d2a58, v5
	v_mov_b32_e32 v8, 0x3d29fb3f
	v_fmac_f32_e32 v8, v5, v7
	;; [unrolled: 2-line block ×7, first 2 shown]
	v_mul_f32_e32 v5, v5, v7
	v_fmac_f32_e32 v4, v4, v5
	v_sub_f32_e32 v5, 0x3fc90fdb, v4
	v_cndmask_b32_e64 v4, v4, v5, s[4:5]
	v_sub_f32_e32 v5, 0x40490fdb, v4
	v_cmp_gt_f32_e32 vcc, 0, v0
	v_cndmask_b32_e32 v4, v4, v5, vcc
	v_mov_b32_e32 v5, 0x40490fdb
	v_cmp_gt_i32_e64 s[6:7], 0, v0
	v_cndmask_b32_e64 v5, 0, v5, s[6:7]
	v_cmp_eq_f32_e64 s[6:7], 0, v1
	s_movk_i32 s20, 0x204
	v_cndmask_b32_e64 v4, v4, v5, s[6:7]
	v_mov_b32_e32 v5, 0x3f490fdb
	v_mov_b32_e32 v7, 0x4016cbe4
	v_cmp_class_f32_e64 s[6:7], v0, s20
	v_cmp_class_f32_e64 s[20:21], v1, s20
	v_cndmask_b32_e32 v5, v5, v7, vcc
	s_and_b64 vcc, s[6:7], s[20:21]
	v_cndmask_b32_e32 v7, v4, v5, vcc
.LBB57_13:
	s_or_b64 exec, exec, s[18:19]
.LBB57_14:
	s_or_b64 exec, exec, s[16:17]
.LBB57_15:
	s_andn2_saveexec_b64 s[14:15], s[14:15]
	s_cbranch_execz .LBB57_17
; %bb.16:
	v_max_f32_e64 v7, |v1|, |v1|
	v_max_f32_e64 v8, |v0|, |v0|
	v_max_f32_e32 v9, v8, v7
	v_cvt_f64_f32_e32 v[4:5], v9
	v_frexp_exp_i32_f64_e32 v4, v[4:5]
	v_sub_u32_e32 v5, 0, v4
	v_ldexp_f32 v6, |v0|, v5
	v_ldexp_f32 v5, |v1|, v5
	v_mul_f32_e32 v5, v5, v5
	v_fmac_f32_e32 v5, v6, v6
	v_sqrt_f32_e32 v5, v5
	s_mov_b32 s6, 0x7f800000
	v_cmp_neq_f32_e32 vcc, s6, v9
	s_mov_b32 s7, 0x800000
	v_ldexp_f32 v4, v5, v4
	v_mov_b32_e32 v5, 0x7f800000
	v_cndmask_b32_e32 v4, v5, v4, vcc
	v_mov_b32_e32 v5, 0x4f800000
	v_cmp_gt_f32_e32 vcc, s7, v4
	v_cndmask_b32_e32 v5, 1.0, v5, vcc
	v_mul_f32_e32 v4, v4, v5
	v_log_f32_e32 v4, v4
	s_mov_b32 s7, 0x3f317217
	s_movk_i32 s16, 0x204
	v_mul_f32_e32 v5, 0x3f317217, v4
	v_fma_f32 v6, v4, s7, -v5
	v_fmac_f32_e32 v6, 0x3377d1cf, v4
	v_add_f32_e32 v5, v5, v6
	v_cmp_lt_f32_e64 s[6:7], |v4|, s6
	v_cndmask_b32_e64 v4, v4, v5, s[6:7]
	v_mov_b32_e32 v5, 0x41b17218
	v_cndmask_b32_e32 v5, 0, v5, vcc
	v_sub_f32_e32 v6, v4, v5
	v_frexp_mant_f32_e32 v5, v9
	v_rcp_f32_e32 v5, v5
	v_min_f32_e32 v4, v8, v7
	v_frexp_exp_i32_f32_e32 v7, v9
	v_frexp_exp_i32_f32_e32 v8, v4
	v_frexp_mant_f32_e32 v4, v4
	v_mul_f32_e32 v4, v4, v5
	v_sub_u32_e32 v5, v8, v7
	v_ldexp_f32 v4, v4, v5
	v_mul_f32_e32 v5, v4, v4
	v_mov_b32_e32 v7, 0xbc7a590c
	v_fmac_f32_e32 v7, 0x3b2d2a58, v5
	v_mov_b32_e32 v8, 0x3d29fb3f
	v_fmac_f32_e32 v8, v5, v7
	;; [unrolled: 2-line block ×7, first 2 shown]
	v_mul_f32_e32 v5, v5, v7
	v_fmac_f32_e32 v4, v4, v5
	v_sub_f32_e32 v5, 0x3fc90fdb, v4
	v_cndmask_b32_e64 v4, v4, v5, s[4:5]
	v_sub_f32_e32 v5, 0x40490fdb, v4
	v_cmp_gt_f32_e32 vcc, 0, v0
	v_cndmask_b32_e32 v4, v4, v5, vcc
	v_mov_b32_e32 v5, 0x40490fdb
	v_cmp_gt_i32_e64 s[6:7], 0, v0
	v_cndmask_b32_e64 v5, 0, v5, s[6:7]
	v_cmp_eq_f32_e64 s[6:7], 0, v1
	v_cndmask_b32_e64 v4, v4, v5, s[6:7]
	v_mov_b32_e32 v5, 0x3f490fdb
	v_mov_b32_e32 v7, 0x4016cbe4
	v_cmp_class_f32_e64 s[6:7], v0, s16
	v_cmp_class_f32_e64 s[16:17], v1, s16
	v_cndmask_b32_e32 v5, v5, v7, vcc
	s_and_b64 vcc, s[6:7], s[16:17]
	v_cndmask_b32_e32 v7, v4, v5, vcc
.LBB57_17:
	s_or_b64 exec, exec, s[14:15]
                                        ; implicit-def: $vgpr4
.LBB57_18:
	s_andn2_saveexec_b64 s[12:13], s[12:13]
	s_cbranch_execz .LBB57_24
; %bb.19:
	s_mov_b32 s6, 0x1fec1e4a
	v_cmp_ngt_f32_e32 vcc, s6, v4
                                        ; implicit-def: $vgpr6
                                        ; implicit-def: $vgpr7
	s_and_saveexec_b64 s[6:7], vcc
	s_xor_b64 s[14:15], exec, s[6:7]
	s_cbranch_execz .LBB57_21
; %bb.20:
	v_pk_mul_f32 v[4:5], v[4:5], v[4:5]
	v_add_f32_e32 v7, 1.0, v4
	v_add_f32_e32 v5, -1.0, v7
	v_mov_b32_e32 v6, v5
	v_pk_add_f32 v[8:9], v[4:5], v[6:7] neg_lo:[0,1] neg_hi:[0,1]
	v_add_f32_e32 v5, 1.0, v9
	v_add_f32_e32 v5, v8, v5
	v_frexp_mant_f32_e32 v6, v7
	s_mov_b32 s6, 0x3f2aaaab
	v_cvt_f64_f32_e32 v[8:9], v7
	v_frexp_exp_i32_f64_e32 v8, v[8:9]
	v_cmp_gt_f32_e32 vcc, s6, v6
	v_subbrev_co_u32_e32 v14, vcc, 0, v8, vcc
	v_sub_u32_e32 v6, 0, v14
	v_ldexp_f32 v7, v7, v6
	v_ldexp_f32 v5, v5, v6
	v_add_f32_e32 v6, -1.0, v7
	v_add_f32_e32 v9, 1.0, v7
	v_add_f32_e32 v8, 1.0, v6
	v_add_f32_e32 v10, -1.0, v9
	v_sub_f32_e32 v8, v7, v8
	v_sub_f32_e32 v7, v7, v10
	v_add_f32_e32 v8, v5, v8
	v_add_f32_e32 v5, v5, v7
	;; [unrolled: 1-line block ×3, first 2 shown]
	v_rcp_f32_e32 v16, v15
	v_sub_f32_e32 v7, v9, v15
	v_add_f32_e32 v5, v5, v7
	v_add_f32_e32 v7, v6, v8
	v_sub_f32_e32 v6, v6, v7
	v_mul_f32_e32 v18, v7, v16
	v_add_f32_e32 v17, v8, v6
	v_mul_f32_e32 v8, v15, v18
	v_fma_f32 v10, v18, v15, -v8
	v_fmac_f32_e32 v10, v18, v5
	v_add_f32_e32 v6, v8, v10
	v_sub_f32_e32 v9, v7, v6
	v_pk_add_f32 v[12:13], v[6:7], v[8:9] neg_lo:[0,1] neg_hi:[0,1]
	v_mov_b32_e32 v11, v6
	v_pk_add_f32 v[6:7], v[12:13], v[10:11] neg_lo:[0,1] neg_hi:[0,1]
	v_add_f32_e32 v7, v17, v7
	v_add_f32_e32 v6, v6, v7
	;; [unrolled: 1-line block ×3, first 2 shown]
	v_mul_f32_e32 v17, v16, v7
	v_mul_f32_e32 v8, v15, v17
	v_fma_f32 v10, v17, v15, -v8
	v_fmac_f32_e32 v10, v17, v5
	v_sub_f32_e32 v5, v9, v7
	v_add_f32_e32 v5, v6, v5
	v_add_f32_e32 v6, v8, v10
	v_sub_f32_e32 v9, v7, v6
	v_pk_add_f32 v[12:13], v[6:7], v[8:9] neg_lo:[0,1] neg_hi:[0,1]
	v_mov_b32_e32 v11, v6
	v_pk_add_f32 v[6:7], v[12:13], v[10:11] neg_lo:[0,1] neg_hi:[0,1]
	v_add_f32_e32 v5, v5, v7
	v_add_f32_e32 v5, v6, v5
	;; [unrolled: 1-line block ×4, first 2 shown]
	v_sub_f32_e32 v7, v6, v18
	v_mul_f32_e32 v5, v16, v5
	v_sub_f32_e32 v7, v17, v7
	v_add_f32_e32 v5, v7, v5
	v_add_f32_e32 v9, v6, v5
	v_mul_f32_e32 v10, v9, v9
	v_mov_b32_e32 v8, 0x3ecc95a3
	v_fmac_f32_e32 v8, 0x3e9b6dac, v10
	v_mov_b32_e32 v7, 0x3f2aaada
	v_fmac_f32_e32 v7, v10, v8
	v_cvt_f32_i32_e32 v8, v14
	v_sub_f32_e32 v6, v9, v6
	v_sub_f32_e32 v5, v5, v6
	v_ldexp_f32 v11, v9, 1
	v_mul_f32_e32 v9, v9, v10
	v_mov_b32_e32 v6, 0x3f317218
	s_mov_b32 s6, 0x3f317218
	v_pk_mul_f32 v[6:7], v[8:9], v[6:7]
	v_fma_f32 v10, v8, s6, -v6
	v_fmac_f32_e32 v10, 0xb102e308, v8
	v_pk_add_f32 v[8:9], v[6:7], v[10:11]
	v_sub_f32_e32 v11, v9, v11
	v_ldexp_f32 v5, v5, 1
	v_sub_f32_e32 v11, v7, v11
	v_add_f32_e32 v13, v5, v11
	v_mov_b32_e32 v12, v6
	v_pk_add_f32 v[6:7], v[8:9], v[6:7] neg_lo:[0,1] neg_hi:[0,1]
	v_pk_add_f32 v[14:15], v[8:9], v[12:13]
	v_mov_b32_e32 v7, v15
	v_mov_b32_e32 v11, v8
	v_pk_add_f32 v[16:17], v[10:11], v[6:7] neg_lo:[0,1] neg_hi:[0,1]
	v_pk_add_f32 v[6:7], v[10:11], v[6:7]
	v_mov_b32_e32 v10, v7
	v_pk_add_f32 v[18:19], v[10:11], v[8:9] neg_lo:[0,1] neg_hi:[0,1]
	v_mov_b32_e32 v5, v18
	v_pk_add_f32 v[20:21], v[14:15], v[4:5] neg_lo:[0,1] neg_hi:[0,1]
	v_mov_b32_e32 v6, v15
	v_mov_b32_e32 v14, v9
	;; [unrolled: 1-line block ×4, first 2 shown]
	v_pk_add_f32 v[6:7], v[6:7], v[14:15] neg_lo:[0,1] neg_hi:[0,1]
	v_mov_b32_e32 v12, v13
	v_mov_b32_e32 v13, v8
	v_pk_add_f32 v[6:7], v[12:13], v[6:7] neg_lo:[0,1] neg_hi:[0,1]
	v_mov_b32_e32 v20, v16
	v_pk_add_f32 v[8:9], v[20:21], v[6:7]
	v_mov_b32_e32 v12, v9
	v_pk_add_f32 v[12:13], v[8:9], v[12:13]
	v_pk_add_f32 v[10:11], v[10:11], v[12:13]
	v_mov_b32_e32 v9, v10
	v_pk_add_f32 v[14:15], v[8:9], v[16:17] neg_lo:[0,1] neg_hi:[0,1]
	v_mov_b32_e32 v7, v12
	v_sub_f32_e32 v5, v8, v14
	v_pk_add_f32 v[6:7], v[6:7], v[14:15] neg_lo:[0,1] neg_hi:[0,1]
	v_sub_f32_e32 v5, v16, v5
	s_mov_b32 s6, 0x7f800000
	v_add_f32_e32 v5, v6, v5
	v_cmp_eq_f32_e32 vcc, s6, v4
	s_mov_b32 s6, 0x33800000
	v_add_f32_e32 v5, v5, v7
	v_cmp_lt_f32_e64 s[6:7], |v4|, s6
	v_add_f32_e32 v5, v10, v5
	s_or_b64 vcc, vcc, s[6:7]
	v_cndmask_b32_e32 v4, v5, v4, vcc
	v_mul_f32_e32 v6, 0.5, v4
	v_max_f32_e64 v4, |v1|, |v1|
	v_max_f32_e64 v5, |v0|, |v0|
	v_min_f32_e32 v7, v5, v4
	v_max_f32_e32 v4, v5, v4
	v_frexp_mant_f32_e32 v5, v4
	v_rcp_f32_e32 v5, v5
	v_frexp_exp_i32_f32_e32 v4, v4
	v_frexp_exp_i32_f32_e32 v8, v7
	v_frexp_mant_f32_e32 v7, v7
	v_mul_f32_e32 v5, v7, v5
	v_sub_u32_e32 v4, v8, v4
	v_ldexp_f32 v4, v5, v4
	v_mul_f32_e32 v5, v4, v4
	v_mov_b32_e32 v7, 0xbc7a590c
	v_fmac_f32_e32 v7, 0x3b2d2a58, v5
	v_mov_b32_e32 v8, 0x3d29fb3f
	v_fmac_f32_e32 v8, v5, v7
	;; [unrolled: 2-line block ×7, first 2 shown]
	v_mul_f32_e32 v5, v5, v7
	v_fmac_f32_e32 v4, v4, v5
	v_sub_f32_e32 v5, 0x3fc90fdb, v4
	v_cndmask_b32_e64 v4, v4, v5, s[4:5]
	v_sub_f32_e32 v5, 0x40490fdb, v4
	v_cmp_gt_f32_e32 vcc, 0, v0
	v_cndmask_b32_e32 v4, v4, v5, vcc
	v_mov_b32_e32 v5, 0x40490fdb
	v_cmp_gt_i32_e64 s[6:7], 0, v0
	v_cndmask_b32_e64 v5, 0, v5, s[6:7]
	v_cmp_eq_f32_e64 s[6:7], 0, v1
	s_movk_i32 s16, 0x204
	v_cndmask_b32_e64 v4, v4, v5, s[6:7]
	v_mov_b32_e32 v5, 0x3f490fdb
	v_mov_b32_e32 v7, 0x4016cbe4
	v_cmp_class_f32_e64 s[6:7], v0, s16
	v_cmp_class_f32_e64 s[16:17], v1, s16
	v_cndmask_b32_e32 v5, v5, v7, vcc
	s_and_b64 vcc, s[6:7], s[16:17]
	v_cndmask_b32_e32 v7, v4, v5, vcc
                                        ; implicit-def: $vgpr4
.LBB57_21:
	s_andn2_saveexec_b64 s[14:15], s[14:15]
	s_cbranch_execz .LBB57_23
; %bb.22:
	v_mul_f32_e32 v5, 0.5, v4
	v_mul_f32_e32 v6, v4, v5
	v_max_f32_e64 v4, |v1|, |v1|
	v_max_f32_e64 v5, |v0|, |v0|
	v_min_f32_e32 v7, v5, v4
	v_max_f32_e32 v4, v5, v4
	v_frexp_mant_f32_e32 v5, v4
	v_rcp_f32_e32 v5, v5
	v_frexp_exp_i32_f32_e32 v4, v4
	v_frexp_exp_i32_f32_e32 v8, v7
	v_frexp_mant_f32_e32 v7, v7
	v_mul_f32_e32 v5, v7, v5
	v_sub_u32_e32 v4, v8, v4
	v_ldexp_f32 v4, v5, v4
	v_mul_f32_e32 v5, v4, v4
	v_mov_b32_e32 v7, 0xbc7a590c
	v_fmac_f32_e32 v7, 0x3b2d2a58, v5
	v_mov_b32_e32 v8, 0x3d29fb3f
	v_fmac_f32_e32 v8, v5, v7
	;; [unrolled: 2-line block ×7, first 2 shown]
	v_mul_f32_e32 v5, v5, v7
	v_fmac_f32_e32 v4, v4, v5
	v_sub_f32_e32 v5, 0x3fc90fdb, v4
	v_cndmask_b32_e64 v4, v4, v5, s[4:5]
	v_sub_f32_e32 v5, 0x40490fdb, v4
	v_cmp_gt_f32_e32 vcc, 0, v0
	v_cndmask_b32_e32 v4, v4, v5, vcc
	v_mov_b32_e32 v5, 0x40490fdb
	v_cmp_gt_i32_e64 s[6:7], 0, v0
	v_cndmask_b32_e64 v5, 0, v5, s[6:7]
	v_cmp_eq_f32_e64 s[6:7], 0, v1
	s_movk_i32 s16, 0x204
	v_cndmask_b32_e64 v4, v4, v5, s[6:7]
	v_mov_b32_e32 v5, 0x3f490fdb
	v_mov_b32_e32 v7, 0x4016cbe4
	v_cmp_class_f32_e64 s[6:7], v0, s16
	v_cmp_class_f32_e64 s[16:17], v1, s16
	v_cndmask_b32_e32 v5, v5, v7, vcc
	s_and_b64 vcc, s[6:7], s[16:17]
	v_cndmask_b32_e32 v7, v4, v5, vcc
.LBB57_23:
	s_or_b64 exec, exec, s[14:15]
.LBB57_24:
	s_or_b64 exec, exec, s[12:13]
.LBB57_25:
	s_andn2_saveexec_b64 s[10:11], s[10:11]
	s_cbranch_execz .LBB57_27
; %bb.26:
	s_mov_b32 s12, 0x402df854
	v_div_scale_f32 v4, s[6:7], s12, s12, v0
	v_rcp_f32_e32 v5, v4
	v_div_scale_f32 v6, vcc, v0, s12, v0
	v_fma_f32 v7, -v4, v5, 1.0
	v_fmac_f32_e32 v5, v7, v5
	v_mul_f32_e32 v7, v6, v5
	v_fma_f32 v8, -v4, v7, v6
	v_fmac_f32_e32 v7, v8, v5
	v_fma_f32 v4, -v4, v7, v6
	v_div_scale_f32 v6, s[6:7], s12, s12, v1
	v_rcp_f32_e32 v8, v6
	v_div_fmas_f32 v4, v4, v5, v7
	v_div_fixup_f32 v7, v4, s12, v0
	s_mov_b32 s6, 0x7f800000
	v_fma_f32 v4, -v6, v8, 1.0
	v_fmac_f32_e32 v8, v4, v8
	v_div_scale_f32 v4, vcc, v1, s12, v1
	v_mul_f32_e32 v5, v4, v8
	v_fma_f32 v9, -v6, v5, v4
	v_fmac_f32_e32 v5, v9, v8
	v_fma_f32 v4, -v6, v5, v4
	v_div_fmas_f32 v4, v4, v8, v5
	v_div_fixup_f32 v6, v4, s12, v1
	v_max_f32_e64 v8, |v7|, |v6|
	v_cvt_f64_f32_e32 v[4:5], v8
	v_frexp_exp_i32_f64_e32 v4, v[4:5]
	v_sub_u32_e32 v5, 0, v4
	v_ldexp_f32 v7, |v7|, v5
	v_ldexp_f32 v5, |v6|, v5
	v_mul_f32_e32 v5, v5, v5
	v_fmac_f32_e32 v5, v7, v7
	v_sqrt_f32_e32 v5, v5
	v_cmp_neq_f32_e32 vcc, s6, v8
	s_mov_b32 s7, 0x800000
	v_ldexp_f32 v4, v5, v4
	v_mov_b32_e32 v5, 0x7f800000
	v_cndmask_b32_e32 v4, v5, v4, vcc
	v_mov_b32_e32 v5, 0x4f800000
	v_cmp_gt_f32_e32 vcc, s7, v4
	v_cndmask_b32_e32 v5, 1.0, v5, vcc
	v_mul_f32_e32 v4, v4, v5
	v_log_f32_e32 v4, v4
	s_mov_b32 s7, 0x3f317217
	v_mul_f32_e32 v5, 0x3f317217, v4
	v_fma_f32 v6, v4, s7, -v5
	v_fmac_f32_e32 v6, 0x3377d1cf, v4
	v_add_f32_e32 v5, v5, v6
	v_cmp_lt_f32_e64 s[6:7], |v4|, s6
	v_cndmask_b32_e64 v4, v4, v5, s[6:7]
	v_mov_b32_e32 v5, 0x41b17218
	v_cndmask_b32_e32 v5, 0, v5, vcc
	v_sub_f32_e32 v4, v4, v5
	v_add_f32_e32 v6, 1.0, v4
	v_max_f32_e64 v4, |v1|, |v1|
	v_max_f32_e64 v5, |v0|, |v0|
	v_min_f32_e32 v7, v5, v4
	v_max_f32_e32 v4, v5, v4
	v_frexp_mant_f32_e32 v5, v4
	v_rcp_f32_e32 v5, v5
	v_frexp_exp_i32_f32_e32 v4, v4
	v_frexp_exp_i32_f32_e32 v8, v7
	v_frexp_mant_f32_e32 v7, v7
	v_mul_f32_e32 v5, v7, v5
	v_sub_u32_e32 v4, v8, v4
	v_ldexp_f32 v4, v5, v4
	v_mul_f32_e32 v5, v4, v4
	v_mov_b32_e32 v7, 0xbc7a590c
	v_fmac_f32_e32 v7, 0x3b2d2a58, v5
	v_mov_b32_e32 v8, 0x3d29fb3f
	v_fmac_f32_e32 v8, v5, v7
	;; [unrolled: 2-line block ×7, first 2 shown]
	v_mul_f32_e32 v5, v5, v7
	v_fmac_f32_e32 v4, v4, v5
	v_sub_f32_e32 v5, 0x3fc90fdb, v4
	v_cndmask_b32_e64 v4, v4, v5, s[4:5]
	v_sub_f32_e32 v5, 0x40490fdb, v4
	v_cmp_gt_f32_e32 vcc, 0, v0
	v_cndmask_b32_e32 v4, v4, v5, vcc
	v_mov_b32_e32 v5, 0x40490fdb
	v_cmp_gt_i32_e64 s[4:5], 0, v0
	v_cndmask_b32_e64 v5, 0, v5, s[4:5]
	v_cmp_eq_f32_e64 s[4:5], 0, v1
	s_movk_i32 s6, 0x204
	v_cndmask_b32_e64 v4, v4, v5, s[4:5]
	v_mov_b32_e32 v5, 0x3f490fdb
	v_mov_b32_e32 v7, 0x4016cbe4
	v_cmp_class_f32_e64 s[4:5], v0, s6
	v_cmp_class_f32_e64 s[6:7], v1, s6
	v_cndmask_b32_e32 v5, v5, v7, vcc
	s_and_b64 vcc, s[4:5], s[6:7]
	v_cndmask_b32_e32 v7, v4, v5, vcc
.LBB57_27:
	s_or_b64 exec, exec, s[10:11]
.LBB57_28:
	s_andn2_saveexec_b64 s[6:7], s[8:9]
	s_cbranch_execz .LBB57_34
; %bb.29:
	s_brev_b32 s8, 4
	v_cmp_nlt_f32_e64 s[4:5], |v0|, s8
	v_cmp_nlt_f32_e64 s[8:9], |v1|, s8
	s_or_b64 s[4:5], s[4:5], s[8:9]
                                        ; implicit-def: $vgpr4
	s_and_saveexec_b64 s[8:9], s[4:5]
	s_xor_b64 s[4:5], exec, s[8:9]
; %bb.30:
	v_pk_mul_f32 v[4:5], v[0:1], v[0:1]
	v_add_f32_e32 v4, v4, v5
; %bb.31:
	s_andn2_saveexec_b64 s[4:5], s[4:5]
; %bb.32:
	v_pk_mul_f32 v[4:5], v[0:1], 4.0 op_sel_hi:[1,0]
	v_pk_mul_f32 v[4:5], v[4:5], v[4:5]
	v_add_f32_e32 v0, v4, v5
	v_mul_f32_e32 v4, 0x3d800000, v0
; %bb.33:
	s_or_b64 exec, exec, s[4:5]
	s_mov_b32 s4, 0x800000
	v_mov_b32_e32 v0, 0x4f800000
	v_cmp_gt_f32_e32 vcc, s4, v4
	v_cndmask_b32_e32 v0, 1.0, v0, vcc
	v_mul_f32_e32 v0, v4, v0
	v_log_f32_e32 v0, v0
	s_mov_b32 s4, 0x3f317217
	v_mov_b32_e32 v7, 0x7fc00000
	v_mul_f32_e32 v4, 0x3f317217, v0
	v_fma_f32 v5, v0, s4, -v4
	v_fmac_f32_e32 v5, 0x3377d1cf, v0
	s_mov_b32 s4, 0x7f800000
	v_add_f32_e32 v4, v4, v5
	v_cmp_lt_f32_e64 s[4:5], |v0|, s4
	v_cndmask_b32_e64 v0, v0, v4, s[4:5]
	v_mov_b32_e32 v4, 0x41b17218
	v_cndmask_b32_e32 v4, 0, v4, vcc
	v_sub_f32_e32 v6, v0, v4
.LBB57_34:
	s_or_b64 exec, exec, s[6:7]
	s_brev_b32 s4, -2
	v_bfi_b32 v0, s4, v7, v1
	v_mul_f32_e32 v1, v6, v3
	v_mul_f32_e64 v4, v0, -v3
	v_fmac_f32_e32 v1, v2, v0
	v_fmac_f32_e32 v4, v2, v6
	v_and_b32_e32 v2, 0x7fffffff, v1
	v_cmp_ne_u32_e32 vcc, 0, v2
                                        ; implicit-def: $vgpr0
	s_and_saveexec_b64 s[4:5], vcc
	s_xor_b64 s[10:11], exec, s[4:5]
	s_cbranch_execz .LBB57_40
; %bb.35:
	v_and_b32_e32 v3, 0x7fffffff, v4
	v_cmp_ne_u32_e32 vcc, 0, v3
                                        ; implicit-def: $vgpr0
	s_and_saveexec_b64 s[4:5], vcc
	s_xor_b64 s[12:13], exec, s[4:5]
	s_cbranch_execz .LBB57_67
; %bb.36:
	s_mov_b32 s4, 0x7f800000
	v_cmp_gt_u32_e32 vcc, s4, v2
                                        ; implicit-def: $vgpr0
	s_and_saveexec_b64 s[4:5], vcc
	s_xor_b64 s[14:15], exec, s[4:5]
	s_cbranch_execz .LBB57_60
; %bb.37:
	v_add_u32_e32 v0, 0xbd4e8de8, v4
	s_mov_b32 s4, 0x8e8e5c
	v_cmp_lt_u32_e32 vcc, s4, v0
                                        ; implicit-def: $vgpr0
	s_and_saveexec_b64 s[4:5], vcc
	s_xor_b64 s[16:17], exec, s[4:5]
	s_cbranch_execz .LBB57_49
; %bb.38:
	s_brev_b32 s4, 18
	v_cmp_nlt_f32_e64 s[18:19], |v1|, s4
                                        ; implicit-def: $vgpr0
                                        ; implicit-def: $vgpr3
	s_and_saveexec_b64 s[4:5], s[18:19]
	s_xor_b64 s[20:21], exec, s[4:5]
	s_cbranch_execz .LBB57_42
; %bb.39:
	v_lshrrev_b32_e32 v0, 23, v2
	v_add_u32_e32 v0, 0xffffff88, v0
	v_not_b32_e32 v3, 63
	v_cmp_lt_u32_e32 vcc, 63, v0
	v_cndmask_b32_e32 v3, 0, v3, vcc
	v_add_u32_e32 v0, v3, v0
	v_not_b32_e32 v3, 31
	v_cmp_lt_u32_e64 s[4:5], 31, v0
	v_cndmask_b32_e64 v5, 0, v3, s[4:5]
	v_add_u32_e32 v0, v5, v0
	v_cmp_lt_u32_e64 s[6:7], 31, v0
	v_cndmask_b32_e64 v3, 0, v3, s[6:7]
	v_add_u32_e32 v0, v3, v0
	v_and_b32_e32 v3, 0x7fffff, v2
	v_or_b32_e32 v3, 0x800000, v3
	s_mov_b32 s8, 0xfe5163ab
	v_mad_u64_u32 v[8:9], s[8:9], v3, s8, 0
	v_mov_b32_e32 v7, 0
	v_mov_b32_e32 v6, v9
	s_mov_b32 s8, 0x3c439041
	v_mad_u64_u32 v[10:11], s[8:9], v3, s8, v[6:7]
	v_mov_b32_e32 v6, v11
	s_mov_b32 s8, 0xdb629599
	v_mad_u64_u32 v[12:13], s[8:9], v3, s8, v[6:7]
	;; [unrolled: 3-line block ×6, first 2 shown]
	v_cndmask_b32_e32 v5, v18, v14, vcc
	v_cndmask_b32_e32 v3, v6, v16, vcc
	;; [unrolled: 1-line block ×3, first 2 shown]
	v_cndmask_b32_e64 v6, v3, v5, s[4:5]
	v_cndmask_b32_e64 v3, v7, v3, s[4:5]
	v_cndmask_b32_e32 v7, v16, v12, vcc
	v_cndmask_b32_e64 v5, v5, v7, s[4:5]
	v_cndmask_b32_e64 v3, v3, v6, s[6:7]
	;; [unrolled: 1-line block ×3, first 2 shown]
	v_sub_u32_e32 v9, 32, v0
	v_alignbit_b32 v11, v3, v6, v9
	v_cmp_eq_u32_e64 s[8:9], 0, v0
	v_cndmask_b32_e64 v0, v11, v3, s[8:9]
	v_cndmask_b32_e32 v3, v14, v10, vcc
	v_cndmask_b32_e64 v7, v7, v3, s[4:5]
	v_cndmask_b32_e64 v5, v5, v7, s[6:7]
	v_alignbit_b32 v10, v6, v5, v9
	v_cndmask_b32_e32 v8, v12, v8, vcc
	v_cndmask_b32_e64 v6, v10, v6, s[8:9]
	v_bfe_u32 v13, v0, 29, 1
	v_cndmask_b32_e64 v3, v3, v8, s[4:5]
	v_alignbit_b32 v10, v0, v6, 30
	v_sub_u32_e32 v14, 0, v13
	v_cndmask_b32_e64 v3, v7, v3, s[6:7]
	v_xor_b32_e32 v15, v10, v14
	v_alignbit_b32 v7, v5, v3, v9
	v_cndmask_b32_e64 v5, v7, v5, s[8:9]
	v_ffbh_u32_e32 v7, v15
	v_add_u32_e32 v7, 1, v7
	v_cmp_ne_u32_e32 vcc, v10, v14
	v_alignbit_b32 v6, v6, v5, 30
	v_cndmask_b32_e32 v7, 33, v7, vcc
	v_alignbit_b32 v3, v5, v3, 30
	v_xor_b32_e32 v6, v6, v14
	v_sub_u32_e32 v8, 32, v7
	v_xor_b32_e32 v3, v3, v14
	v_alignbit_b32 v9, v15, v6, v8
	v_alignbit_b32 v3, v6, v3, v8
	;; [unrolled: 1-line block ×3, first 2 shown]
	v_ffbh_u32_e32 v6, v5
	v_min_u32_e32 v6, 32, v6
	v_lshrrev_b32_e32 v11, 29, v0
	v_sub_u32_e32 v8, 31, v6
	v_alignbit_b32 v3, v5, v3, v8
	v_lshlrev_b32_e32 v5, 31, v11
	v_or_b32_e32 v8, 0x33800000, v5
	v_add_lshl_u32 v6, v6, v7, 23
	v_lshrrev_b32_e32 v3, 9, v3
	v_sub_u32_e32 v6, v8, v6
	v_or_b32_e32 v3, v6, v3
	v_alignbit_b32 v6, v7, v9, 9
	v_or_b32_e32 v5, v6, v5
	v_xor_b32_e32 v5, 1.0, v5
	s_mov_b32 s4, 0x3fc90fda
	v_mul_f32_e32 v6, 0x3fc90fda, v5
	v_fma_f32 v7, v5, s4, -v6
	v_fmac_f32_e32 v7, 0x33a22168, v5
	v_fmac_f32_e32 v7, 0x3fc90fda, v3
	v_lshrrev_b32_e32 v0, 30, v0
	v_add_f32_e32 v3, v6, v7
	v_add_u32_e32 v0, v13, v0
	s_andn2_saveexec_b64 s[4:5], s[20:21]
	s_branch .LBB57_43
.LBB57_40:
	s_andn2_saveexec_b64 s[4:5], s[10:11]
	s_cbranch_execz .LBB57_78
.LBB57_41:
	v_mul_f32_e32 v0, 0x3fb8aa3b, v4
	s_mov_b32 s6, 0x3fb8aa3b
	v_rndne_f32_e32 v2, v0
	v_sub_f32_e32 v3, v0, v2
	v_fma_f32 v0, v4, s6, -v0
	v_fmac_f32_e32 v0, 0x32a5705f, v4
	v_add_f32_e32 v0, v3, v0
	v_exp_f32_e32 v0, v0
	v_cvt_i32_f32_e32 v2, v2
	s_mov_b32 s6, 0xc2ce8ed0
	v_cmp_ngt_f32_e32 vcc, s6, v4
	s_mov_b32 s6, 0x42b17218
	v_ldexp_f32 v0, v0, v2
	v_cndmask_b32_e32 v0, 0, v0, vcc
	v_mov_b32_e32 v2, 0x7f800000
	v_cmp_nlt_f32_e32 vcc, s6, v4
	v_cndmask_b32_e32 v0, v2, v0, vcc
	s_or_b64 exec, exec, s[4:5]
	s_setpc_b64 s[30:31]
.LBB57_42:
	s_andn2_saveexec_b64 s[4:5], s[20:21]
.LBB57_43:
	s_mov_b32 s6, 0x3f22f983
	v_mul_f32_e64 v0, |v1|, s6
	v_rndne_f32_e32 v5, v0
	s_mov_b32 s6, 0xbfc90fda
	v_cvt_i32_f32_e32 v0, v5
	v_fma_f32 v3, v5, s6, |v1|
	v_fmac_f32_e32 v3, 0xb3a22168, v5
	v_fmac_f32_e32 v3, 0xa7c234c4, v5
; %bb.44:
	s_or_b64 exec, exec, s[4:5]
                                        ; implicit-def: $vgpr5
                                        ; implicit-def: $vgpr6
	s_and_saveexec_b64 s[4:5], s[18:19]
	s_xor_b64 s[18:19], exec, s[4:5]
	s_cbranch_execz .LBB57_46
; %bb.45:
	v_lshrrev_b32_e32 v5, 23, v2
	v_add_u32_e32 v5, 0xffffff88, v5
	v_not_b32_e32 v6, 63
	v_cmp_lt_u32_e32 vcc, 63, v5
	v_cndmask_b32_e32 v6, 0, v6, vcc
	v_add_u32_e32 v5, v6, v5
	v_not_b32_e32 v6, 31
	v_cmp_lt_u32_e64 s[4:5], 31, v5
	v_cndmask_b32_e64 v8, 0, v6, s[4:5]
	v_add_u32_e32 v5, v8, v5
	v_cmp_lt_u32_e64 s[6:7], 31, v5
	v_cndmask_b32_e64 v6, 0, v6, s[6:7]
	v_add_u32_e32 v5, v6, v5
	v_and_b32_e32 v6, 0x7fffff, v2
	v_or_b32_e32 v20, 0x800000, v6
	s_mov_b32 s8, 0xfe5163ab
	v_mad_u64_u32 v[8:9], s[8:9], v20, s8, 0
	v_mov_b32_e32 v7, 0
	v_mov_b32_e32 v6, v9
	s_mov_b32 s8, 0x3c439041
	v_mad_u64_u32 v[10:11], s[8:9], v20, s8, v[6:7]
	v_mov_b32_e32 v6, v11
	s_mov_b32 s8, 0xdb629599
	v_mad_u64_u32 v[12:13], s[8:9], v20, s8, v[6:7]
	;; [unrolled: 3-line block ×6, first 2 shown]
	v_cndmask_b32_e32 v9, v18, v14, vcc
	v_cndmask_b32_e32 v6, v6, v16, vcc
	;; [unrolled: 1-line block ×3, first 2 shown]
	v_cndmask_b32_e64 v11, v6, v9, s[4:5]
	v_cndmask_b32_e64 v6, v7, v6, s[4:5]
	v_cndmask_b32_e32 v7, v16, v12, vcc
	v_cndmask_b32_e64 v9, v9, v7, s[4:5]
	v_cndmask_b32_e64 v6, v6, v11, s[6:7]
	;; [unrolled: 1-line block ×3, first 2 shown]
	v_sub_u32_e32 v13, 32, v5
	v_alignbit_b32 v15, v6, v11, v13
	v_cmp_eq_u32_e64 s[8:9], 0, v5
	v_cndmask_b32_e64 v5, v15, v6, s[8:9]
	v_cndmask_b32_e32 v6, v14, v10, vcc
	v_cndmask_b32_e64 v7, v7, v6, s[4:5]
	v_cndmask_b32_e64 v9, v9, v7, s[6:7]
	v_alignbit_b32 v10, v11, v9, v13
	v_cndmask_b32_e32 v8, v12, v8, vcc
	v_cndmask_b32_e64 v10, v10, v11, s[8:9]
	v_bfe_u32 v15, v5, 29, 1
	v_cndmask_b32_e64 v6, v6, v8, s[4:5]
	v_alignbit_b32 v11, v5, v10, 30
	v_sub_u32_e32 v16, 0, v15
	v_cndmask_b32_e64 v6, v7, v6, s[6:7]
	v_xor_b32_e32 v17, v11, v16
	v_alignbit_b32 v7, v9, v6, v13
	v_cndmask_b32_e64 v7, v7, v9, s[8:9]
	v_ffbh_u32_e32 v9, v17
	v_add_u32_e32 v9, 1, v9
	v_cmp_ne_u32_e32 vcc, v11, v16
	v_alignbit_b32 v8, v10, v7, 30
	v_cndmask_b32_e32 v9, 33, v9, vcc
	v_alignbit_b32 v6, v7, v6, 30
	v_xor_b32_e32 v8, v8, v16
	v_sub_u32_e32 v10, 32, v9
	v_xor_b32_e32 v6, v6, v16
	v_alignbit_b32 v11, v17, v8, v10
	v_alignbit_b32 v6, v8, v6, v10
	;; [unrolled: 1-line block ×3, first 2 shown]
	v_ffbh_u32_e32 v8, v7
	v_min_u32_e32 v8, 32, v8
	v_lshrrev_b32_e32 v14, 29, v5
	v_sub_u32_e32 v10, 31, v8
	v_alignbit_b32 v6, v7, v6, v10
	v_lshlrev_b32_e32 v7, 31, v14
	v_or_b32_e32 v10, 0x33800000, v7
	v_add_lshl_u32 v8, v8, v9, 23
	v_lshrrev_b32_e32 v6, 9, v6
	v_sub_u32_e32 v8, v10, v8
	v_or_b32_e32 v6, v8, v6
	v_alignbit_b32 v8, v9, v11, 9
	v_or_b32_e32 v7, v8, v7
	v_xor_b32_e32 v7, 1.0, v7
	s_mov_b32 s4, 0x3fc90fda
	v_mul_f32_e32 v8, 0x3fc90fda, v7
	v_fma_f32 v9, v7, s4, -v8
	v_fmac_f32_e32 v9, 0x33a22168, v7
	v_fmac_f32_e32 v9, 0x3fc90fda, v6
	v_lshrrev_b32_e32 v5, 30, v5
	v_add_f32_e32 v6, v8, v9
	v_add_u32_e32 v5, v15, v5
	s_andn2_saveexec_b64 s[4:5], s[18:19]
	s_cbranch_execnz .LBB57_47
	s_branch .LBB57_48
.LBB57_46:
	s_andn2_saveexec_b64 s[4:5], s[18:19]
.LBB57_47:
	s_mov_b32 s6, 0x3f22f983
	v_mul_f32_e64 v5, |v1|, s6
	v_rndne_f32_e32 v7, v5
	s_mov_b32 s6, 0xbfc90fda
	v_cvt_i32_f32_e32 v5, v7
	v_fma_f32 v6, v7, s6, |v1|
	v_fmac_f32_e32 v6, 0xb3a22168, v7
	v_fmac_f32_e32 v6, 0xa7c234c4, v7
.LBB57_48:
	s_or_b64 exec, exec, s[4:5]
	v_mul_f32_e32 v7, 0x3fb8aa3b, v4
	s_mov_b32 s4, 0x3fb8aa3b
	v_rndne_f32_e32 v8, v7
	v_sub_f32_e32 v9, v7, v8
	v_fma_f32 v7, v4, s4, -v7
	v_fmac_f32_e32 v7, 0x32a5705f, v4
	v_add_f32_e32 v7, v9, v7
	v_exp_f32_e32 v7, v7
	v_cvt_i32_f32_e32 v8, v8
	s_mov_b32 s4, 0xc2ce8ed0
	v_cmp_ngt_f32_e32 vcc, s4, v4
	s_mov_b32 s4, 0x42b17218
	v_ldexp_f32 v7, v7, v8
	v_cndmask_b32_e32 v7, 0, v7, vcc
	v_mov_b32_e32 v8, 0x7f800000
	v_cmp_nlt_f32_e32 vcc, s4, v4
	v_cndmask_b32_e32 v4, v8, v7, vcc
	v_mul_f32_e32 v7, v3, v3
	v_mov_b32_e32 v11, 0xbab64f3b
	v_mov_b32_e32 v9, 0x3c0881c4
	v_fmac_f32_e32 v11, 0x37d75334, v7
	v_mov_b32_e32 v12, 0x3d2aabf7
	v_fmac_f32_e32 v9, 0xb94c1982, v7
	v_mov_b32_e32 v10, 0xbe2aaa9d
	v_fma_f32 v11, v7, v11, v12
	v_mov_b32_e32 v13, 0xbf000004
	v_fma_f32 v9, v7, v9, v10
	v_fma_f32 v11, v7, v11, v13
	v_mul_f32_e32 v9, v7, v9
	v_fma_f32 v7, v7, v11, 1.0
	v_and_b32_e32 v11, 1, v0
	v_fmac_f32_e32 v3, v3, v9
	v_cmp_eq_u32_e32 vcc, 0, v11
	v_mov_b32_e32 v8, 0x3c0881c4
	v_cndmask_b32_e64 v3, -v3, v7, vcc
	v_mul_f32_e32 v7, v6, v6
	v_mov_b32_e32 v9, 0xbab64f3b
	v_fmac_f32_e32 v8, 0xb94c1982, v7
	v_fmac_f32_e32 v10, v7, v8
	;; [unrolled: 1-line block ×3, first 2 shown]
	v_mul_f32_e32 v8, v7, v10
	v_fmac_f32_e32 v12, v7, v9
	s_movk_i32 s4, 0x1f8
	v_fmac_f32_e32 v6, v6, v8
	v_fmac_f32_e32 v13, v7, v12
	v_and_b32_e32 v8, 1, v5
	s_brev_b32 s6, 1
	v_cmp_class_f32_e64 vcc, v1, s4
	v_fma_f32 v7, v7, v13, 1.0
	v_cmp_eq_u32_e64 s[4:5], 0, v8
	v_lshlrev_b32_e32 v5, 30, v5
	v_lshlrev_b32_e32 v0, 30, v0
	v_cndmask_b32_e64 v6, v7, v6, s[4:5]
	v_and_or_b32 v2, v5, s6, v2
	v_and_b32_e32 v0, 0x80000000, v0
	v_xor_b32_e32 v2, v2, v6
	v_xor_b32_e32 v0, v0, v3
	v_mov_b32_e32 v3, 0x7fc00000
	v_xor_b32_e32 v1, v2, v1
	v_cndmask_b32_e32 v0, v3, v0, vcc
	v_cndmask_b32_e32 v1, v3, v1, vcc
	v_mul_f32_e32 v0, v4, v0
	v_mul_f32_e32 v1, v4, v1
                                        ; implicit-def: $vgpr4
                                        ; implicit-def: $vgpr2
.LBB57_49:
	s_andn2_saveexec_b64 s[16:17], s[16:17]
	s_cbranch_execz .LBB57_52
; %bb.50:
	s_brev_b32 s4, 18
	v_cmp_nlt_f32_e64 s[18:19], |v1|, s4
                                        ; implicit-def: $vgpr3
                                        ; implicit-def: $vgpr0
	s_and_saveexec_b64 s[4:5], s[18:19]
	s_xor_b64 s[20:21], exec, s[4:5]
	s_cbranch_execz .LBB57_53
; %bb.51:
	v_lshrrev_b32_e32 v0, 23, v2
	v_add_u32_e32 v0, 0xffffff88, v0
	v_not_b32_e32 v3, 63
	v_cmp_lt_u32_e32 vcc, 63, v0
	v_cndmask_b32_e32 v3, 0, v3, vcc
	v_add_u32_e32 v0, v3, v0
	v_not_b32_e32 v3, 31
	v_cmp_lt_u32_e64 s[4:5], 31, v0
	v_cndmask_b32_e64 v5, 0, v3, s[4:5]
	v_add_u32_e32 v0, v5, v0
	v_cmp_lt_u32_e64 s[6:7], 31, v0
	v_cndmask_b32_e64 v3, 0, v3, s[6:7]
	v_add_u32_e32 v0, v3, v0
	v_and_b32_e32 v3, 0x7fffff, v2
	v_or_b32_e32 v3, 0x800000, v3
	s_mov_b32 s8, 0xfe5163ab
	v_mad_u64_u32 v[8:9], s[8:9], v3, s8, 0
	v_mov_b32_e32 v7, 0
	v_mov_b32_e32 v6, v9
	s_mov_b32 s8, 0x3c439041
	v_mad_u64_u32 v[10:11], s[8:9], v3, s8, v[6:7]
	v_mov_b32_e32 v6, v11
	s_mov_b32 s8, 0xdb629599
	v_mad_u64_u32 v[12:13], s[8:9], v3, s8, v[6:7]
	;; [unrolled: 3-line block ×6, first 2 shown]
	v_cndmask_b32_e32 v5, v18, v14, vcc
	v_cndmask_b32_e32 v3, v6, v16, vcc
	;; [unrolled: 1-line block ×3, first 2 shown]
	v_cndmask_b32_e64 v6, v3, v5, s[4:5]
	v_cndmask_b32_e64 v3, v7, v3, s[4:5]
	v_cndmask_b32_e32 v7, v16, v12, vcc
	v_cndmask_b32_e64 v5, v5, v7, s[4:5]
	v_sub_u32_e32 v9, 32, v0
	v_cmp_eq_u32_e64 s[8:9], 0, v0
	v_cndmask_b32_e32 v0, v14, v10, vcc
	v_cndmask_b32_e64 v3, v3, v6, s[6:7]
	v_cndmask_b32_e64 v6, v6, v5, s[6:7]
	;; [unrolled: 1-line block ×3, first 2 shown]
	v_alignbit_b32 v11, v3, v6, v9
	v_cndmask_b32_e64 v5, v5, v7, s[6:7]
	v_cndmask_b32_e64 v3, v11, v3, s[8:9]
	v_alignbit_b32 v10, v6, v5, v9
	v_cndmask_b32_e32 v8, v12, v8, vcc
	v_cndmask_b32_e64 v6, v10, v6, s[8:9]
	v_bfe_u32 v13, v3, 29, 1
	v_cndmask_b32_e64 v0, v0, v8, s[4:5]
	v_alignbit_b32 v10, v3, v6, 30
	v_sub_u32_e32 v14, 0, v13
	v_cndmask_b32_e64 v0, v7, v0, s[6:7]
	v_xor_b32_e32 v15, v10, v14
	v_alignbit_b32 v7, v5, v0, v9
	v_cndmask_b32_e64 v5, v7, v5, s[8:9]
	v_ffbh_u32_e32 v7, v15
	v_add_u32_e32 v7, 1, v7
	v_cmp_ne_u32_e32 vcc, v10, v14
	v_alignbit_b32 v6, v6, v5, 30
	v_cndmask_b32_e32 v7, 33, v7, vcc
	v_alignbit_b32 v0, v5, v0, 30
	v_xor_b32_e32 v6, v6, v14
	v_sub_u32_e32 v8, 32, v7
	v_xor_b32_e32 v0, v0, v14
	v_alignbit_b32 v9, v15, v6, v8
	v_alignbit_b32 v0, v6, v0, v8
	v_alignbit_b32 v5, v9, v0, 9
	v_ffbh_u32_e32 v6, v5
	v_min_u32_e32 v6, 32, v6
	v_lshrrev_b32_e32 v11, 29, v3
	v_sub_u32_e32 v8, 31, v6
	v_alignbit_b32 v0, v5, v0, v8
	v_lshlrev_b32_e32 v5, 31, v11
	v_or_b32_e32 v8, 0x33800000, v5
	v_add_lshl_u32 v6, v6, v7, 23
	v_lshrrev_b32_e32 v0, 9, v0
	v_sub_u32_e32 v6, v8, v6
	v_or_b32_e32 v0, v6, v0
	v_alignbit_b32 v6, v7, v9, 9
	v_or_b32_e32 v5, v6, v5
	v_xor_b32_e32 v5, 1.0, v5
	s_mov_b32 s4, 0x3fc90fda
	v_mul_f32_e32 v6, 0x3fc90fda, v5
	v_fma_f32 v7, v5, s4, -v6
	v_fmac_f32_e32 v7, 0x33a22168, v5
	v_fmac_f32_e32 v7, 0x3fc90fda, v0
	v_lshrrev_b32_e32 v3, 30, v3
	v_add_f32_e32 v0, v6, v7
	v_add_u32_e32 v3, v13, v3
	s_andn2_saveexec_b64 s[4:5], s[20:21]
	s_branch .LBB57_54
.LBB57_52:
	s_or_b64 exec, exec, s[16:17]
                                        ; implicit-def: $vgpr4
                                        ; implicit-def: $vgpr3
	s_andn2_saveexec_b64 s[4:5], s[14:15]
	s_cbranch_execnz .LBB57_61
	s_branch .LBB57_66
.LBB57_53:
	s_andn2_saveexec_b64 s[4:5], s[20:21]
.LBB57_54:
	s_mov_b32 s6, 0x3f22f983
	v_mul_f32_e64 v0, |v1|, s6
	v_rndne_f32_e32 v5, v0
	s_mov_b32 s6, 0xbfc90fda
	v_cvt_i32_f32_e32 v3, v5
	v_fma_f32 v0, v5, s6, |v1|
	v_fmac_f32_e32 v0, 0xb3a22168, v5
	v_fmac_f32_e32 v0, 0xa7c234c4, v5
; %bb.55:
	s_or_b64 exec, exec, s[4:5]
                                        ; implicit-def: $vgpr5
                                        ; implicit-def: $vgpr6
	s_and_saveexec_b64 s[4:5], s[18:19]
	s_xor_b64 s[18:19], exec, s[4:5]
	s_cbranch_execz .LBB57_57
; %bb.56:
	v_lshrrev_b32_e32 v5, 23, v2
	v_add_u32_e32 v5, 0xffffff88, v5
	v_not_b32_e32 v6, 63
	v_cmp_lt_u32_e32 vcc, 63, v5
	v_cndmask_b32_e32 v6, 0, v6, vcc
	v_add_u32_e32 v5, v6, v5
	v_not_b32_e32 v6, 31
	v_cmp_lt_u32_e64 s[4:5], 31, v5
	v_cndmask_b32_e64 v8, 0, v6, s[4:5]
	v_add_u32_e32 v5, v8, v5
	v_cmp_lt_u32_e64 s[6:7], 31, v5
	v_cndmask_b32_e64 v6, 0, v6, s[6:7]
	v_add_u32_e32 v5, v6, v5
	v_and_b32_e32 v6, 0x7fffff, v2
	v_or_b32_e32 v20, 0x800000, v6
	s_mov_b32 s8, 0xfe5163ab
	v_mad_u64_u32 v[8:9], s[8:9], v20, s8, 0
	v_mov_b32_e32 v7, 0
	v_mov_b32_e32 v6, v9
	s_mov_b32 s8, 0x3c439041
	v_mad_u64_u32 v[10:11], s[8:9], v20, s8, v[6:7]
	v_mov_b32_e32 v6, v11
	s_mov_b32 s8, 0xdb629599
	v_mad_u64_u32 v[12:13], s[8:9], v20, s8, v[6:7]
	;; [unrolled: 3-line block ×6, first 2 shown]
	v_cndmask_b32_e32 v9, v18, v14, vcc
	v_cndmask_b32_e32 v6, v6, v16, vcc
	;; [unrolled: 1-line block ×3, first 2 shown]
	v_cndmask_b32_e64 v11, v6, v9, s[4:5]
	v_cndmask_b32_e64 v6, v7, v6, s[4:5]
	v_cndmask_b32_e32 v7, v16, v12, vcc
	v_cndmask_b32_e64 v9, v9, v7, s[4:5]
	v_cndmask_b32_e64 v6, v6, v11, s[6:7]
	;; [unrolled: 1-line block ×3, first 2 shown]
	v_sub_u32_e32 v13, 32, v5
	v_alignbit_b32 v15, v6, v11, v13
	v_cmp_eq_u32_e64 s[8:9], 0, v5
	v_cndmask_b32_e64 v5, v15, v6, s[8:9]
	v_cndmask_b32_e32 v6, v14, v10, vcc
	v_cndmask_b32_e64 v7, v7, v6, s[4:5]
	v_cndmask_b32_e64 v9, v9, v7, s[6:7]
	v_alignbit_b32 v10, v11, v9, v13
	v_cndmask_b32_e32 v8, v12, v8, vcc
	v_cndmask_b32_e64 v10, v10, v11, s[8:9]
	v_bfe_u32 v15, v5, 29, 1
	v_cndmask_b32_e64 v6, v6, v8, s[4:5]
	v_alignbit_b32 v11, v5, v10, 30
	v_sub_u32_e32 v16, 0, v15
	v_cndmask_b32_e64 v6, v7, v6, s[6:7]
	v_xor_b32_e32 v17, v11, v16
	v_alignbit_b32 v7, v9, v6, v13
	v_cndmask_b32_e64 v7, v7, v9, s[8:9]
	v_ffbh_u32_e32 v9, v17
	v_add_u32_e32 v9, 1, v9
	v_cmp_ne_u32_e32 vcc, v11, v16
	v_alignbit_b32 v8, v10, v7, 30
	v_cndmask_b32_e32 v9, 33, v9, vcc
	v_alignbit_b32 v6, v7, v6, 30
	v_xor_b32_e32 v8, v8, v16
	v_sub_u32_e32 v10, 32, v9
	v_xor_b32_e32 v6, v6, v16
	v_alignbit_b32 v11, v17, v8, v10
	v_alignbit_b32 v6, v8, v6, v10
	;; [unrolled: 1-line block ×3, first 2 shown]
	v_ffbh_u32_e32 v8, v7
	v_min_u32_e32 v8, 32, v8
	v_lshrrev_b32_e32 v14, 29, v5
	v_sub_u32_e32 v10, 31, v8
	v_alignbit_b32 v6, v7, v6, v10
	v_lshlrev_b32_e32 v7, 31, v14
	v_or_b32_e32 v10, 0x33800000, v7
	v_add_lshl_u32 v8, v8, v9, 23
	v_lshrrev_b32_e32 v6, 9, v6
	v_sub_u32_e32 v8, v10, v8
	v_or_b32_e32 v6, v8, v6
	v_alignbit_b32 v8, v9, v11, 9
	v_or_b32_e32 v7, v8, v7
	v_xor_b32_e32 v7, 1.0, v7
	s_mov_b32 s4, 0x3fc90fda
	v_mul_f32_e32 v8, 0x3fc90fda, v7
	v_fma_f32 v9, v7, s4, -v8
	v_fmac_f32_e32 v9, 0x33a22168, v7
	v_fmac_f32_e32 v9, 0x3fc90fda, v6
	v_lshrrev_b32_e32 v5, 30, v5
	v_add_f32_e32 v6, v8, v9
	v_add_u32_e32 v5, v15, v5
	s_andn2_saveexec_b64 s[4:5], s[18:19]
	s_cbranch_execnz .LBB57_58
	s_branch .LBB57_59
.LBB57_57:
	s_andn2_saveexec_b64 s[4:5], s[18:19]
.LBB57_58:
	s_mov_b32 s6, 0x3f22f983
	v_mul_f32_e64 v5, |v1|, s6
	v_rndne_f32_e32 v7, v5
	s_mov_b32 s6, 0xbfc90fda
	v_cvt_i32_f32_e32 v5, v7
	v_fma_f32 v6, v7, s6, |v1|
	v_fmac_f32_e32 v6, 0xb3a22168, v7
	v_fmac_f32_e32 v6, 0xa7c234c4, v7
.LBB57_59:
	s_or_b64 exec, exec, s[4:5]
	v_mul_f32_e32 v8, v0, v0
	v_mov_b32_e32 v10, 0xbab64f3b
	v_fmac_f32_e32 v10, 0x37d75334, v8
	v_mov_b32_e32 v11, 0x3d2aabf7
	v_mov_b32_e32 v14, 0x3c0881c4
	v_fma_f32 v10, v8, v10, v11
	v_mov_b32_e32 v12, 0xbf000004
	v_fmac_f32_e32 v14, 0xb94c1982, v8
	v_mov_b32_e32 v15, 0xbe2aaa9d
	v_fma_f32 v10, v8, v10, v12
	v_fma_f32 v14, v8, v14, v15
	v_lshlrev_b32_e32 v7, 30, v3
	v_and_b32_e32 v3, 1, v3
	v_fma_f32 v10, v8, v10, 1.0
	v_mul_f32_e32 v8, v8, v14
	v_fmac_f32_e32 v0, v0, v8
	v_cmp_eq_u32_e32 vcc, 0, v3
	v_add_f32_e32 v3, 0xc322e3bc, v4
	v_and_b32_e32 v7, 0x80000000, v7
	v_cndmask_b32_e64 v0, -v0, v10, vcc
	s_mov_b32 s5, 0x3fb8aa3b
	v_mul_f32_e32 v4, 0x3fb8aa3b, v3
	v_xor_b32_e32 v0, v7, v0
	v_fma_f32 v7, v3, s5, -v4
	v_rndne_f32_e32 v8, v4
	v_fmac_f32_e32 v7, 0x32a5705f, v3
	v_sub_f32_e32 v4, v4, v8
	v_add_f32_e32 v4, v4, v7
	v_exp_f32_e32 v4, v4
	v_cvt_i32_f32_e32 v7, v8
	s_movk_i32 s4, 0x1f8
	v_cmp_class_f32_e64 vcc, v1, s4
	s_mov_b32 s4, 0xc2ce8ed0
	v_ldexp_f32 v4, v4, v7
	v_cmp_ngt_f32_e64 s[4:5], s4, v3
	v_cndmask_b32_e64 v4, 0, v4, s[4:5]
	s_mov_b32 s4, 0x42b17218
	v_mov_b32_e32 v7, 0x7f800000
	v_cmp_nlt_f32_e64 s[4:5], s4, v3
	v_cndmask_b32_e64 v3, v7, v4, s[4:5]
	v_and_b32_e32 v4, 0x7fffff, v3
	v_lshrrev_b32_e32 v3, 23, v3
	v_subrev_u32_e32 v3, 19, v3
	v_lshrrev_b16_e32 v7, 15, v3
	v_add_u16_e32 v7, v3, v7
	v_ashrrev_i16_e32 v7, 1, v7
	v_bfe_i32 v7, v7, 0, 16
	v_mov_b32_e32 v9, 0xbab64f3b
	v_mov_b32_e32 v13, 0x3c0881c4
	v_lshl_add_u32 v10, v7, 23, 1.0
	v_sub_u32_e32 v3, v3, v7
	v_mul_f32_e32 v7, v6, v6
	v_fmac_f32_e32 v13, 0xb94c1982, v7
	v_fmac_f32_e32 v9, 0x37d75334, v7
	;; [unrolled: 1-line block ×4, first 2 shown]
	v_mul_f32_e32 v13, v7, v15
	v_fmac_f32_e32 v12, v7, v11
	v_and_b32_e32 v9, 1, v5
	s_brev_b32 s6, 1
	v_fmac_f32_e32 v6, v6, v13
	v_fma_f32 v7, v7, v12, 1.0
	v_cmp_eq_u32_e64 s[4:5], 0, v9
	v_lshlrev_b32_e32 v5, 30, v5
	v_cndmask_b32_e64 v6, v7, v6, s[4:5]
	v_and_or_b32 v2, v5, s6, v2
	v_xor_b32_e32 v2, v2, v6
	v_mov_b32_e32 v8, 0x7fc00000
	v_xor_b32_e32 v1, v2, v1
	v_cndmask_b32_e32 v0, v8, v0, vcc
	v_or_b32_e32 v4, 0x7f000000, v4
	v_cndmask_b32_e32 v1, v8, v1, vcc
	v_mul_f32_e32 v0, v0, v4
	v_mul_f32_e32 v1, v1, v4
	;; [unrolled: 1-line block ×3, first 2 shown]
	v_lshl_add_u32 v3, v3, 23, 1.0
	v_mul_f32_e32 v1, v1, v10
	v_mul_f32_e32 v0, v0, v3
	;; [unrolled: 1-line block ×3, first 2 shown]
	s_or_b64 exec, exec, s[16:17]
                                        ; implicit-def: $vgpr4
                                        ; implicit-def: $vgpr3
.LBB57_60:
	s_andn2_saveexec_b64 s[4:5], s[14:15]
	s_cbranch_execz .LBB57_66
.LBB57_61:
	s_mov_b32 s6, 0x7f800000
	v_cmp_ne_u32_e32 vcc, s6, v3
	v_sub_f32_e32 v1, v1, v1
	s_and_saveexec_b64 s[6:7], vcc
	s_xor_b64 s[6:7], exec, s[6:7]
; %bb.62:
                                        ; implicit-def: $vgpr4
; %bb.63:
	s_or_saveexec_b64 s[6:7], s[6:7]
	v_mov_b32_e32 v0, v1
	s_xor_b64 exec, exec, s[6:7]
; %bb.64:
	v_cmp_lt_i32_e32 vcc, -1, v4
	v_cndmask_b32_e32 v0, 0, v4, vcc
	v_cndmask_b32_e32 v1, 0, v1, vcc
; %bb.65:
	s_or_b64 exec, exec, s[6:7]
.LBB57_66:
	s_or_b64 exec, exec, s[4:5]
                                        ; implicit-def: $vgpr2
.LBB57_67:
	s_andn2_saveexec_b64 s[12:13], s[12:13]
	s_cbranch_execz .LBB57_77
; %bb.68:
	s_brev_b32 s4, 18
	v_cmp_nlt_f32_e64 s[14:15], |v1|, s4
	v_lshrrev_b32_e32 v4, 23, v2
                                        ; implicit-def: $vgpr0
                                        ; implicit-def: $vgpr3
	s_and_saveexec_b64 s[4:5], s[14:15]
	s_xor_b64 s[16:17], exec, s[4:5]
	s_cbranch_execz .LBB57_70
; %bb.69:
	v_add_u32_e32 v0, 0xffffff88, v4
	v_not_b32_e32 v3, 63
	v_cmp_lt_u32_e32 vcc, 63, v0
	v_cndmask_b32_e32 v3, 0, v3, vcc
	v_add_u32_e32 v0, v3, v0
	v_not_b32_e32 v3, 31
	v_cmp_lt_u32_e64 s[4:5], 31, v0
	v_cndmask_b32_e64 v5, 0, v3, s[4:5]
	v_add_u32_e32 v0, v5, v0
	v_cmp_lt_u32_e64 s[6:7], 31, v0
	v_cndmask_b32_e64 v3, 0, v3, s[6:7]
	v_add_u32_e32 v0, v3, v0
	v_and_b32_e32 v3, 0x7fffff, v2
	v_or_b32_e32 v3, 0x800000, v3
	s_mov_b32 s8, 0xfe5163ab
	v_mad_u64_u32 v[8:9], s[8:9], v3, s8, 0
	v_mov_b32_e32 v7, 0
	v_mov_b32_e32 v6, v9
	s_mov_b32 s8, 0x3c439041
	v_mad_u64_u32 v[10:11], s[8:9], v3, s8, v[6:7]
	v_mov_b32_e32 v6, v11
	s_mov_b32 s8, 0xdb629599
	v_mad_u64_u32 v[12:13], s[8:9], v3, s8, v[6:7]
	;; [unrolled: 3-line block ×6, first 2 shown]
	v_cndmask_b32_e32 v5, v18, v14, vcc
	v_cndmask_b32_e32 v3, v6, v16, vcc
	;; [unrolled: 1-line block ×3, first 2 shown]
	v_cndmask_b32_e64 v6, v3, v5, s[4:5]
	v_cndmask_b32_e64 v3, v7, v3, s[4:5]
	v_cndmask_b32_e32 v7, v16, v12, vcc
	v_cndmask_b32_e64 v5, v5, v7, s[4:5]
	v_cndmask_b32_e64 v3, v3, v6, s[6:7]
	;; [unrolled: 1-line block ×3, first 2 shown]
	v_sub_u32_e32 v9, 32, v0
	v_alignbit_b32 v11, v3, v6, v9
	v_cmp_eq_u32_e64 s[8:9], 0, v0
	v_cndmask_b32_e64 v0, v11, v3, s[8:9]
	v_cndmask_b32_e32 v3, v14, v10, vcc
	v_cndmask_b32_e64 v7, v7, v3, s[4:5]
	v_cndmask_b32_e64 v5, v5, v7, s[6:7]
	v_alignbit_b32 v10, v6, v5, v9
	v_cndmask_b32_e32 v8, v12, v8, vcc
	v_cndmask_b32_e64 v6, v10, v6, s[8:9]
	v_bfe_u32 v13, v0, 29, 1
	v_cndmask_b32_e64 v3, v3, v8, s[4:5]
	v_alignbit_b32 v10, v0, v6, 30
	v_sub_u32_e32 v14, 0, v13
	v_cndmask_b32_e64 v3, v7, v3, s[6:7]
	v_xor_b32_e32 v15, v10, v14
	v_alignbit_b32 v7, v5, v3, v9
	v_cndmask_b32_e64 v5, v7, v5, s[8:9]
	v_ffbh_u32_e32 v7, v15
	v_add_u32_e32 v7, 1, v7
	v_cmp_ne_u32_e32 vcc, v10, v14
	v_alignbit_b32 v6, v6, v5, 30
	v_cndmask_b32_e32 v7, 33, v7, vcc
	v_alignbit_b32 v3, v5, v3, 30
	v_xor_b32_e32 v6, v6, v14
	v_sub_u32_e32 v8, 32, v7
	v_xor_b32_e32 v3, v3, v14
	v_alignbit_b32 v9, v15, v6, v8
	v_alignbit_b32 v3, v6, v3, v8
	;; [unrolled: 1-line block ×3, first 2 shown]
	v_ffbh_u32_e32 v6, v5
	v_min_u32_e32 v6, 32, v6
	v_lshrrev_b32_e32 v11, 29, v0
	v_sub_u32_e32 v8, 31, v6
	v_alignbit_b32 v3, v5, v3, v8
	v_lshlrev_b32_e32 v5, 31, v11
	v_or_b32_e32 v8, 0x33800000, v5
	v_add_lshl_u32 v6, v6, v7, 23
	v_lshrrev_b32_e32 v3, 9, v3
	v_sub_u32_e32 v6, v8, v6
	v_or_b32_e32 v3, v6, v3
	v_alignbit_b32 v6, v7, v9, 9
	v_or_b32_e32 v5, v6, v5
	v_xor_b32_e32 v5, 1.0, v5
	s_mov_b32 s4, 0x3fc90fda
	v_mul_f32_e32 v6, 0x3fc90fda, v5
	v_fma_f32 v7, v5, s4, -v6
	v_fmac_f32_e32 v7, 0x33a22168, v5
	v_fmac_f32_e32 v7, 0x3fc90fda, v3
	v_lshrrev_b32_e32 v0, 30, v0
	v_add_f32_e32 v3, v6, v7
	v_add_u32_e32 v0, v13, v0
	s_andn2_saveexec_b64 s[4:5], s[16:17]
	s_branch .LBB57_71
.LBB57_70:
	s_andn2_saveexec_b64 s[4:5], s[16:17]
.LBB57_71:
	s_mov_b32 s6, 0x3f22f983
	v_mul_f32_e64 v0, |v1|, s6
	v_rndne_f32_e32 v5, v0
	s_mov_b32 s6, 0xbfc90fda
	v_cvt_i32_f32_e32 v0, v5
	v_fma_f32 v3, v5, s6, |v1|
	v_fmac_f32_e32 v3, 0xb3a22168, v5
	v_fmac_f32_e32 v3, 0xa7c234c4, v5
; %bb.72:
	s_or_b64 exec, exec, s[4:5]
                                        ; implicit-def: $vgpr5
                                        ; implicit-def: $vgpr6
	s_and_saveexec_b64 s[4:5], s[14:15]
	s_xor_b64 s[14:15], exec, s[4:5]
	s_cbranch_execz .LBB57_74
; %bb.73:
	v_add_u32_e32 v4, 0xffffff88, v4
	v_not_b32_e32 v6, 63
	v_cmp_lt_u32_e32 vcc, 63, v4
	v_cndmask_b32_e32 v6, 0, v6, vcc
	v_add_u32_e32 v4, v6, v4
	v_not_b32_e32 v6, 31
	v_cmp_lt_u32_e64 s[4:5], 31, v4
	v_cndmask_b32_e64 v7, 0, v6, s[4:5]
	v_add_u32_e32 v4, v7, v4
	v_cmp_lt_u32_e64 s[6:7], 31, v4
	v_cndmask_b32_e64 v6, 0, v6, s[6:7]
	v_add_u32_e32 v18, v6, v4
	v_and_b32_e32 v4, 0x7fffff, v2
	v_or_b32_e32 v19, 0x800000, v4
	s_mov_b32 s8, 0xfe5163ab
	v_mad_u64_u32 v[6:7], s[8:9], v19, s8, 0
	v_mov_b32_e32 v5, 0
	v_mov_b32_e32 v4, v7
	s_mov_b32 s8, 0x3c439041
	v_mad_u64_u32 v[8:9], s[8:9], v19, s8, v[4:5]
	v_mov_b32_e32 v4, v9
	s_mov_b32 s8, 0xdb629599
	v_mad_u64_u32 v[10:11], s[8:9], v19, s8, v[4:5]
	;; [unrolled: 3-line block ×6, first 2 shown]
	v_cndmask_b32_e32 v7, v16, v12, vcc
	v_cndmask_b32_e32 v4, v4, v14, vcc
	;; [unrolled: 1-line block ×3, first 2 shown]
	v_cndmask_b32_e64 v9, v4, v7, s[4:5]
	v_cndmask_b32_e64 v4, v5, v4, s[4:5]
	v_cndmask_b32_e32 v5, v14, v10, vcc
	v_cndmask_b32_e64 v7, v7, v5, s[4:5]
	v_cndmask_b32_e32 v8, v12, v8, vcc
	v_cndmask_b32_e64 v4, v4, v9, s[6:7]
	v_cndmask_b32_e64 v9, v9, v7, s[6:7]
	v_sub_u32_e32 v11, 32, v18
	v_cndmask_b32_e64 v5, v5, v8, s[4:5]
	v_alignbit_b32 v13, v4, v9, v11
	v_cmp_eq_u32_e64 s[8:9], 0, v18
	v_cndmask_b32_e64 v7, v7, v5, s[6:7]
	v_cndmask_b32_e64 v4, v13, v4, s[8:9]
	v_alignbit_b32 v12, v9, v7, v11
	v_cndmask_b32_e64 v9, v12, v9, s[8:9]
	v_bfe_u32 v14, v4, 29, 1
	v_cndmask_b32_e32 v6, v10, v6, vcc
	v_alignbit_b32 v12, v4, v9, 30
	v_sub_u32_e32 v15, 0, v14
	v_cndmask_b32_e64 v6, v8, v6, s[4:5]
	v_xor_b32_e32 v16, v12, v15
	v_cndmask_b32_e64 v5, v5, v6, s[6:7]
	v_alignbit_b32 v6, v7, v5, v11
	v_ffbh_u32_e32 v8, v16
	v_cndmask_b32_e64 v6, v6, v7, s[8:9]
	v_add_u32_e32 v8, 1, v8
	v_cmp_ne_u32_e32 vcc, v12, v15
	v_alignbit_b32 v7, v9, v6, 30
	v_cndmask_b32_e32 v8, 33, v8, vcc
	v_alignbit_b32 v5, v6, v5, 30
	v_xor_b32_e32 v7, v7, v15
	v_sub_u32_e32 v9, 32, v8
	v_xor_b32_e32 v5, v5, v15
	v_alignbit_b32 v10, v16, v7, v9
	v_alignbit_b32 v5, v7, v5, v9
	;; [unrolled: 1-line block ×3, first 2 shown]
	v_ffbh_u32_e32 v7, v6
	v_min_u32_e32 v7, 32, v7
	v_lshrrev_b32_e32 v13, 29, v4
	v_sub_u32_e32 v9, 31, v7
	v_alignbit_b32 v5, v6, v5, v9
	v_lshlrev_b32_e32 v6, 31, v13
	v_or_b32_e32 v9, 0x33800000, v6
	v_add_lshl_u32 v7, v7, v8, 23
	v_lshrrev_b32_e32 v5, 9, v5
	v_sub_u32_e32 v7, v9, v7
	v_or_b32_e32 v5, v7, v5
	v_alignbit_b32 v7, v8, v10, 9
	v_or_b32_e32 v6, v7, v6
	v_xor_b32_e32 v6, 1.0, v6
	s_mov_b32 s4, 0x3fc90fda
	v_mul_f32_e32 v7, 0x3fc90fda, v6
	v_fma_f32 v8, v6, s4, -v7
	v_fmac_f32_e32 v8, 0x33a22168, v6
	v_fmac_f32_e32 v8, 0x3fc90fda, v5
	v_lshrrev_b32_e32 v4, 30, v4
	v_add_f32_e32 v6, v7, v8
	v_add_u32_e32 v5, v14, v4
	s_andn2_saveexec_b64 s[4:5], s[14:15]
	s_cbranch_execnz .LBB57_75
	s_branch .LBB57_76
.LBB57_74:
	s_andn2_saveexec_b64 s[4:5], s[14:15]
.LBB57_75:
	s_mov_b32 s6, 0x3f22f983
	v_mul_f32_e64 v4, |v1|, s6
	v_rndne_f32_e32 v4, v4
	s_mov_b32 s6, 0xbfc90fda
	v_cvt_i32_f32_e32 v5, v4
	v_fma_f32 v6, v4, s6, |v1|
	v_fmac_f32_e32 v6, 0xb3a22168, v4
	v_fmac_f32_e32 v6, 0xa7c234c4, v4
.LBB57_76:
	s_or_b64 exec, exec, s[4:5]
	v_mul_f32_e32 v4, v3, v3
	v_mov_b32_e32 v10, 0xbab64f3b
	v_mov_b32_e32 v8, 0x3c0881c4
	v_fmac_f32_e32 v10, 0x37d75334, v4
	v_mov_b32_e32 v11, 0x3d2aabf7
	v_fmac_f32_e32 v8, 0xb94c1982, v4
	v_mov_b32_e32 v9, 0xbe2aaa9d
	v_fma_f32 v10, v4, v10, v11
	v_mov_b32_e32 v12, 0xbf000004
	v_fma_f32 v8, v4, v8, v9
	v_fma_f32 v10, v4, v10, v12
	v_mul_f32_e32 v8, v4, v8
	v_fma_f32 v4, v4, v10, 1.0
	v_and_b32_e32 v10, 1, v0
	v_fmac_f32_e32 v3, v3, v8
	v_cmp_eq_u32_e32 vcc, 0, v10
	v_mov_b32_e32 v7, 0x3c0881c4
	v_cndmask_b32_e64 v3, -v3, v4, vcc
	v_mul_f32_e32 v4, v6, v6
	v_mov_b32_e32 v8, 0xbab64f3b
	v_fmac_f32_e32 v7, 0xb94c1982, v4
	v_fmac_f32_e32 v9, v4, v7
	;; [unrolled: 1-line block ×3, first 2 shown]
	v_mul_f32_e32 v7, v4, v9
	v_fmac_f32_e32 v11, v4, v8
	s_movk_i32 s4, 0x1f8
	v_fmac_f32_e32 v6, v6, v7
	v_fmac_f32_e32 v12, v4, v11
	v_and_b32_e32 v7, 1, v5
	s_brev_b32 s6, 1
	v_cmp_class_f32_e64 vcc, v1, s4
	v_fma_f32 v4, v4, v12, 1.0
	v_cmp_eq_u32_e64 s[4:5], 0, v7
	v_lshlrev_b32_e32 v5, 30, v5
	v_lshlrev_b32_e32 v0, 30, v0
	v_cndmask_b32_e64 v4, v4, v6, s[4:5]
	v_and_or_b32 v2, v5, s6, v2
	v_and_b32_e32 v0, 0x80000000, v0
	v_xor_b32_e32 v2, v2, v4
	v_xor_b32_e32 v0, v0, v3
	v_mov_b32_e32 v3, 0x7fc00000
	v_xor_b32_e32 v1, v2, v1
	v_cndmask_b32_e32 v0, v3, v0, vcc
	v_cndmask_b32_e32 v1, v3, v1, vcc
.LBB57_77:
	s_or_b64 exec, exec, s[12:13]
                                        ; implicit-def: $vgpr4
	s_andn2_saveexec_b64 s[4:5], s[10:11]
	s_cbranch_execnz .LBB57_41
.LBB57_78:
	s_or_b64 exec, exec, s[4:5]
	s_setpc_b64 s[30:31]
.Lfunc_end57:
	.size	_ZN2at6native12_GLOBAL__N_14pow_IfEEN3c107complexIT_EES6_S6_, .Lfunc_end57-_ZN2at6native12_GLOBAL__N_14pow_IfEEN3c107complexIT_EES6_S6_
                                        ; -- End function
	.section	.AMDGPU.csdata,"",@progbits
; Function info:
; codeLenInByte = 11160
; NumSgprs: 36
; NumVgprs: 22
; NumAgprs: 0
; TotalNumVgprs: 22
; ScratchSize: 0
; MemoryBound: 0
	.section	.text._ZN2at6native12_GLOBAL__N_125multi_tensor_apply_kernelINS1_18TensorListMetadataILi1EEENS1_21BinaryOpScalarFunctorIN3c107complexIfEELi1ELi1ELi0EEEJNS1_13power_functorIS8_EES8_EEEvT_T0_DpT1_,"axG",@progbits,_ZN2at6native12_GLOBAL__N_125multi_tensor_apply_kernelINS1_18TensorListMetadataILi1EEENS1_21BinaryOpScalarFunctorIN3c107complexIfEELi1ELi1ELi0EEEJNS1_13power_functorIS8_EES8_EEEvT_T0_DpT1_,comdat
	.globl	_ZN2at6native12_GLOBAL__N_125multi_tensor_apply_kernelINS1_18TensorListMetadataILi1EEENS1_21BinaryOpScalarFunctorIN3c107complexIfEELi1ELi1ELi0EEEJNS1_13power_functorIS8_EES8_EEEvT_T0_DpT1_ ; -- Begin function _ZN2at6native12_GLOBAL__N_125multi_tensor_apply_kernelINS1_18TensorListMetadataILi1EEENS1_21BinaryOpScalarFunctorIN3c107complexIfEELi1ELi1ELi0EEEJNS1_13power_functorIS8_EES8_EEEvT_T0_DpT1_
	.p2align	8
	.type	_ZN2at6native12_GLOBAL__N_125multi_tensor_apply_kernelINS1_18TensorListMetadataILi1EEENS1_21BinaryOpScalarFunctorIN3c107complexIfEELi1ELi1ELi0EEEJNS1_13power_functorIS8_EES8_EEEvT_T0_DpT1_,@function
_ZN2at6native12_GLOBAL__N_125multi_tensor_apply_kernelINS1_18TensorListMetadataILi1EEENS1_21BinaryOpScalarFunctorIN3c107complexIfEELi1ELi1ELi0EEEJNS1_13power_functorIS8_EES8_EEEvT_T0_DpT1_: ; @_ZN2at6native12_GLOBAL__N_125multi_tensor_apply_kernelINS1_18TensorListMetadataILi1EEENS1_21BinaryOpScalarFunctorIN3c107complexIfEELi1ELi1ELi0EEEJNS1_13power_functorIS8_EES8_EEEvT_T0_DpT1_
; %bb.0:
	v_mov_b32_e32 v1, s10
	global_load_ubyte v1, v1, s[6:7] offset:1760
	s_load_dwordx2 s[4:5], s[4:5], 0x4
	s_add_u32 flat_scratch_lo, s8, s11
	s_addc_u32 flat_scratch_hi, s9, 0
	s_add_u32 s0, s0, s11
	s_addc_u32 s1, s1, 0
	s_mov_b64 s[26:27], s[6:7]
	s_waitcnt lgkmcnt(0)
	s_lshr_b32 s4, s4, 16
	s_mul_i32 s11, s4, s5
	s_add_u32 s4, s26, s10
	s_mul_i32 s8, s10, 3
	s_addc_u32 s9, s27, 0
	s_mul_hi_u32 s6, s10, 3
	s_add_u32 s8, s4, s8
	s_addc_u32 s9, s9, s6
	s_load_dword s4, s[8:9], 0x820
	v_and_b32_e32 v28, 0x3ff, v0
	v_bfe_u32 v2, v0, 10, 10
	s_mov_b32 s7, 0
	v_bfe_u32 v0, v0, 20, 10
	s_mov_b32 s32, 0
	s_waitcnt vmcnt(0)
	v_readfirstlane_b32 s6, v1
	s_lshl_b32 s6, s6, 3
	s_load_dwordx2 s[40:41], s[26:27], 0xd30
	s_load_dwordx2 s[8:9], s[26:27], s6 offset:0x370
	s_load_dwordx2 s[44:45], s[26:27], s6 offset:0x0
	v_mul_lo_u32 v1, s11, v28
	v_mad_u32_u24 v1, v2, s5, v1
	s_waitcnt lgkmcnt(0)
	s_ashr_i32 s5, s4, 31
	s_lshl_b64 s[46:47], s[4:5], 19
	s_add_u32 s33, s44, s46
	s_addc_u32 s56, s45, s47
	s_and_b32 s6, s33, 31
	s_lshl_b64 s[4:5], s[4:5], 16
	s_sub_u32 s42, s8, s4
	s_subb_u32 s43, s9, s5
	s_and_b32 s4, s8, 3
	s_mov_b32 s5, s7
	s_or_b64 s[4:5], s[6:7], s[4:5]
	s_cmp_eq_u64 s[4:5], 0
	v_add_lshl_u32 v30, v1, v0, 3
	s_cbranch_scc1 .LBB58_19
; %bb.1:
	v_cmp_lt_i64_e64 s[4:5], s[42:43], 1
	s_and_b64 vcc, exec, s[4:5]
	s_cbranch_vccnz .LBB58_18
; %bb.2:
	s_load_dword s4, s[26:27], 0xd44
	v_mov_b32_e32 v0, 0x10000
	v_mov_b32_e32 v1, 0
	v_cmp_lt_u64_e32 vcc, s[42:43], v[0:1]
	v_mov_b32_e32 v33, 0
	s_waitcnt lgkmcnt(0)
	s_and_b32 s6, s4, 0xffff
	s_and_b64 s[4:5], vcc, exec
	s_mul_i32 s8, s6, 3
	s_mov_b64 s[4:5], src_shared_base
	v_lshlrev_b32_e32 v32, 3, v28
	v_add_co_u32_e32 v31, vcc, s8, v28
	v_mov_b32_e32 v29, s5
	v_mad_u64_u32 v[34:35], s[4:5], s6, 24, v[32:33]
	v_addc_co_u32_e64 v37, s[4:5], 0, 0, vcc
	s_cselect_b32 s49, s43, 0
	s_cselect_b32 s48, s42, 0x10000
	s_lshl_b32 s4, s6, 4
	s_lshl_b32 s7, s6, 1
	v_add_co_u32_e32 v44, vcc, s4, v32
	v_addc_co_u32_e64 v45, s[4:5], 0, 0, vcc
	v_add_co_u32_e32 v46, vcc, s7, v28
	v_addc_co_u32_e64 v47, s[4:5], 0, 0, vcc
	v_add_co_u32_e32 v48, vcc, s6, v28
	s_lshl_b32 s57, s6, 2
	s_lshl_b32 s58, s6, 5
	v_addc_co_u32_e64 v49, s[4:5], 0, 0, vcc
	v_lshlrev_b32_e32 v36, 3, v48
	s_mov_b64 s[50:51], 0
	v_mov_b32_e32 v38, v33
	v_mov_b32_e32 v39, v33
	v_pk_mov_b32 v[40:41], s[42:43], s[42:43] op_sel:[0,1]
	s_branch .LBB58_4
.LBB58_3:                               ;   in Loop: Header=BB58_4 Depth=1
	s_or_b64 exec, exec, s[4:5]
	s_add_u32 s50, s50, s57
	v_mov_b32_e32 v0, 0x10000
	s_addc_u32 s51, s51, 0
	v_mov_b32_e32 v1, 0
	v_cmp_lt_i64_e32 vcc, s[50:51], v[40:41]
	v_cmp_lt_u64_e64 s[4:5], s[50:51], v[0:1]
	s_and_b64 s[4:5], vcc, s[4:5]
	s_add_u32 s33, s33, s58
	s_addc_u32 s56, s56, 0
	s_and_b64 vcc, exec, s[4:5]
	s_cbranch_vccz .LBB58_18
.LBB58_4:                               ; =>This Inner Loop Header: Depth=1
	v_mov_b32_e32 v1, s51
	v_add_co_u32_e32 v0, vcc, s50, v28
	v_addc_co_u32_e32 v1, vcc, 0, v1, vcc
	v_cmp_gt_u64_e64 s[28:29], s[48:49], v[0:1]
	v_mov_b32_e32 v24, 0
	v_mov_b32_e32 v25, 0
	s_and_saveexec_b64 s[4:5], s[28:29]
	s_cbranch_execz .LBB58_6
; %bb.5:                                ;   in Loop: Header=BB58_4 Depth=1
	v_mov_b32_e32 v1, s56
	v_add_co_u32_e32 v0, vcc, s33, v32
	v_addc_co_u32_e32 v1, vcc, 0, v1, vcc
	global_load_dwordx2 v[24:25], v[0:1], off
.LBB58_6:                               ;   in Loop: Header=BB58_4 Depth=1
	s_or_b64 exec, exec, s[4:5]
	v_mov_b32_e32 v1, s51
	v_add_co_u32_e32 v0, vcc, s50, v48
	v_addc_co_u32_e32 v1, vcc, v49, v1, vcc
	v_cmp_gt_u64_e64 s[34:35], s[48:49], v[0:1]
	v_mov_b32_e32 v22, 0
	v_mov_b32_e32 v26, 0
	;; [unrolled: 1-line block ×3, first 2 shown]
	s_and_saveexec_b64 s[4:5], s[34:35]
	s_cbranch_execz .LBB58_8
; %bb.7:                                ;   in Loop: Header=BB58_4 Depth=1
	v_mov_b32_e32 v1, s56
	v_add_co_u32_e32 v0, vcc, s33, v36
	v_addc_co_u32_e32 v1, vcc, 0, v1, vcc
	global_load_dwordx2 v[26:27], v[0:1], off
.LBB58_8:                               ;   in Loop: Header=BB58_4 Depth=1
	s_or_b64 exec, exec, s[4:5]
	v_mov_b32_e32 v1, s51
	v_add_co_u32_e32 v0, vcc, s50, v46
	v_addc_co_u32_e32 v1, vcc, v47, v1, vcc
	v_cmp_gt_u64_e64 s[36:37], s[48:49], v[0:1]
	v_mov_b32_e32 v23, 0
	s_and_saveexec_b64 s[4:5], s[36:37]
	s_cbranch_execz .LBB58_10
; %bb.9:                                ;   in Loop: Header=BB58_4 Depth=1
	v_mov_b32_e32 v1, s56
	v_add_co_u32_e32 v0, vcc, s33, v44
	v_addc_co_u32_e32 v1, vcc, v1, v45, vcc
	global_load_dwordx2 v[22:23], v[0:1], off
.LBB58_10:                              ;   in Loop: Header=BB58_4 Depth=1
	s_or_b64 exec, exec, s[4:5]
	v_mov_b32_e32 v1, s51
	v_add_co_u32_e32 v0, vcc, s50, v31
	v_addc_co_u32_e32 v1, vcc, v37, v1, vcc
	v_mov_b32_e32 v2, s56
	v_add_co_u32_e32 v42, vcc, s33, v34
	v_addc_co_u32_e32 v43, vcc, v2, v35, vcc
	v_cmp_gt_u64_e64 s[38:39], s[48:49], v[0:1]
	ds_write_b64 v30, v[38:39]
	v_cndmask_b32_e64 v1, v29, v43, s[38:39]
	v_cndmask_b32_e64 v0, v30, v42, s[38:39]
	flat_load_dwordx2 v[0:1], v[0:1]
	v_mov_b32_e32 v2, s40
	v_mov_b32_e32 v3, s41
	s_getpc_b64 s[52:53]
	s_add_u32 s52, s52, _ZN2at6native12_GLOBAL__N_14pow_IfEEN3c107complexIT_EES6_S6_@rel32@lo+4
	s_addc_u32 s53, s53, _ZN2at6native12_GLOBAL__N_14pow_IfEEN3c107complexIT_EES6_S6_@rel32@hi+12
	s_swappc_b64 s[30:31], s[52:53]
	ds_write_b64 v30, v[0:1]
	s_and_saveexec_b64 s[54:55], s[28:29]
	s_cbranch_execnz .LBB58_14
; %bb.11:                               ;   in Loop: Header=BB58_4 Depth=1
	s_or_b64 exec, exec, s[54:55]
	s_and_saveexec_b64 s[28:29], s[34:35]
	s_cbranch_execnz .LBB58_15
.LBB58_12:                              ;   in Loop: Header=BB58_4 Depth=1
	s_or_b64 exec, exec, s[28:29]
	s_and_saveexec_b64 s[28:29], s[36:37]
	s_cbranch_execnz .LBB58_16
.LBB58_13:                              ;   in Loop: Header=BB58_4 Depth=1
	s_or_b64 exec, exec, s[28:29]
	s_and_saveexec_b64 s[4:5], s[38:39]
	s_cbranch_execz .LBB58_3
	s_branch .LBB58_17
.LBB58_14:                              ;   in Loop: Header=BB58_4 Depth=1
	v_mov_b32_e32 v0, v24
	v_mov_b32_e32 v1, v25
	;; [unrolled: 1-line block ×4, first 2 shown]
	s_swappc_b64 s[30:31], s[52:53]
	v_mov_b32_e32 v3, s56
	v_add_co_u32_e32 v2, vcc, s33, v32
	v_addc_co_u32_e32 v3, vcc, 0, v3, vcc
	global_store_dwordx2 v[2:3], v[0:1], off
	s_or_b64 exec, exec, s[54:55]
	s_and_saveexec_b64 s[28:29], s[34:35]
	s_cbranch_execz .LBB58_12
.LBB58_15:                              ;   in Loop: Header=BB58_4 Depth=1
	v_mov_b32_e32 v0, v26
	v_mov_b32_e32 v1, v27
	;; [unrolled: 1-line block ×4, first 2 shown]
	s_getpc_b64 s[4:5]
	s_add_u32 s4, s4, _ZN2at6native12_GLOBAL__N_14pow_IfEEN3c107complexIT_EES6_S6_@rel32@lo+4
	s_addc_u32 s5, s5, _ZN2at6native12_GLOBAL__N_14pow_IfEEN3c107complexIT_EES6_S6_@rel32@hi+12
	s_swappc_b64 s[30:31], s[4:5]
	v_mov_b32_e32 v3, s56
	v_add_co_u32_e32 v2, vcc, s33, v36
	v_addc_co_u32_e32 v3, vcc, 0, v3, vcc
	global_store_dwordx2 v[2:3], v[0:1], off
	s_or_b64 exec, exec, s[28:29]
	s_and_saveexec_b64 s[28:29], s[36:37]
	s_cbranch_execz .LBB58_13
.LBB58_16:                              ;   in Loop: Header=BB58_4 Depth=1
	v_mov_b32_e32 v0, v22
	v_mov_b32_e32 v1, v23
	;; [unrolled: 1-line block ×4, first 2 shown]
	s_getpc_b64 s[4:5]
	s_add_u32 s4, s4, _ZN2at6native12_GLOBAL__N_14pow_IfEEN3c107complexIT_EES6_S6_@rel32@lo+4
	s_addc_u32 s5, s5, _ZN2at6native12_GLOBAL__N_14pow_IfEEN3c107complexIT_EES6_S6_@rel32@hi+12
	s_swappc_b64 s[30:31], s[4:5]
	v_mov_b32_e32 v3, s56
	v_add_co_u32_e32 v2, vcc, s33, v44
	v_addc_co_u32_e32 v3, vcc, v3, v45, vcc
	global_store_dwordx2 v[2:3], v[0:1], off
	s_or_b64 exec, exec, s[28:29]
	s_and_saveexec_b64 s[4:5], s[38:39]
	s_cbranch_execz .LBB58_3
.LBB58_17:                              ;   in Loop: Header=BB58_4 Depth=1
	ds_read_b64 v[0:1], v30
	s_waitcnt lgkmcnt(0)
	global_store_dwordx2 v[42:43], v[0:1], off
	s_branch .LBB58_3
.LBB58_18:
	s_cbranch_execz .LBB58_20
	s_branch .LBB58_23
.LBB58_19:
.LBB58_20:
	v_mov_b32_e32 v33, 0
	v_lshlrev_b32_e32 v32, 2, v28
	s_mov_b32 s4, 0
	v_cmp_gt_i64_e32 vcc, s[42:43], v[32:33]
	s_and_saveexec_b64 s[6:7], vcc
	s_cbranch_execz .LBB58_23
; %bb.21:
	s_load_dword s5, s[26:27], 0xd44
	v_lshlrev_b32_e32 v0, 5, v28
	s_mov_b64 s[26:27], 0
	s_mov_b64 s[28:29], 0xffff
	v_mov_b32_e32 v31, s4
	s_waitcnt lgkmcnt(0)
	s_and_b32 s5, s5, 0xffff
	s_add_u32 s6, s44, s46
	s_addc_u32 s7, s45, s47
	v_mov_b32_e32 v1, s7
	v_add_co_u32_e32 v34, vcc, s6, v0
	v_addc_co_u32_e32 v35, vcc, 0, v1, vcc
	s_lshl_b32 s33, s5, 5
	v_add_lshl_u32 v32, v28, s5, 2
	s_lshl_b32 s34, s5, 2
	v_mov_b32_e32 v36, s4
.LBB58_22:                              ; =>This Inner Loop Header: Depth=1
	global_load_dwordx4 v[22:25], v[34:35], off
	global_load_dwordx4 v[26:29], v[34:35], off offset:16
	v_mov_b32_e32 v2, s40
	v_mov_b32_e32 v3, s41
	s_getpc_b64 s[36:37]
	s_add_u32 s36, s36, _ZN2at6native12_GLOBAL__N_14pow_IfEEN3c107complexIT_EES6_S6_@rel32@lo+4
	s_addc_u32 s37, s37, _ZN2at6native12_GLOBAL__N_14pow_IfEEN3c107complexIT_EES6_S6_@rel32@hi+12
	s_waitcnt vmcnt(1)
	v_mov_b32_e32 v0, v22
	v_mov_b32_e32 v1, v23
	s_swappc_b64 s[30:31], s[36:37]
	v_mov_b32_e32 v22, v0
	v_mov_b32_e32 v23, v1
	v_mov_b32_e32 v0, v24
	v_mov_b32_e32 v1, v25
	v_mov_b32_e32 v2, s40
	v_mov_b32_e32 v3, s41
	s_swappc_b64 s[30:31], s[36:37]
	v_mov_b32_e32 v24, v0
	v_mov_b32_e32 v25, v1
	v_mov_b32_e32 v0, v26
	v_mov_b32_e32 v1, v27
	;; [unrolled: 7-line block ×3, first 2 shown]
	v_mov_b32_e32 v2, s40
	v_mov_b32_e32 v3, s41
	s_swappc_b64 s[30:31], s[36:37]
	v_cmp_le_i64_e32 vcc, s[42:43], v[32:33]
	v_cmp_lt_u64_e64 s[4:5], s[28:29], v[32:33]
	v_mov_b32_e32 v28, v0
	v_mov_b32_e32 v29, v1
	s_or_b64 s[4:5], vcc, s[4:5]
	global_store_dwordx4 v[34:35], v[22:25], off
	v_add_co_u32_e64 v32, s[6:7], s34, v32
	global_store_dwordx4 v[34:35], v[26:29], off offset:16
	v_add_co_u32_e32 v34, vcc, s33, v34
	s_and_b64 s[4:5], exec, s[4:5]
	v_addc_co_u32_e64 v33, s[6:7], v33, v36, s[6:7]
	s_or_b64 s[26:27], s[4:5], s[26:27]
	v_addc_co_u32_e32 v35, vcc, v35, v31, vcc
	ds_write_b64 v30, v[28:29]
	s_andn2_b64 exec, exec, s[26:27]
	s_cbranch_execnz .LBB58_22
.LBB58_23:
	s_endpgm
	.section	.rodata,"a",@progbits
	.p2align	6, 0x0
	.amdhsa_kernel _ZN2at6native12_GLOBAL__N_125multi_tensor_apply_kernelINS1_18TensorListMetadataILi1EEENS1_21BinaryOpScalarFunctorIN3c107complexIfEELi1ELi1ELi0EEEJNS1_13power_functorIS8_EES8_EEEvT_T0_DpT1_
		.amdhsa_group_segment_fixed_size 4096
		.amdhsa_private_segment_fixed_size 0
		.amdhsa_kernarg_size 3640
		.amdhsa_user_sgpr_count 10
		.amdhsa_user_sgpr_private_segment_buffer 1
		.amdhsa_user_sgpr_dispatch_ptr 1
		.amdhsa_user_sgpr_queue_ptr 0
		.amdhsa_user_sgpr_kernarg_segment_ptr 1
		.amdhsa_user_sgpr_dispatch_id 0
		.amdhsa_user_sgpr_flat_scratch_init 1
		.amdhsa_user_sgpr_kernarg_preload_length 0
		.amdhsa_user_sgpr_kernarg_preload_offset 0
		.amdhsa_user_sgpr_private_segment_size 0
		.amdhsa_uses_dynamic_stack 0
		.amdhsa_system_sgpr_private_segment_wavefront_offset 0
		.amdhsa_system_sgpr_workgroup_id_x 1
		.amdhsa_system_sgpr_workgroup_id_y 0
		.amdhsa_system_sgpr_workgroup_id_z 0
		.amdhsa_system_sgpr_workgroup_info 0
		.amdhsa_system_vgpr_workitem_id 2
		.amdhsa_next_free_vgpr 50
		.amdhsa_next_free_sgpr 59
		.amdhsa_accum_offset 52
		.amdhsa_reserve_vcc 1
		.amdhsa_reserve_flat_scratch 1
		.amdhsa_float_round_mode_32 0
		.amdhsa_float_round_mode_16_64 0
		.amdhsa_float_denorm_mode_32 3
		.amdhsa_float_denorm_mode_16_64 3
		.amdhsa_dx10_clamp 1
		.amdhsa_ieee_mode 1
		.amdhsa_fp16_overflow 0
		.amdhsa_tg_split 0
		.amdhsa_exception_fp_ieee_invalid_op 0
		.amdhsa_exception_fp_denorm_src 0
		.amdhsa_exception_fp_ieee_div_zero 0
		.amdhsa_exception_fp_ieee_overflow 0
		.amdhsa_exception_fp_ieee_underflow 0
		.amdhsa_exception_fp_ieee_inexact 0
		.amdhsa_exception_int_div_zero 0
	.end_amdhsa_kernel
	.section	.text._ZN2at6native12_GLOBAL__N_125multi_tensor_apply_kernelINS1_18TensorListMetadataILi1EEENS1_21BinaryOpScalarFunctorIN3c107complexIfEELi1ELi1ELi0EEEJNS1_13power_functorIS8_EES8_EEEvT_T0_DpT1_,"axG",@progbits,_ZN2at6native12_GLOBAL__N_125multi_tensor_apply_kernelINS1_18TensorListMetadataILi1EEENS1_21BinaryOpScalarFunctorIN3c107complexIfEELi1ELi1ELi0EEEJNS1_13power_functorIS8_EES8_EEEvT_T0_DpT1_,comdat
.Lfunc_end58:
	.size	_ZN2at6native12_GLOBAL__N_125multi_tensor_apply_kernelINS1_18TensorListMetadataILi1EEENS1_21BinaryOpScalarFunctorIN3c107complexIfEELi1ELi1ELi0EEEJNS1_13power_functorIS8_EES8_EEEvT_T0_DpT1_, .Lfunc_end58-_ZN2at6native12_GLOBAL__N_125multi_tensor_apply_kernelINS1_18TensorListMetadataILi1EEENS1_21BinaryOpScalarFunctorIN3c107complexIfEELi1ELi1ELi0EEEJNS1_13power_functorIS8_EES8_EEEvT_T0_DpT1_
                                        ; -- End function
	.section	.AMDGPU.csdata,"",@progbits
; Kernel info:
; codeLenInByte = 1376
; NumSgprs: 65
; NumVgprs: 50
; NumAgprs: 0
; TotalNumVgprs: 50
; ScratchSize: 0
; MemoryBound: 0
; FloatMode: 240
; IeeeMode: 1
; LDSByteSize: 4096 bytes/workgroup (compile time only)
; SGPRBlocks: 8
; VGPRBlocks: 6
; NumSGPRsForWavesPerEU: 65
; NumVGPRsForWavesPerEU: 50
; AccumOffset: 52
; Occupancy: 8
; WaveLimiterHint : 0
; COMPUTE_PGM_RSRC2:SCRATCH_EN: 0
; COMPUTE_PGM_RSRC2:USER_SGPR: 10
; COMPUTE_PGM_RSRC2:TRAP_HANDLER: 0
; COMPUTE_PGM_RSRC2:TGID_X_EN: 1
; COMPUTE_PGM_RSRC2:TGID_Y_EN: 0
; COMPUTE_PGM_RSRC2:TGID_Z_EN: 0
; COMPUTE_PGM_RSRC2:TIDIG_COMP_CNT: 2
; COMPUTE_PGM_RSRC3_GFX90A:ACCUM_OFFSET: 12
; COMPUTE_PGM_RSRC3_GFX90A:TG_SPLIT: 0
	.section	.text._ZN2at6native12_GLOBAL__N_125multi_tensor_apply_kernelINS1_18TensorListMetadataILi1EEENS1_21BinaryOpScalarFunctorIN3c104HalfELi1ELi1ELi0EEEJNS1_13power_functorIfEEfEEEvT_T0_DpT1_,"axG",@progbits,_ZN2at6native12_GLOBAL__N_125multi_tensor_apply_kernelINS1_18TensorListMetadataILi1EEENS1_21BinaryOpScalarFunctorIN3c104HalfELi1ELi1ELi0EEEJNS1_13power_functorIfEEfEEEvT_T0_DpT1_,comdat
	.globl	_ZN2at6native12_GLOBAL__N_125multi_tensor_apply_kernelINS1_18TensorListMetadataILi1EEENS1_21BinaryOpScalarFunctorIN3c104HalfELi1ELi1ELi0EEEJNS1_13power_functorIfEEfEEEvT_T0_DpT1_ ; -- Begin function _ZN2at6native12_GLOBAL__N_125multi_tensor_apply_kernelINS1_18TensorListMetadataILi1EEENS1_21BinaryOpScalarFunctorIN3c104HalfELi1ELi1ELi0EEEJNS1_13power_functorIfEEfEEEvT_T0_DpT1_
	.p2align	8
	.type	_ZN2at6native12_GLOBAL__N_125multi_tensor_apply_kernelINS1_18TensorListMetadataILi1EEENS1_21BinaryOpScalarFunctorIN3c104HalfELi1ELi1ELi0EEEJNS1_13power_functorIfEEfEEEvT_T0_DpT1_,@function
_ZN2at6native12_GLOBAL__N_125multi_tensor_apply_kernelINS1_18TensorListMetadataILi1EEENS1_21BinaryOpScalarFunctorIN3c104HalfELi1ELi1ELi0EEEJNS1_13power_functorIfEEfEEEvT_T0_DpT1_: ; @_ZN2at6native12_GLOBAL__N_125multi_tensor_apply_kernelINS1_18TensorListMetadataILi1EEENS1_21BinaryOpScalarFunctorIN3c104HalfELi1ELi1ELi0EEEJNS1_13power_functorIfEEfEEEvT_T0_DpT1_
; %bb.0:
	v_mov_b32_e32 v1, s6
	global_load_ubyte v1, v1, s[4:5] offset:1760
	s_add_u32 s0, s4, s6
	s_mul_hi_u32 s1, s6, 3
	s_mul_i32 s6, s6, 3
	s_addc_u32 s2, s5, 0
	s_add_u32 s0, s0, s6
	s_addc_u32 s1, s2, s1
	s_load_dword s0, s[0:1], 0x820
	s_mov_b32 s7, 0
	s_waitcnt vmcnt(0)
	v_readfirstlane_b32 s1, v1
	s_lshl_b32 s1, s1, 3
	s_load_dword s33, s[4:5], 0xd2c
	s_load_dwordx2 s[2:3], s[4:5], s1 offset:0x370
	s_load_dwordx2 s[22:23], s[4:5], s1 offset:0x0
	s_waitcnt lgkmcnt(0)
	s_ashr_i32 s1, s0, 31
	s_lshl_b64 s[24:25], s[0:1], 17
	s_lshl_b64 s[0:1], s[0:1], 16
	s_and_b32 s6, s22, 7
	s_sub_u32 s20, s2, s0
	s_subb_u32 s21, s3, s1
	s_and_b32 s0, s2, 3
	s_mov_b32 s1, s7
	s_or_b64 s[0:1], s[6:7], s[0:1]
	s_cmp_eq_u64 s[0:1], 0
	s_cbranch_scc1 .LBB59_21
; %bb.1:
	v_cmp_lt_i64_e64 s[0:1], s[20:21], 1
	s_and_b64 vcc, exec, s[0:1]
	s_cbranch_vccnz .LBB59_20
; %bb.2:
	s_load_dword s0, s[4:5], 0xd3c
	v_mov_b32_e32 v2, 0x10000
	v_mov_b32_e32 v3, 0
	v_cmp_lt_u64_e32 vcc, s[20:21], v[2:3]
	v_lshlrev_b32_e32 v1, 1, v0
	s_waitcnt lgkmcnt(0)
	s_and_b32 s2, s0, 0xffff
	s_and_b64 s[0:1], vcc, exec
	s_cselect_b32 s27, s21, 0
	s_cselect_b32 s26, s20, 0x10000
	s_lshl_b32 s3, s2, 1
	s_lshl_b32 s35, s2, 2
	s_add_u32 s6, s22, s24
	s_addc_u32 s7, s23, s25
	v_mov_b32_e32 v3, s7
	v_add_co_u32_e32 v2, vcc, s6, v1
	s_mul_i32 s0, s2, 3
	v_addc_co_u32_e32 v3, vcc, 0, v3, vcc
	v_add_co_u32_e32 v1, vcc, s0, v0
	v_addc_co_u32_e64 v6, s[0:1], 0, 0, vcc
	v_add_co_u32_e32 v7, vcc, s3, v0
	v_addc_co_u32_e64 v8, s[0:1], 0, 0, vcc
	v_add_co_u32_e32 v9, vcc, s2, v0
	v_lshlrev_b32_e32 v4, 1, v9
	s_mov_b32 s34, 0
	v_addc_co_u32_e64 v10, s[0:1], 0, 0, vcc
	v_mov_b32_e32 v5, s7
	v_add_co_u32_e32 v4, vcc, s6, v4
	s_lshl_b32 s36, s2, 3
	s_mov_b32 s37, s34
	s_mul_i32 s38, s2, 6
	s_mov_b32 s39, s34
	v_addc_co_u32_e32 v5, vcc, 0, v5, vcc
	s_mov_b64 s[28:29], 0
	s_mov_b32 s40, 0x7f800000
	s_brev_b32 s41, -2
	s_mov_b32 s42, 0x3f2aaaab
	s_mov_b32 s43, 0x3f317218
	v_mov_b32_e32 v11, 0x3ecccdef
	s_movk_i32 s44, 0x204
	s_mov_b32 s45, 0x42b17218
	s_mov_b32 s46, 0x3fb8aa3b
	;; [unrolled: 1-line block ×3, first 2 shown]
	v_mov_b32_e32 v12, 0x7f800000
	v_mov_b32_e32 v13, 0x37000000
	;; [unrolled: 1-line block ×3, first 2 shown]
	s_branch .LBB59_4
.LBB59_3:                               ;   in Loop: Header=BB59_4 Depth=1
	s_or_b64 exec, exec, s[8:9]
	s_add_u32 s28, s28, s35
	s_addc_u32 s29, s29, 0
	s_waitcnt vmcnt(0)
	v_pk_mov_b32 v[16:17], s[20:21], s[20:21] op_sel:[0,1]
	v_cmp_lt_i64_e32 vcc, s[28:29], v[16:17]
	v_mov_b32_e32 v16, 0x10000
	v_mov_b32_e32 v17, 0
	v_cmp_lt_u64_e64 s[0:1], s[28:29], v[16:17]
	s_and_b64 s[0:1], vcc, s[0:1]
	v_mov_b32_e32 v15, s37
	v_add_co_u32_e32 v2, vcc, s36, v2
	v_addc_co_u32_e32 v3, vcc, v3, v15, vcc
	v_add_co_u32_e32 v4, vcc, s36, v4
	v_addc_co_u32_e32 v5, vcc, v5, v15, vcc
	s_and_b64 vcc, exec, s[0:1]
	s_cbranch_vccz .LBB59_20
.LBB59_4:                               ; =>This Inner Loop Header: Depth=1
	v_mov_b32_e32 v15, s29
	v_add_co_u32_e32 v16, vcc, s28, v0
	v_addc_co_u32_e32 v17, vcc, 0, v15, vcc
	v_cmp_gt_u64_e64 s[6:7], s[26:27], v[16:17]
	v_mov_b32_e32 v18, 0
	s_and_saveexec_b64 s[0:1], s[6:7]
	s_cbranch_execz .LBB59_6
; %bb.5:                                ;   in Loop: Header=BB59_4 Depth=1
	global_load_ushort v18, v[2:3], off
.LBB59_6:                               ;   in Loop: Header=BB59_4 Depth=1
	s_or_b64 exec, exec, s[0:1]
	v_mov_b32_e32 v15, s29
	v_add_co_u32_e32 v16, vcc, s28, v9
	v_addc_co_u32_e32 v17, vcc, v10, v15, vcc
	v_cmp_gt_u64_e64 s[2:3], s[26:27], v[16:17]
	v_mov_b32_e32 v17, 0
	s_and_saveexec_b64 s[0:1], s[2:3]
	s_cbranch_execz .LBB59_8
; %bb.7:                                ;   in Loop: Header=BB59_4 Depth=1
	global_load_ushort v17, v[4:5], off
.LBB59_8:                               ;   in Loop: Header=BB59_4 Depth=1
	s_or_b64 exec, exec, s[0:1]
	v_mov_b32_e32 v15, s29
	v_add_co_u32_e32 v20, vcc, s28, v7
	v_addc_co_u32_e32 v21, vcc, v8, v15, vcc
	v_cmp_gt_u64_e64 s[0:1], s[26:27], v[20:21]
	v_mov_b32_e32 v15, 0
	v_mov_b32_e32 v16, 0
	s_and_saveexec_b64 s[8:9], s[0:1]
	s_cbranch_execz .LBB59_10
; %bb.9:                                ;   in Loop: Header=BB59_4 Depth=1
	v_mov_b32_e32 v16, s34
	v_add_co_u32_e32 v20, vcc, s35, v2
	v_addc_co_u32_e32 v21, vcc, v3, v16, vcc
	global_load_ushort v16, v[20:21], off
.LBB59_10:                              ;   in Loop: Header=BB59_4 Depth=1
	s_or_b64 exec, exec, s[8:9]
	v_mov_b32_e32 v19, s29
	v_add_co_u32_e32 v20, vcc, s28, v1
	v_addc_co_u32_e32 v21, vcc, v6, v19, vcc
	v_cmp_gt_u64_e32 vcc, s[26:27], v[20:21]
	s_and_saveexec_b64 s[10:11], vcc
	s_cbranch_execnz .LBB59_15
; %bb.11:                               ;   in Loop: Header=BB59_4 Depth=1
	s_or_b64 exec, exec, s[10:11]
	s_and_saveexec_b64 s[30:31], s[6:7]
	s_cbranch_execnz .LBB59_16
.LBB59_12:                              ;   in Loop: Header=BB59_4 Depth=1
	s_or_b64 exec, exec, s[30:31]
	s_and_saveexec_b64 s[12:13], s[2:3]
	s_cbranch_execnz .LBB59_17
.LBB59_13:                              ;   in Loop: Header=BB59_4 Depth=1
	s_or_b64 exec, exec, s[12:13]
	s_and_saveexec_b64 s[10:11], s[0:1]
	s_cbranch_execnz .LBB59_18
.LBB59_14:                              ;   in Loop: Header=BB59_4 Depth=1
	s_or_b64 exec, exec, s[10:11]
	s_and_saveexec_b64 s[8:9], vcc
	s_cbranch_execz .LBB59_3
	s_branch .LBB59_19
.LBB59_15:                              ;   in Loop: Header=BB59_4 Depth=1
	v_mov_b32_e32 v15, s39
	v_add_co_u32_e64 v20, s[8:9], s38, v2
	v_addc_co_u32_e64 v21, s[8:9], v3, v15, s[8:9]
	global_load_ushort v15, v[20:21], off
	s_or_b64 exec, exec, s[10:11]
	s_and_saveexec_b64 s[30:31], s[6:7]
	s_cbranch_execz .LBB59_12
.LBB59_16:                              ;   in Loop: Header=BB59_4 Depth=1
	s_waitcnt vmcnt(0)
	v_cvt_f32_f16_e32 v19, v18
	v_mov_b32_e32 v20, s33
	v_cmp_eq_f16_e64 s[14:15], 1.0, v18
	v_cndmask_b32_e64 v34, v20, 1.0, s[14:15]
	v_cmp_eq_f32_e64 s[6:7], 0, v34
	v_cndmask_b32_e64 v35, v19, 1.0, s[6:7]
	v_cmp_eq_f32_e64 s[8:9], 0, v35
	v_cmp_gt_f32_e64 s[10:11], 0, v34
	v_cndmask_b32_e64 v36, |v19|, 1.0, s[6:7]
	s_xor_b64 s[10:11], s[10:11], s[8:9]
	v_trunc_f32_e32 v19, v34
	v_cndmask_b32_e64 v18, v12, 0, s[10:11]
	v_cmp_eq_f32_e64 s[10:11], v19, v34
	v_mul_f32_e32 v19, 0.5, v34
	v_trunc_f32_e32 v21, v19
	v_cmp_neq_f32_e64 s[12:13], v21, v19
	s_and_b64 s[12:13], s[10:11], s[12:13]
	v_cndmask_b32_e64 v19, 0, v35, s[12:13]
	v_bfi_b32 v37, s41, v18, v19
	v_cvt_f64_f32_e32 v[18:19], v36
	v_frexp_exp_i32_f64_e32 v18, v[18:19]
	v_frexp_mant_f32_e32 v19, v36
	v_cmp_gt_f32_e64 s[18:19], s42, v19
	v_subbrev_co_u32_e64 v18, s[16:17], 0, v18, s[18:19]
	v_cvt_f32_i32_e32 v21, v18
	v_cndmask_b32_e64 v38, |v20|, 1.0, s[14:15]
	v_cmp_neq_f32_e64 s[14:15], v34, v38
	v_cmp_gt_f32_e64 s[16:17], 1.0, v36
	v_mul_f32_e32 v18, 0x3f317218, v21
	v_fma_f32 v20, v21, s43, -v18
	v_fmac_f32_e32 v20, 0xb102e308, v21
	v_cndmask_b32_e64 v21, 1.0, 2.0, s[18:19]
	v_mul_f32_e32 v19, v19, v21
	v_add_f32_e32 v21, 1.0, v19
	v_rcp_f32_e32 v30, v21
	v_add_f32_e32 v22, -1.0, v21
	v_add_f32_e32 v23, -1.0, v19
	v_sub_f32_e32 v22, v19, v22
	v_mul_f32_e32 v19, v23, v30
	v_mul_f32_e32 v24, v21, v19
	v_fma_f32 v26, v19, v21, -v24
	v_fmac_f32_e32 v26, v19, v22
	v_add_f32_e32 v22, v24, v26
	v_sub_f32_e32 v25, v23, v22
	v_pk_add_f32 v[28:29], v[22:23], v[24:25] neg_lo:[0,1] neg_hi:[0,1]
	v_mov_b32_e32 v27, v22
	v_pk_add_f32 v[22:23], v[28:29], v[26:27] neg_lo:[0,1] neg_hi:[0,1]
	v_add_f32_e32 v21, v22, v23
	v_add_f32_e32 v21, v25, v21
	v_mul_f32_e32 v23, v30, v21
	v_add_f32_e32 v22, v19, v23
	v_sub_f32_e32 v19, v22, v19
	v_mul_f32_e32 v25, v22, v22
	v_sub_f32_e32 v32, v23, v19
	v_add_f32_e32 v19, v32, v32
	v_fma_f32 v23, v22, v22, -v25
	v_fmac_f32_e32 v23, v22, v19
	v_add_f32_e32 v24, v25, v23
	v_sub_f32_e32 v19, v24, v25
	v_sub_f32_e32 v19, v23, v19
	v_mov_b32_e32 v23, 0x3e91f4c4
	v_fmac_f32_e32 v23, 0x3e76c4e1, v24
	v_fma_f32 v23, v24, v23, v11
	v_mul_f32_e32 v25, v24, v23
	v_fma_f32 v26, v24, v23, -v25
	v_fmac_f32_e32 v26, v19, v23
	v_add_f32_e32 v28, v25, v26
	v_add_f32_e32 v27, 0x3f2aaaaa, v28
	v_sub_f32_e32 v23, v28, v25
	v_sub_f32_e32 v23, v26, v23
	v_add_f32_e32 v25, 0xbf2aaaaa, v27
	v_add_f32_e32 v23, 0x31739010, v23
	v_sub_f32_e32 v25, v28, v25
	v_pk_mul_f32 v[28:29], v[22:23], v[24:25]
	v_fma_f32 v26, v24, v22, -v28
	v_pk_add_f32 v[30:31], v[22:23], v[24:25]
	v_fmac_f32_e32 v26, v24, v32
	v_mov_b32_e32 v29, v31
	v_fmac_f32_e32 v26, v19, v22
	v_ldexp_f32 v21, v22, 1
	v_pk_add_f32 v[22:23], v[28:29], v[26:27]
	v_mov_b32_e32 v24, v23
	v_pk_mul_f32 v[24:25], v[22:23], v[24:25]
	v_sub_f32_e32 v19, v22, v28
	v_sub_f32_e32 v25, v27, v23
	;; [unrolled: 1-line block ×3, first 2 shown]
	v_add_f32_e32 v25, v31, v25
	v_fma_f32 v26, v22, v23, -v24
	v_fmac_f32_e32 v26, v22, v25
	v_fmac_f32_e32 v26, v19, v23
	v_add_f32_e32 v19, v24, v26
	v_pk_add_f32 v[22:23], v[18:19], v[20:21]
	v_mov_b32_e32 v28, v19
	v_mov_b32_e32 v29, v23
	v_mov_b32_e32 v25, v21
	v_pk_add_f32 v[24:25], v[28:29], v[24:25] neg_lo:[0,1] neg_hi:[0,1]
	v_mov_b32_e32 v27, v19
	v_ldexp_f32 v30, v32, 1
	v_pk_add_f32 v[24:25], v[26:27], v[24:25] neg_lo:[0,1] neg_hi:[0,1]
	v_add_f32_e32 v19, v30, v24
	v_add_f32_e32 v19, v19, v25
	v_pk_add_f32 v[24:25], v[22:23], v[18:19] neg_lo:[0,1] neg_hi:[0,1]
	v_pk_add_f32 v[26:27], v[22:23], v[18:19]
	v_mov_b32_e32 v28, v24
	v_mov_b32_e32 v29, v27
	;; [unrolled: 1-line block ×3, first 2 shown]
	v_pk_add_f32 v[28:29], v[20:21], v[28:29]
	v_mov_b32_e32 v18, v29
	v_pk_add_f32 v[30:31], v[18:19], v[22:23] neg_lo:[0,1] neg_hi:[0,1]
	v_mov_b32_e32 v31, v30
	v_mov_b32_e32 v28, v27
	;; [unrolled: 1-line block ×4, first 2 shown]
	v_pk_add_f32 v[24:25], v[20:21], v[24:25] neg_lo:[0,1] neg_hi:[0,1]
	v_pk_add_f32 v[32:33], v[26:27], v[30:31] neg_lo:[0,1] neg_hi:[0,1]
	v_pk_add_f32 v[22:23], v[28:29], v[22:23] neg_lo:[0,1] neg_hi:[0,1]
	v_mov_b32_e32 v20, v19
	v_pk_add_f32 v[20:21], v[20:21], v[22:23] neg_lo:[0,1] neg_hi:[0,1]
	v_mov_b32_e32 v32, v24
	v_pk_add_f32 v[22:23], v[32:33], v[20:21]
	v_mov_b32_e32 v26, v23
	v_pk_add_f32 v[26:27], v[22:23], v[26:27]
	v_pk_add_f32 v[18:19], v[18:19], v[26:27]
	v_mov_b32_e32 v25, v29
	v_mov_b32_e32 v23, v18
	v_pk_add_f32 v[28:29], v[22:23], v[24:25] neg_lo:[0,1] neg_hi:[0,1]
	v_mov_b32_e32 v21, v26
	v_sub_f32_e32 v19, v22, v28
	v_pk_add_f32 v[20:21], v[20:21], v[28:29] neg_lo:[0,1] neg_hi:[0,1]
	v_sub_f32_e32 v19, v24, v19
	v_add_f32_e32 v19, v20, v19
	v_add_f32_e32 v19, v19, v21
	;; [unrolled: 1-line block ×3, first 2 shown]
	v_mul_f32_e32 v21, v34, v20
	v_sub_f32_e32 v18, v20, v18
	v_sub_f32_e32 v18, v19, v18
	v_fma_f32 v19, v34, v20, -v21
	v_fmac_f32_e32 v19, v34, v18
	v_add_f32_e32 v18, v21, v19
	v_cmp_class_f32_e64 s[18:19], v21, s44
	v_cndmask_b32_e64 v20, v18, v21, s[18:19]
	v_cmp_eq_f32_e64 s[18:19], s45, v20
	v_cndmask_b32_e64 v22, 0, v13, s[18:19]
	v_sub_f32_e32 v23, v20, v22
	v_mul_f32_e32 v24, 0x3fb8aa3b, v23
	v_fma_f32 v25, v23, s46, -v24
	v_rndne_f32_e32 v26, v24
	v_fmac_f32_e32 v25, 0x32a5705f, v23
	v_sub_f32_e32 v24, v24, v26
	v_add_f32_e32 v24, v24, v25
	v_exp_f32_e32 v24, v24
	v_cvt_i32_f32_e32 v25, v26
	s_xor_b64 s[14:15], s[14:15], s[16:17]
	v_cndmask_b32_e64 v26, v38, 0, s[14:15]
	v_cmp_eq_f32_e64 s[14:15], 1.0, v36
	v_cndmask_b32_e64 v26, v26, v36, s[14:15]
	v_ldexp_f32 v24, v24, v25
	v_cmp_ngt_f32_e64 s[14:15], s47, v23
	v_cndmask_b32_e64 v24, 0, v24, s[14:15]
	v_cmp_nlt_f32_e64 s[14:15], s45, v23
	v_sub_f32_e32 v18, v18, v21
	v_cndmask_b32_e64 v23, v12, v24, s[14:15]
	v_sub_f32_e32 v18, v19, v18
	v_cmp_neq_f32_e64 s[14:15], |v20|, s40
	v_cndmask_b32_e64 v18, 0, v18, s[14:15]
	v_add_f32_e32 v18, v22, v18
	v_fma_f32 v18, v23, v18, v23
	v_cmp_class_f32_e64 s[14:15], v23, s44
	v_cndmask_b32_e64 v18, v18, v23, s[14:15]
	v_cndmask_b32_e64 v19, 1.0, v35, s[12:13]
	v_bfi_b32 v18, s41, v18, v19
	v_cndmask_b32_e64 v19, v14, v18, s[10:11]
	v_cmp_gt_f32_e64 s[10:11], 0, v35
	v_cmp_eq_f32_e64 s[6:7], s40, v36
	v_cndmask_b32_e64 v18, v18, v19, s[10:11]
	v_cmp_eq_f32_e64 s[10:11], s40, v38
	v_cndmask_b32_e64 v18, v18, v26, s[10:11]
	s_or_b64 s[6:7], s[6:7], s[8:9]
	v_cndmask_b32_e64 v18, v18, v37, s[6:7]
	v_cmp_o_f32_e64 s[6:7], v35, v34
	v_cndmask_b32_e64 v18, v14, v18, s[6:7]
	v_cvt_f16_f32_e32 v18, v18
	global_store_short v[2:3], v18, off
	s_or_b64 exec, exec, s[30:31]
	s_and_saveexec_b64 s[12:13], s[2:3]
	s_cbranch_execz .LBB59_13
.LBB59_17:                              ;   in Loop: Header=BB59_4 Depth=1
	s_waitcnt vmcnt(0)
	v_cvt_f32_f16_e32 v34, v17
	v_mov_b32_e32 v35, s33
	v_cmp_eq_f16_e64 s[2:3], 1.0, v17
	v_cndmask_b32_e64 v36, v35, 1.0, s[2:3]
	v_cmp_eq_f32_e64 s[6:7], 0, v36
	v_cndmask_b32_e64 v37, |v34|, 1.0, s[6:7]
	v_frexp_mant_f32_e32 v17, v37
	v_cmp_gt_f32_e64 s[8:9], s42, v17
	v_cndmask_b32_e64 v18, 1.0, 2.0, s[8:9]
	v_mul_f32_e32 v17, v17, v18
	v_add_f32_e32 v18, 1.0, v17
	v_rcp_f32_e32 v26, v18
	v_add_f32_e32 v19, -1.0, v18
	v_sub_f32_e32 v21, v17, v19
	v_add_f32_e32 v19, -1.0, v17
	v_mul_f32_e32 v17, v19, v26
	v_mul_f32_e32 v20, v18, v17
	v_fma_f32 v22, v17, v18, -v20
	v_fmac_f32_e32 v22, v17, v21
	v_add_f32_e32 v18, v20, v22
	v_sub_f32_e32 v21, v19, v18
	v_pk_add_f32 v[24:25], v[18:19], v[20:21] neg_lo:[0,1] neg_hi:[0,1]
	v_mov_b32_e32 v23, v18
	v_pk_add_f32 v[18:19], v[24:25], v[22:23] neg_lo:[0,1] neg_hi:[0,1]
	v_add_f32_e32 v18, v18, v19
	v_add_f32_e32 v18, v21, v18
	v_mul_f32_e32 v19, v26, v18
	v_add_f32_e32 v18, v17, v19
	v_sub_f32_e32 v17, v18, v17
	v_sub_f32_e32 v17, v19, v17
	v_mul_f32_e32 v19, v18, v18
	v_fma_f32 v21, v18, v18, -v19
	v_add_f32_e32 v20, v17, v17
	v_fmac_f32_e32 v21, v18, v20
	v_add_f32_e32 v20, v19, v21
	v_mov_b32_e32 v22, 0x3e91f4c4
	v_fmac_f32_e32 v22, 0x3e76c4e1, v20
	v_fma_f32 v22, v20, v22, v11
	v_sub_f32_e32 v19, v20, v19
	v_sub_f32_e32 v28, v21, v19
	v_mul_f32_e32 v19, v20, v22
	v_fma_f32 v21, v20, v22, -v19
	v_fmac_f32_e32 v21, v28, v22
	v_add_f32_e32 v22, v19, v21
	v_add_f32_e32 v23, 0x3f2aaaaa, v22
	v_sub_f32_e32 v19, v22, v19
	v_sub_f32_e32 v19, v21, v19
	v_add_f32_e32 v21, 0xbf2aaaaa, v23
	v_add_f32_e32 v19, 0x31739010, v19
	v_sub_f32_e32 v21, v22, v21
	v_pk_mul_f32 v[24:25], v[18:19], v[20:21]
	v_fma_f32 v22, v20, v18, -v24
	v_pk_add_f32 v[26:27], v[18:19], v[20:21]
	v_fmac_f32_e32 v22, v20, v17
	v_mov_b32_e32 v25, v27
	v_fmac_f32_e32 v22, v28, v18
	v_pk_add_f32 v[20:21], v[24:25], v[22:23]
	v_sub_f32_e32 v19, v20, v24
	v_sub_f32_e32 v19, v22, v19
	;; [unrolled: 1-line block ×3, first 2 shown]
	v_add_f32_e32 v26, v27, v22
	v_mov_b32_e32 v22, v21
	v_pk_mul_f32 v[22:23], v[20:21], v[22:23]
	v_cvt_f64_f32_e32 v[24:25], v37
	v_frexp_exp_i32_f64_e32 v23, v[24:25]
	v_subbrev_co_u32_e64 v23, s[8:9], 0, v23, s[8:9]
	v_cvt_f32_i32_e32 v23, v23
	v_fma_f32 v24, v20, v21, -v22
	v_fmac_f32_e32 v24, v20, v26
	v_fmac_f32_e32 v24, v19, v21
	v_mul_f32_e32 v20, 0x3f317218, v23
	v_fma_f32 v26, v23, s43, -v20
	v_fmac_f32_e32 v26, 0xb102e308, v23
	v_ldexp_f32 v27, v18, 1
	v_add_f32_e32 v21, v22, v24
	v_pk_add_f32 v[18:19], v[20:21], v[26:27]
	v_mov_b32_e32 v28, v21
	v_mov_b32_e32 v29, v19
	;; [unrolled: 1-line block ×3, first 2 shown]
	v_pk_add_f32 v[22:23], v[28:29], v[22:23] neg_lo:[0,1] neg_hi:[0,1]
	v_mov_b32_e32 v25, v21
	v_ldexp_f32 v17, v17, 1
	v_pk_add_f32 v[22:23], v[24:25], v[22:23] neg_lo:[0,1] neg_hi:[0,1]
	v_add_f32_e32 v17, v17, v22
	v_add_f32_e32 v21, v17, v23
	v_pk_add_f32 v[22:23], v[18:19], v[20:21] neg_lo:[0,1] neg_hi:[0,1]
	v_pk_add_f32 v[24:25], v[18:19], v[20:21]
	v_mov_b32_e32 v28, v22
	v_mov_b32_e32 v29, v25
	;; [unrolled: 1-line block ×3, first 2 shown]
	v_pk_add_f32 v[28:29], v[26:27], v[28:29]
	v_mov_b32_e32 v20, v29
	v_pk_add_f32 v[30:31], v[20:21], v[18:19] neg_lo:[0,1] neg_hi:[0,1]
	v_mov_b32_e32 v17, v30
	v_mov_b32_e32 v28, v25
	;; [unrolled: 1-line block ×4, first 2 shown]
	v_pk_add_f32 v[22:23], v[26:27], v[22:23] neg_lo:[0,1] neg_hi:[0,1]
	v_pk_add_f32 v[32:33], v[24:25], v[16:17] neg_lo:[0,1] neg_hi:[0,1]
	v_pk_add_f32 v[18:19], v[28:29], v[18:19] neg_lo:[0,1] neg_hi:[0,1]
	v_mov_b32_e32 v26, v21
	v_pk_add_f32 v[18:19], v[26:27], v[18:19] neg_lo:[0,1] neg_hi:[0,1]
	v_mov_b32_e32 v32, v22
	v_pk_add_f32 v[24:25], v[32:33], v[18:19]
	v_mov_b32_e32 v26, v25
	v_pk_add_f32 v[26:27], v[24:25], v[26:27]
	v_pk_add_f32 v[20:21], v[20:21], v[26:27]
	v_mov_b32_e32 v23, v29
	v_mov_b32_e32 v25, v20
	v_pk_add_f32 v[28:29], v[24:25], v[22:23] neg_lo:[0,1] neg_hi:[0,1]
	v_mov_b32_e32 v19, v26
	v_sub_f32_e32 v17, v24, v28
	v_pk_add_f32 v[18:19], v[18:19], v[28:29] neg_lo:[0,1] neg_hi:[0,1]
	v_sub_f32_e32 v17, v22, v17
	v_add_f32_e32 v17, v18, v17
	v_add_f32_e32 v17, v17, v19
	v_add_f32_e32 v18, v20, v17
	v_sub_f32_e32 v19, v18, v20
	v_sub_f32_e32 v17, v17, v19
	v_mul_f32_e32 v19, v36, v18
	v_fma_f32 v18, v36, v18, -v19
	v_fmac_f32_e32 v18, v36, v17
	v_add_f32_e32 v17, v19, v18
	v_cmp_class_f32_e64 s[8:9], v19, s44
	v_sub_f32_e32 v20, v17, v19
	v_cndmask_b32_e64 v17, v17, v19, s[8:9]
	v_cmp_eq_f32_e64 s[8:9], s45, v17
	v_cndmask_b32_e64 v19, 0, v13, s[8:9]
	v_sub_f32_e32 v18, v18, v20
	v_sub_f32_e32 v20, v17, v19
	v_mul_f32_e32 v21, 0x3fb8aa3b, v20
	v_fma_f32 v22, v20, s46, -v21
	v_rndne_f32_e32 v23, v21
	v_fmac_f32_e32 v22, 0x32a5705f, v20
	v_sub_f32_e32 v21, v21, v23
	v_add_f32_e32 v21, v21, v22
	v_exp_f32_e32 v21, v21
	v_cvt_i32_f32_e32 v22, v23
	v_cmp_neq_f32_e64 s[8:9], |v17|, s40
	v_cndmask_b32_e64 v17, 0, v18, s[8:9]
	v_cmp_ngt_f32_e64 s[8:9], s47, v20
	v_ldexp_f32 v18, v21, v22
	v_cndmask_b32_e64 v18, 0, v18, s[8:9]
	v_cmp_nlt_f32_e64 s[8:9], s45, v20
	v_add_f32_e32 v17, v19, v17
	v_cndmask_b32_e64 v18, v12, v18, s[8:9]
	v_fma_f32 v17, v18, v17, v18
	v_cmp_class_f32_e64 s[8:9], v18, s44
	v_trunc_f32_e32 v19, v36
	v_cndmask_b32_e64 v17, v17, v18, s[8:9]
	v_cndmask_b32_e64 v18, v34, 1.0, s[6:7]
	v_cmp_eq_f32_e64 s[6:7], v19, v36
	v_mul_f32_e32 v19, 0.5, v36
	v_trunc_f32_e32 v20, v19
	v_cmp_neq_f32_e64 s[8:9], v20, v19
	s_and_b64 s[8:9], s[6:7], s[8:9]
	v_cndmask_b32_e64 v19, 1.0, v18, s[8:9]
	v_bfi_b32 v17, s41, v17, v19
	v_cndmask_b32_e64 v19, v14, v17, s[6:7]
	v_cmp_gt_f32_e64 s[6:7], 0, v18
	v_cndmask_b32_e64 v17, v17, v19, s[6:7]
	v_cndmask_b32_e64 v19, |v35|, 1.0, s[2:3]
	v_cmp_neq_f32_e64 s[2:3], v36, v19
	v_cmp_gt_f32_e64 s[6:7], 1.0, v37
	s_xor_b64 s[2:3], s[2:3], s[6:7]
	v_cndmask_b32_e64 v20, v19, 0, s[2:3]
	v_cmp_eq_f32_e64 s[2:3], 1.0, v37
	v_cmp_eq_f32_e64 s[6:7], 0, v18
	v_cmp_gt_f32_e64 s[10:11], 0, v36
	v_cndmask_b32_e64 v20, v20, v37, s[2:3]
	v_cmp_eq_f32_e64 s[2:3], s40, v19
	s_xor_b64 s[10:11], s[10:11], s[6:7]
	v_cndmask_b32_e64 v17, v17, v20, s[2:3]
	v_cmp_eq_f32_e64 s[2:3], s40, v37
	v_cndmask_b32_e64 v19, v12, 0, s[10:11]
	v_cndmask_b32_e64 v20, 0, v18, s[8:9]
	v_bfi_b32 v19, s41, v19, v20
	s_or_b64 s[2:3], s[2:3], s[6:7]
	v_cndmask_b32_e64 v17, v17, v19, s[2:3]
	v_cmp_o_f32_e64 s[2:3], v18, v36
	v_cndmask_b32_e64 v17, v14, v17, s[2:3]
	v_cvt_f16_f32_e32 v17, v17
	global_store_short v[4:5], v17, off
	s_or_b64 exec, exec, s[12:13]
	s_and_saveexec_b64 s[10:11], s[0:1]
	s_cbranch_execz .LBB59_14
.LBB59_18:                              ;   in Loop: Header=BB59_4 Depth=1
	s_waitcnt vmcnt(0)
	v_cvt_f32_f16_e32 v32, v16
	v_mov_b32_e32 v33, s33
	v_cmp_eq_f16_e64 s[0:1], 1.0, v16
	v_cndmask_b32_e64 v34, v33, 1.0, s[0:1]
	v_cmp_eq_f32_e64 s[2:3], 0, v34
	v_cndmask_b32_e64 v35, |v32|, 1.0, s[2:3]
	v_frexp_mant_f32_e32 v16, v35
	v_cmp_gt_f32_e64 s[6:7], s42, v16
	v_cndmask_b32_e64 v17, 1.0, 2.0, s[6:7]
	v_mul_f32_e32 v16, v16, v17
	v_add_f32_e32 v19, 1.0, v16
	v_rcp_f32_e32 v24, v19
	v_add_f32_e32 v17, -1.0, v19
	v_sub_f32_e32 v21, v16, v17
	v_add_f32_e32 v17, -1.0, v16
	v_mul_f32_e32 v25, v17, v24
	v_mul_f32_e32 v18, v19, v25
	v_fma_f32 v20, v25, v19, -v18
	v_fmac_f32_e32 v20, v25, v21
	v_add_f32_e32 v16, v18, v20
	v_sub_f32_e32 v19, v17, v16
	v_pk_add_f32 v[22:23], v[16:17], v[18:19] neg_lo:[0,1] neg_hi:[0,1]
	v_mov_b32_e32 v21, v16
	v_pk_add_f32 v[16:17], v[22:23], v[20:21] neg_lo:[0,1] neg_hi:[0,1]
	v_add_f32_e32 v16, v16, v17
	v_add_f32_e32 v16, v19, v16
	v_mul_f32_e32 v17, v24, v16
	v_add_f32_e32 v16, v25, v17
	v_sub_f32_e32 v18, v16, v25
	v_sub_f32_e32 v26, v17, v18
	v_mul_f32_e32 v17, v16, v16
	v_fma_f32 v19, v16, v16, -v17
	v_add_f32_e32 v18, v26, v26
	v_fmac_f32_e32 v19, v16, v18
	v_add_f32_e32 v18, v17, v19
	v_mov_b32_e32 v20, 0x3e91f4c4
	v_fmac_f32_e32 v20, 0x3e76c4e1, v18
	v_fma_f32 v20, v18, v20, v11
	v_sub_f32_e32 v17, v18, v17
	v_sub_f32_e32 v27, v19, v17
	v_mul_f32_e32 v17, v18, v20
	v_fma_f32 v19, v18, v20, -v17
	v_fmac_f32_e32 v19, v27, v20
	v_add_f32_e32 v20, v17, v19
	v_add_f32_e32 v21, 0x3f2aaaaa, v20
	v_sub_f32_e32 v17, v20, v17
	v_sub_f32_e32 v17, v19, v17
	v_add_f32_e32 v19, 0xbf2aaaaa, v21
	v_add_f32_e32 v17, 0x31739010, v17
	v_sub_f32_e32 v19, v20, v19
	v_pk_mul_f32 v[22:23], v[16:17], v[18:19]
	v_fma_f32 v20, v18, v16, -v22
	v_pk_add_f32 v[24:25], v[16:17], v[18:19]
	v_fmac_f32_e32 v20, v18, v26
	v_mov_b32_e32 v23, v25
	v_fmac_f32_e32 v20, v27, v16
	v_pk_add_f32 v[18:19], v[22:23], v[20:21]
	v_sub_f32_e32 v17, v18, v22
	v_sub_f32_e32 v17, v20, v17
	;; [unrolled: 1-line block ×3, first 2 shown]
	v_add_f32_e32 v24, v25, v20
	v_mov_b32_e32 v20, v19
	v_pk_mul_f32 v[20:21], v[18:19], v[20:21]
	v_cvt_f64_f32_e32 v[22:23], v35
	v_frexp_exp_i32_f64_e32 v21, v[22:23]
	v_subbrev_co_u32_e64 v21, s[6:7], 0, v21, s[6:7]
	v_cvt_f32_i32_e32 v21, v21
	v_fma_f32 v22, v18, v19, -v20
	v_fmac_f32_e32 v22, v18, v24
	v_fmac_f32_e32 v22, v17, v19
	v_mul_f32_e32 v18, 0x3f317218, v21
	v_fma_f32 v24, v21, s43, -v18
	v_fmac_f32_e32 v24, 0xb102e308, v21
	v_ldexp_f32 v25, v16, 1
	v_add_f32_e32 v19, v20, v22
	v_pk_add_f32 v[16:17], v[18:19], v[24:25]
	v_ldexp_f32 v28, v26, 1
	v_mov_b32_e32 v26, v19
	v_mov_b32_e32 v27, v17
	;; [unrolled: 1-line block ×3, first 2 shown]
	v_pk_add_f32 v[20:21], v[26:27], v[20:21] neg_lo:[0,1] neg_hi:[0,1]
	v_mov_b32_e32 v23, v19
	v_pk_add_f32 v[20:21], v[22:23], v[20:21] neg_lo:[0,1] neg_hi:[0,1]
	v_add_f32_e32 v19, v28, v20
	v_add_f32_e32 v19, v19, v21
	v_pk_add_f32 v[20:21], v[16:17], v[18:19] neg_lo:[0,1] neg_hi:[0,1]
	v_pk_add_f32 v[22:23], v[16:17], v[18:19]
	v_mov_b32_e32 v26, v20
	v_mov_b32_e32 v27, v23
	v_mov_b32_e32 v25, v16
	v_pk_add_f32 v[26:27], v[24:25], v[26:27]
	v_mov_b32_e32 v18, v27
	v_pk_add_f32 v[28:29], v[18:19], v[16:17] neg_lo:[0,1] neg_hi:[0,1]
	v_mov_b32_e32 v29, v28
	v_mov_b32_e32 v26, v23
	;; [unrolled: 1-line block ×4, first 2 shown]
	v_pk_add_f32 v[20:21], v[24:25], v[20:21] neg_lo:[0,1] neg_hi:[0,1]
	v_pk_add_f32 v[30:31], v[22:23], v[28:29] neg_lo:[0,1] neg_hi:[0,1]
	v_pk_add_f32 v[16:17], v[26:27], v[16:17] neg_lo:[0,1] neg_hi:[0,1]
	v_mov_b32_e32 v24, v19
	v_pk_add_f32 v[16:17], v[24:25], v[16:17] neg_lo:[0,1] neg_hi:[0,1]
	v_mov_b32_e32 v30, v20
	v_pk_add_f32 v[22:23], v[30:31], v[16:17]
	v_mov_b32_e32 v24, v23
	v_pk_add_f32 v[24:25], v[22:23], v[24:25]
	v_pk_add_f32 v[18:19], v[18:19], v[24:25]
	v_mov_b32_e32 v21, v27
	v_mov_b32_e32 v23, v18
	v_pk_add_f32 v[26:27], v[22:23], v[20:21] neg_lo:[0,1] neg_hi:[0,1]
	v_mov_b32_e32 v17, v24
	v_sub_f32_e32 v19, v22, v26
	v_pk_add_f32 v[16:17], v[16:17], v[26:27] neg_lo:[0,1] neg_hi:[0,1]
	v_sub_f32_e32 v19, v20, v19
	v_add_f32_e32 v16, v16, v19
	v_add_f32_e32 v16, v16, v17
	;; [unrolled: 1-line block ×3, first 2 shown]
	v_sub_f32_e32 v18, v17, v18
	v_sub_f32_e32 v16, v16, v18
	v_mul_f32_e32 v18, v34, v17
	v_fma_f32 v17, v34, v17, -v18
	v_fmac_f32_e32 v17, v34, v16
	v_add_f32_e32 v16, v18, v17
	v_cmp_class_f32_e64 s[6:7], v18, s44
	v_sub_f32_e32 v19, v16, v18
	v_cndmask_b32_e64 v16, v16, v18, s[6:7]
	v_cmp_eq_f32_e64 s[6:7], s45, v16
	v_cndmask_b32_e64 v18, 0, v13, s[6:7]
	v_sub_f32_e32 v17, v17, v19
	v_sub_f32_e32 v19, v16, v18
	v_mul_f32_e32 v20, 0x3fb8aa3b, v19
	v_fma_f32 v21, v19, s46, -v20
	v_rndne_f32_e32 v22, v20
	v_fmac_f32_e32 v21, 0x32a5705f, v19
	v_sub_f32_e32 v20, v20, v22
	v_add_f32_e32 v20, v20, v21
	v_exp_f32_e32 v20, v20
	v_cvt_i32_f32_e32 v21, v22
	v_cmp_neq_f32_e64 s[6:7], |v16|, s40
	v_cndmask_b32_e64 v16, 0, v17, s[6:7]
	v_cmp_ngt_f32_e64 s[6:7], s47, v19
	v_ldexp_f32 v17, v20, v21
	v_cndmask_b32_e64 v17, 0, v17, s[6:7]
	v_cmp_nlt_f32_e64 s[6:7], s45, v19
	v_add_f32_e32 v16, v18, v16
	v_cndmask_b32_e64 v17, v12, v17, s[6:7]
	v_fma_f32 v16, v17, v16, v17
	v_cmp_class_f32_e64 s[6:7], v17, s44
	v_trunc_f32_e32 v18, v34
	v_cndmask_b32_e64 v16, v16, v17, s[6:7]
	v_cndmask_b32_e64 v17, v32, 1.0, s[2:3]
	v_cmp_eq_f32_e64 s[2:3], v18, v34
	v_mul_f32_e32 v18, 0.5, v34
	v_trunc_f32_e32 v19, v18
	v_cmp_neq_f32_e64 s[6:7], v19, v18
	s_and_b64 s[6:7], s[2:3], s[6:7]
	v_cndmask_b32_e64 v18, 1.0, v17, s[6:7]
	v_bfi_b32 v16, s41, v16, v18
	v_cndmask_b32_e64 v18, v14, v16, s[2:3]
	v_cmp_gt_f32_e64 s[2:3], 0, v17
	v_cndmask_b32_e64 v16, v16, v18, s[2:3]
	v_cndmask_b32_e64 v18, |v33|, 1.0, s[0:1]
	v_cmp_neq_f32_e64 s[0:1], v34, v18
	v_cmp_gt_f32_e64 s[2:3], 1.0, v35
	s_xor_b64 s[0:1], s[0:1], s[2:3]
	v_cndmask_b32_e64 v19, v18, 0, s[0:1]
	v_cmp_eq_f32_e64 s[0:1], 1.0, v35
	v_cmp_eq_f32_e64 s[2:3], 0, v17
	v_cmp_gt_f32_e64 s[8:9], 0, v34
	v_cndmask_b32_e64 v19, v19, v35, s[0:1]
	v_cmp_eq_f32_e64 s[0:1], s40, v18
	s_xor_b64 s[8:9], s[8:9], s[2:3]
	v_cndmask_b32_e64 v16, v16, v19, s[0:1]
	v_cmp_eq_f32_e64 s[0:1], s40, v35
	v_cndmask_b32_e64 v18, v12, 0, s[8:9]
	v_cndmask_b32_e64 v19, 0, v17, s[6:7]
	v_bfi_b32 v18, s41, v18, v19
	s_or_b64 s[0:1], s[0:1], s[2:3]
	v_cndmask_b32_e64 v16, v16, v18, s[0:1]
	v_cmp_o_f32_e64 s[0:1], v17, v34
	v_cndmask_b32_e64 v16, v14, v16, s[0:1]
	v_cvt_f16_f32_e32 v18, v16
	v_mov_b32_e32 v17, s34
	v_add_co_u32_e64 v16, s[0:1], s35, v2
	v_addc_co_u32_e64 v17, s[0:1], v3, v17, s[0:1]
	global_store_short v[16:17], v18, off
	s_or_b64 exec, exec, s[10:11]
	s_and_saveexec_b64 s[8:9], vcc
	s_cbranch_execz .LBB59_3
.LBB59_19:                              ;   in Loop: Header=BB59_4 Depth=1
	s_waitcnt vmcnt(0)
	v_cvt_f32_f16_e32 v32, v15
	v_mov_b32_e32 v33, s33
	v_cmp_eq_f16_e32 vcc, 1.0, v15
	v_cndmask_b32_e64 v34, v33, 1.0, vcc
	v_cmp_eq_f32_e64 s[0:1], 0, v34
	v_cndmask_b32_e64 v35, |v32|, 1.0, s[0:1]
	v_frexp_mant_f32_e32 v15, v35
	v_cmp_gt_f32_e64 s[2:3], s42, v15
	v_cndmask_b32_e64 v16, 1.0, 2.0, s[2:3]
	v_mul_f32_e32 v15, v15, v16
	v_add_f32_e32 v16, 1.0, v15
	v_rcp_f32_e32 v24, v16
	v_add_f32_e32 v17, -1.0, v16
	v_sub_f32_e32 v19, v15, v17
	v_add_f32_e32 v17, -1.0, v15
	v_mul_f32_e32 v15, v17, v24
	v_mul_f32_e32 v18, v16, v15
	v_fma_f32 v20, v15, v16, -v18
	v_fmac_f32_e32 v20, v15, v19
	v_add_f32_e32 v16, v18, v20
	v_sub_f32_e32 v19, v17, v16
	v_pk_add_f32 v[22:23], v[16:17], v[18:19] neg_lo:[0,1] neg_hi:[0,1]
	v_mov_b32_e32 v21, v16
	v_pk_add_f32 v[16:17], v[22:23], v[20:21] neg_lo:[0,1] neg_hi:[0,1]
	v_add_f32_e32 v16, v16, v17
	v_add_f32_e32 v16, v19, v16
	v_mul_f32_e32 v17, v24, v16
	v_add_f32_e32 v16, v15, v17
	v_sub_f32_e32 v15, v16, v15
	v_sub_f32_e32 v15, v17, v15
	v_mul_f32_e32 v17, v16, v16
	v_fma_f32 v19, v16, v16, -v17
	v_add_f32_e32 v18, v15, v15
	v_fmac_f32_e32 v19, v16, v18
	v_add_f32_e32 v18, v17, v19
	v_mov_b32_e32 v20, 0x3e91f4c4
	v_fmac_f32_e32 v20, 0x3e76c4e1, v18
	v_fma_f32 v20, v18, v20, v11
	v_sub_f32_e32 v17, v18, v17
	v_sub_f32_e32 v26, v19, v17
	v_mul_f32_e32 v17, v18, v20
	v_fma_f32 v19, v18, v20, -v17
	v_fmac_f32_e32 v19, v26, v20
	v_add_f32_e32 v20, v17, v19
	v_add_f32_e32 v21, 0x3f2aaaaa, v20
	v_sub_f32_e32 v17, v20, v17
	v_sub_f32_e32 v17, v19, v17
	v_add_f32_e32 v19, 0xbf2aaaaa, v21
	v_add_f32_e32 v17, 0x31739010, v17
	v_sub_f32_e32 v19, v20, v19
	v_pk_mul_f32 v[22:23], v[16:17], v[18:19]
	v_fma_f32 v20, v18, v16, -v22
	v_pk_add_f32 v[24:25], v[16:17], v[18:19]
	v_fmac_f32_e32 v20, v18, v15
	v_mov_b32_e32 v23, v25
	v_fmac_f32_e32 v20, v26, v16
	v_pk_add_f32 v[18:19], v[22:23], v[20:21]
	v_sub_f32_e32 v17, v18, v22
	v_sub_f32_e32 v17, v20, v17
	;; [unrolled: 1-line block ×3, first 2 shown]
	v_add_f32_e32 v24, v25, v20
	v_mov_b32_e32 v20, v19
	v_pk_mul_f32 v[20:21], v[18:19], v[20:21]
	v_cvt_f64_f32_e32 v[22:23], v35
	v_frexp_exp_i32_f64_e32 v21, v[22:23]
	v_subbrev_co_u32_e64 v21, s[2:3], 0, v21, s[2:3]
	v_cvt_f32_i32_e32 v21, v21
	v_fma_f32 v22, v18, v19, -v20
	v_fmac_f32_e32 v22, v18, v24
	v_fmac_f32_e32 v22, v17, v19
	v_mul_f32_e32 v18, 0x3f317218, v21
	v_fma_f32 v24, v21, s43, -v18
	v_fmac_f32_e32 v24, 0xb102e308, v21
	v_ldexp_f32 v25, v16, 1
	v_add_f32_e32 v19, v20, v22
	v_pk_add_f32 v[16:17], v[18:19], v[24:25]
	v_mov_b32_e32 v26, v19
	v_mov_b32_e32 v27, v17
	;; [unrolled: 1-line block ×3, first 2 shown]
	v_pk_add_f32 v[20:21], v[26:27], v[20:21] neg_lo:[0,1] neg_hi:[0,1]
	v_mov_b32_e32 v23, v19
	v_ldexp_f32 v15, v15, 1
	v_pk_add_f32 v[20:21], v[22:23], v[20:21] neg_lo:[0,1] neg_hi:[0,1]
	v_add_f32_e32 v15, v15, v20
	v_add_f32_e32 v19, v15, v21
	v_pk_add_f32 v[20:21], v[16:17], v[18:19] neg_lo:[0,1] neg_hi:[0,1]
	v_pk_add_f32 v[22:23], v[16:17], v[18:19]
	v_mov_b32_e32 v26, v20
	v_mov_b32_e32 v27, v23
	v_mov_b32_e32 v25, v16
	v_pk_add_f32 v[26:27], v[24:25], v[26:27]
	v_mov_b32_e32 v18, v27
	v_pk_add_f32 v[28:29], v[18:19], v[16:17] neg_lo:[0,1] neg_hi:[0,1]
	v_mov_b32_e32 v15, v28
	v_mov_b32_e32 v26, v23
	;; [unrolled: 1-line block ×4, first 2 shown]
	v_pk_add_f32 v[20:21], v[24:25], v[20:21] neg_lo:[0,1] neg_hi:[0,1]
	v_pk_add_f32 v[30:31], v[22:23], v[14:15] neg_lo:[0,1] neg_hi:[0,1]
	;; [unrolled: 1-line block ×3, first 2 shown]
	v_mov_b32_e32 v24, v19
	v_pk_add_f32 v[16:17], v[24:25], v[16:17] neg_lo:[0,1] neg_hi:[0,1]
	v_mov_b32_e32 v30, v20
	v_pk_add_f32 v[22:23], v[30:31], v[16:17]
	v_mov_b32_e32 v24, v23
	v_pk_add_f32 v[24:25], v[22:23], v[24:25]
	v_pk_add_f32 v[18:19], v[18:19], v[24:25]
	v_mov_b32_e32 v21, v27
	v_mov_b32_e32 v23, v18
	v_pk_add_f32 v[26:27], v[22:23], v[20:21] neg_lo:[0,1] neg_hi:[0,1]
	v_mov_b32_e32 v17, v24
	v_sub_f32_e32 v15, v22, v26
	v_pk_add_f32 v[16:17], v[16:17], v[26:27] neg_lo:[0,1] neg_hi:[0,1]
	v_sub_f32_e32 v15, v20, v15
	v_add_f32_e32 v15, v16, v15
	v_add_f32_e32 v15, v15, v17
	;; [unrolled: 1-line block ×3, first 2 shown]
	v_sub_f32_e32 v17, v16, v18
	v_sub_f32_e32 v15, v15, v17
	v_mul_f32_e32 v17, v34, v16
	v_fma_f32 v16, v34, v16, -v17
	v_fmac_f32_e32 v16, v34, v15
	v_add_f32_e32 v15, v17, v16
	v_cmp_class_f32_e64 s[2:3], v17, s44
	v_sub_f32_e32 v18, v15, v17
	v_cndmask_b32_e64 v15, v15, v17, s[2:3]
	v_cmp_eq_f32_e64 s[2:3], s45, v15
	v_cndmask_b32_e64 v17, 0, v13, s[2:3]
	v_sub_f32_e32 v16, v16, v18
	v_sub_f32_e32 v18, v15, v17
	v_mul_f32_e32 v19, 0x3fb8aa3b, v18
	v_fma_f32 v20, v18, s46, -v19
	v_rndne_f32_e32 v21, v19
	v_fmac_f32_e32 v20, 0x32a5705f, v18
	v_sub_f32_e32 v19, v19, v21
	v_add_f32_e32 v19, v19, v20
	v_exp_f32_e32 v19, v19
	v_cvt_i32_f32_e32 v20, v21
	v_cmp_neq_f32_e64 s[2:3], |v15|, s40
	v_cndmask_b32_e64 v15, 0, v16, s[2:3]
	v_cmp_ngt_f32_e64 s[2:3], s47, v18
	v_ldexp_f32 v16, v19, v20
	v_cndmask_b32_e64 v16, 0, v16, s[2:3]
	v_cmp_nlt_f32_e64 s[2:3], s45, v18
	v_add_f32_e32 v15, v17, v15
	v_cndmask_b32_e64 v16, v12, v16, s[2:3]
	v_fma_f32 v15, v16, v15, v16
	v_cmp_class_f32_e64 s[2:3], v16, s44
	v_trunc_f32_e32 v17, v34
	v_cndmask_b32_e64 v15, v15, v16, s[2:3]
	v_cndmask_b32_e64 v16, v32, 1.0, s[0:1]
	v_cmp_eq_f32_e64 s[0:1], v17, v34
	v_mul_f32_e32 v17, 0.5, v34
	v_trunc_f32_e32 v18, v17
	v_cmp_neq_f32_e64 s[2:3], v18, v17
	s_and_b64 s[2:3], s[0:1], s[2:3]
	v_cndmask_b32_e64 v17, 1.0, v16, s[2:3]
	v_bfi_b32 v15, s41, v15, v17
	v_cndmask_b32_e64 v17, v14, v15, s[0:1]
	v_cmp_gt_f32_e64 s[0:1], 0, v16
	v_cndmask_b32_e64 v15, v15, v17, s[0:1]
	v_cndmask_b32_e64 v17, |v33|, 1.0, vcc
	v_cmp_neq_f32_e32 vcc, v34, v17
	v_cmp_gt_f32_e64 s[0:1], 1.0, v35
	s_xor_b64 s[0:1], vcc, s[0:1]
	v_cndmask_b32_e64 v18, v17, 0, s[0:1]
	v_cmp_eq_f32_e32 vcc, 1.0, v35
	v_cmp_eq_f32_e64 s[0:1], 0, v16
	v_cmp_gt_f32_e64 s[6:7], 0, v34
	v_cndmask_b32_e32 v18, v18, v35, vcc
	v_cmp_eq_f32_e32 vcc, s40, v17
	s_xor_b64 s[6:7], s[6:7], s[0:1]
	v_cndmask_b32_e32 v15, v15, v18, vcc
	v_cmp_eq_f32_e32 vcc, s40, v35
	v_cndmask_b32_e64 v17, v12, 0, s[6:7]
	v_cndmask_b32_e64 v18, 0, v16, s[2:3]
	v_bfi_b32 v17, s41, v17, v18
	s_or_b64 vcc, vcc, s[0:1]
	v_cndmask_b32_e32 v15, v15, v17, vcc
	v_cmp_o_f32_e32 vcc, v16, v34
	v_cndmask_b32_e32 v15, v14, v15, vcc
	v_cvt_f16_f32_e32 v15, v15
	v_mov_b32_e32 v17, s39
	v_add_co_u32_e32 v16, vcc, s38, v2
	v_addc_co_u32_e32 v17, vcc, v3, v17, vcc
	global_store_short v[16:17], v15, off
	s_branch .LBB59_3
.LBB59_20:
	s_cbranch_execz .LBB59_22
	s_branch .LBB59_25
.LBB59_21:
.LBB59_22:
	v_mov_b32_e32 v3, 0
	v_lshlrev_b32_e32 v2, 2, v0
	s_mov_b32 s0, 0
	v_cmp_gt_i64_e32 vcc, s[20:21], v[2:3]
	s_and_saveexec_b64 s[2:3], vcc
	s_cbranch_execz .LBB59_25
; %bb.23:
	s_load_dword s1, s[4:5], 0xd3c
	v_lshlrev_b32_e32 v1, 3, v0
	s_mov_b64 s[12:13], 0
	s_mov_b32 s18, 0x3f2aaaab
	s_mov_b32 s19, 0x3f317218
	s_waitcnt lgkmcnt(0)
	s_and_b32 s1, s1, 0xffff
	s_add_u32 s2, s22, s24
	s_addc_u32 s3, s23, s25
	v_mov_b32_e32 v2, s3
	v_add_co_u32_e32 v1, vcc, s2, v1
	v_addc_co_u32_e32 v2, vcc, 0, v2, vcc
	v_add_co_u32_e32 v4, vcc, 4, v1
	v_addc_co_u32_e32 v5, vcc, 0, v2, vcc
	s_lshl_b32 s16, s1, 3
	v_add_lshl_u32 v2, v0, s1, 2
	s_lshl_b32 s17, s1, 2
	v_mov_b32_e32 v0, s33
	v_mov_b32_e32 v1, 0x3ecccdef
	s_movk_i32 s22, 0x204
	s_mov_b32 s23, 0x7f800000
	s_mov_b32 s24, 0x42b17218
	v_mov_b32_e32 v6, 0x37000000
	s_mov_b32 s25, 0x3fb8aa3b
	s_mov_b32 s26, 0xc2ce8ed0
	v_mov_b32_e32 v7, 0x7f800000
	s_brev_b32 s27, -2
	v_mov_b32_e32 v8, 0x7fc00000
	s_mov_b64 s[14:15], 0xffff
	v_mov_b32_e32 v9, s0
	v_mov_b32_e32 v10, s0
	;; [unrolled: 1-line block ×3, first 2 shown]
.LBB59_24:                              ; =>This Inner Loop Header: Depth=1
	global_load_dwordx2 v[16:17], v[4:5], off offset:-4
	global_load_ushort v12, v[4:5], off offset:2
	global_load_dword v14, v[4:5], off offset:-2
	v_mov_b32_e32 v13, 0x3e91f4c4
	s_waitcnt vmcnt(2)
	v_cvt_f32_f16_e32 v15, v16
	v_cmp_eq_f16_e32 vcc, 1.0, v16
	v_cndmask_b32_e64 v30, v0, 1.0, vcc
	v_trunc_f32_e32 v16, v30
	v_mul_f32_e32 v17, 0.5, v30
	v_cndmask_b32_e64 v31, |v0|, 1.0, vcc
	v_cmp_eq_f32_e32 vcc, v16, v30
	v_trunc_f32_e32 v16, v17
	v_cmp_eq_f32_e64 s[2:3], 0, v30
	v_cmp_neq_f32_e64 s[0:1], v16, v17
	v_cndmask_b32_e64 v18, |v15|, 1.0, s[2:3]
	v_cndmask_b32_e64 v15, v15, 1.0, s[2:3]
	v_frexp_mant_f32_e32 v19, v18
	s_and_b64 s[8:9], vcc, s[0:1]
	v_cndmask_b32_e64 v32, 1.0, v15, s[8:9]
	v_cndmask_b32_e64 v33, 0, v15, s[8:9]
	v_cmp_gt_f32_e64 s[8:9], s18, v19
	v_cndmask_b32_e64 v20, 1.0, 2.0, s[8:9]
	v_mul_f32_e32 v19, v19, v20
	v_cmp_gt_f32_e64 s[4:5], 0, v30
	v_cvt_f64_f32_e32 v[16:17], v18
	v_cmp_eq_f32_e64 s[2:3], 0, v15
	v_add_f32_e32 v21, 1.0, v19
	v_cmp_neq_f32_e64 s[6:7], v30, v31
	v_cmp_gt_f32_e64 s[10:11], 1.0, v18
	v_frexp_exp_i32_f64_e32 v16, v[16:17]
	s_xor_b64 s[4:5], s[4:5], s[2:3]
	v_rcp_f32_e32 v26, v21
	s_xor_b64 s[6:7], s[6:7], s[10:11]
	v_cndmask_b32_e64 v34, v7, 0, s[4:5]
	v_subbrev_co_u32_e64 v16, s[4:5], 0, v16, s[8:9]
	v_cndmask_b32_e64 v17, v31, 0, s[6:7]
	v_cmp_eq_f32_e64 s[4:5], 1.0, v18
	v_cvt_f32_i32_e32 v16, v16
	v_cndmask_b32_e64 v35, v17, v18, s[4:5]
	v_add_f32_e32 v17, -1.0, v19
	v_mul_f32_e32 v27, v17, v26
	v_cmp_eq_f32_e64 s[0:1], s23, v18
	v_add_f32_e32 v18, -1.0, v21
	v_mul_f32_e32 v22, v21, v27
	v_sub_f32_e32 v19, v19, v18
	v_mul_f32_e32 v18, 0x3f317218, v16
	v_fma_f32 v24, v27, v21, -v22
	v_fma_f32 v20, v16, s19, -v18
	v_fmac_f32_e32 v24, v27, v19
	v_fmac_f32_e32 v20, 0xb102e308, v16
	v_add_f32_e32 v16, v22, v24
	v_sub_f32_e32 v23, v17, v16
	v_mov_b32_e32 v25, v16
	v_pk_add_f32 v[16:17], v[16:17], v[22:23] neg_lo:[0,1] neg_hi:[0,1]
	v_pk_add_f32 v[16:17], v[16:17], v[24:25] neg_lo:[0,1] neg_hi:[0,1]
	v_add_f32_e32 v16, v16, v17
	v_add_f32_e32 v16, v23, v16
	v_mul_f32_e32 v17, v26, v16
	v_add_f32_e32 v16, v27, v17
	v_sub_f32_e32 v19, v16, v27
	v_mul_f32_e32 v23, v16, v16
	v_sub_f32_e32 v19, v17, v19
	v_fma_f32 v17, v16, v16, -v23
	v_add_f32_e32 v22, v19, v19
	v_fmac_f32_e32 v17, v16, v22
	v_add_f32_e32 v22, v23, v17
	v_fmac_f32_e32 v13, 0x3e76c4e1, v22
	v_sub_f32_e32 v23, v22, v23
	v_fma_f32 v13, v22, v13, v1
	v_sub_f32_e32 v37, v17, v23
	v_mul_f32_e32 v17, v22, v13
	v_fma_f32 v23, v22, v13, -v17
	v_fmac_f32_e32 v23, v37, v13
	v_add_f32_e32 v13, v17, v23
	v_add_f32_e32 v25, 0x3f2aaaaa, v13
	v_sub_f32_e32 v17, v13, v17
	v_sub_f32_e32 v17, v23, v17
	v_add_f32_e32 v23, 0xbf2aaaaa, v25
	v_add_f32_e32 v17, 0x31739010, v17
	v_sub_f32_e32 v23, v13, v23
	v_pk_mul_f32 v[26:27], v[16:17], v[22:23]
	v_fma_f32 v24, v22, v16, -v26
	v_pk_add_f32 v[28:29], v[16:17], v[22:23]
	v_fmac_f32_e32 v24, v22, v19
	v_mov_b32_e32 v27, v29
	v_fmac_f32_e32 v24, v37, v16
	v_ldexp_f32 v21, v16, 1
	v_pk_add_f32 v[16:17], v[26:27], v[24:25]
	v_mov_b32_e32 v22, v17
	v_ldexp_f32 v36, v19, 1
	v_sub_f32_e32 v13, v16, v26
	v_sub_f32_e32 v19, v25, v17
	v_pk_mul_f32 v[22:23], v[16:17], v[22:23]
	v_sub_f32_e32 v13, v24, v13
	v_add_f32_e32 v19, v29, v19
	v_fma_f32 v24, v16, v17, -v22
	v_fmac_f32_e32 v24, v16, v19
	v_fmac_f32_e32 v24, v13, v17
	v_add_f32_e32 v19, v22, v24
	v_pk_add_f32 v[16:17], v[18:19], v[20:21]
	v_mov_b32_e32 v23, v21
	v_mov_b32_e32 v26, v19
	;; [unrolled: 1-line block ×4, first 2 shown]
	v_pk_add_f32 v[22:23], v[26:27], v[22:23] neg_lo:[0,1] neg_hi:[0,1]
	v_pk_add_f32 v[22:23], v[24:25], v[22:23] neg_lo:[0,1] neg_hi:[0,1]
	v_add_f32_e32 v13, v36, v22
	v_add_f32_e32 v19, v13, v23
	v_pk_add_f32 v[22:23], v[16:17], v[18:19] neg_lo:[0,1] neg_hi:[0,1]
	v_pk_add_f32 v[24:25], v[16:17], v[18:19]
	v_mov_b32_e32 v21, v16
	v_mov_b32_e32 v26, v22
	;; [unrolled: 1-line block ×3, first 2 shown]
	v_pk_add_f32 v[26:27], v[20:21], v[26:27]
	v_mov_b32_e32 v18, v27
	v_mov_b32_e32 v28, v17
	v_pk_add_f32 v[16:17], v[18:19], v[16:17] neg_lo:[0,1] neg_hi:[0,1]
	v_mov_b32_e32 v26, v25
	v_mov_b32_e32 v13, v16
	v_mov_b32_e32 v29, v16
	v_pk_add_f32 v[22:23], v[20:21], v[22:23] neg_lo:[0,1] neg_hi:[0,1]
	v_mov_b32_e32 v20, v19
	s_waitcnt vmcnt(1)
	v_pk_add_f32 v[16:17], v[24:25], v[12:13] neg_lo:[0,1] neg_hi:[0,1]
	v_pk_add_f32 v[24:25], v[26:27], v[28:29] neg_lo:[0,1] neg_hi:[0,1]
	;; [unrolled: 1-line block ×3, first 2 shown]
	v_mov_b32_e32 v16, v22
	v_pk_add_f32 v[16:17], v[16:17], v[20:21]
	v_mov_b32_e32 v24, v17
	v_pk_add_f32 v[24:25], v[16:17], v[24:25]
	v_pk_add_f32 v[18:19], v[18:19], v[24:25]
	v_mov_b32_e32 v23, v27
	v_mov_b32_e32 v17, v18
	v_mov_b32_e32 v21, v24
	v_pk_add_f32 v[24:25], v[16:17], v[22:23] neg_lo:[0,1] neg_hi:[0,1]
	v_sub_f32_e32 v13, v16, v24
	v_pk_add_f32 v[20:21], v[20:21], v[24:25] neg_lo:[0,1] neg_hi:[0,1]
	v_sub_f32_e32 v13, v22, v13
	v_add_f32_e32 v13, v20, v13
	v_add_f32_e32 v13, v13, v21
	;; [unrolled: 1-line block ×3, first 2 shown]
	v_sub_f32_e32 v17, v16, v18
	v_mul_f32_e32 v18, v30, v16
	v_sub_f32_e32 v13, v13, v17
	v_fma_f32 v16, v30, v16, -v18
	v_fmac_f32_e32 v16, v30, v13
	v_add_f32_e32 v13, v18, v16
	v_cmp_class_f32_e64 s[4:5], v18, s22
	v_sub_f32_e32 v17, v13, v18
	v_cndmask_b32_e64 v13, v13, v18, s[4:5]
	v_cmp_eq_f32_e64 s[4:5], s24, v13
	v_sub_f32_e32 v16, v16, v17
	v_cndmask_b32_e64 v17, 0, v6, s[4:5]
	v_sub_f32_e32 v18, v13, v17
	v_mul_f32_e32 v19, 0x3fb8aa3b, v18
	v_fma_f32 v20, v18, s25, -v19
	v_rndne_f32_e32 v21, v19
	v_fmac_f32_e32 v20, 0x32a5705f, v18
	v_sub_f32_e32 v19, v19, v21
	v_add_f32_e32 v19, v19, v20
	v_cvt_i32_f32_e32 v21, v21
	v_exp_f32_e32 v19, v19
	v_cmp_neq_f32_e64 s[4:5], |v13|, s23
	v_cndmask_b32_e64 v13, 0, v16, s[4:5]
	v_cmp_ngt_f32_e64 s[4:5], s26, v18
	v_ldexp_f32 v16, v19, v21
	v_cndmask_b32_e64 v16, 0, v16, s[4:5]
	v_cmp_nlt_f32_e64 s[4:5], s24, v18
	v_add_f32_e32 v13, v17, v13
	v_cndmask_b32_e64 v16, v7, v16, s[4:5]
	v_fma_f32 v13, v16, v13, v16
	v_cmp_class_f32_e64 s[4:5], v16, s22
	v_cndmask_b32_e64 v13, v13, v16, s[4:5]
	v_bfi_b32 v13, s27, v13, v32
	v_cndmask_b32_e32 v16, v8, v13, vcc
	v_cmp_gt_f32_e32 vcc, 0, v15
	v_cndmask_b32_e32 v13, v13, v16, vcc
	v_cmp_eq_f32_e32 vcc, s23, v31
	v_cndmask_b32_e32 v13, v13, v35, vcc
	v_bfi_b32 v16, s27, v34, v33
	s_or_b64 vcc, s[0:1], s[2:3]
	v_cndmask_b32_e32 v13, v13, v16, vcc
	v_cmp_o_f32_e32 vcc, v15, v30
	s_waitcnt vmcnt(0)
	v_cvt_f32_f16_e32 v32, v14
	v_cndmask_b32_e32 v13, v8, v13, vcc
	v_cmp_eq_f16_e32 vcc, 1.0, v14
	v_cndmask_b32_e64 v33, v0, 1.0, vcc
	v_cmp_eq_f32_e64 s[0:1], 0, v33
	v_cndmask_b32_e64 v34, |v32|, 1.0, s[0:1]
	v_frexp_mant_f32_e32 v15, v34
	v_cmp_gt_f32_e64 s[2:3], s18, v15
	v_cndmask_b32_e64 v16, 1.0, 2.0, s[2:3]
	v_mul_f32_e32 v15, v15, v16
	v_add_f32_e32 v16, 1.0, v15
	v_rcp_f32_e32 v24, v16
	v_add_f32_e32 v17, -1.0, v16
	v_sub_f32_e32 v19, v15, v17
	v_add_f32_e32 v17, -1.0, v15
	v_mul_f32_e32 v15, v17, v24
	v_mul_f32_e32 v18, v16, v15
	v_fma_f32 v20, v15, v16, -v18
	v_fmac_f32_e32 v20, v15, v19
	v_add_f32_e32 v16, v18, v20
	v_sub_f32_e32 v19, v17, v16
	v_pk_add_f32 v[22:23], v[16:17], v[18:19] neg_lo:[0,1] neg_hi:[0,1]
	v_mov_b32_e32 v21, v16
	v_pk_add_f32 v[16:17], v[22:23], v[20:21] neg_lo:[0,1] neg_hi:[0,1]
	v_add_f32_e32 v16, v16, v17
	v_add_f32_e32 v16, v19, v16
	v_mul_f32_e32 v17, v24, v16
	v_add_f32_e32 v16, v15, v17
	v_sub_f32_e32 v15, v16, v15
	v_sub_f32_e32 v15, v17, v15
	v_mul_f32_e32 v17, v16, v16
	v_fma_f32 v19, v16, v16, -v17
	v_add_f32_e32 v18, v15, v15
	v_fmac_f32_e32 v19, v16, v18
	v_add_f32_e32 v18, v17, v19
	v_mov_b32_e32 v20, 0x3e91f4c4
	v_fmac_f32_e32 v20, 0x3e76c4e1, v18
	v_fma_f32 v20, v18, v20, v1
	v_sub_f32_e32 v17, v18, v17
	v_sub_f32_e32 v26, v19, v17
	v_mul_f32_e32 v17, v18, v20
	v_fma_f32 v19, v18, v20, -v17
	v_fmac_f32_e32 v19, v26, v20
	v_add_f32_e32 v20, v17, v19
	v_add_f32_e32 v21, 0x3f2aaaaa, v20
	v_sub_f32_e32 v17, v20, v17
	v_sub_f32_e32 v17, v19, v17
	v_add_f32_e32 v19, 0xbf2aaaaa, v21
	v_add_f32_e32 v17, 0x31739010, v17
	v_sub_f32_e32 v19, v20, v19
	v_pk_mul_f32 v[22:23], v[16:17], v[18:19]
	v_fma_f32 v20, v18, v16, -v22
	v_pk_add_f32 v[24:25], v[16:17], v[18:19]
	v_fmac_f32_e32 v20, v18, v15
	v_mov_b32_e32 v23, v25
	v_fmac_f32_e32 v20, v26, v16
	v_pk_add_f32 v[18:19], v[22:23], v[20:21]
	v_sub_f32_e32 v17, v18, v22
	v_sub_f32_e32 v17, v20, v17
	;; [unrolled: 1-line block ×3, first 2 shown]
	v_add_f32_e32 v24, v25, v20
	v_mov_b32_e32 v20, v19
	v_pk_mul_f32 v[20:21], v[18:19], v[20:21]
	v_cvt_f64_f32_e32 v[22:23], v34
	v_frexp_exp_i32_f64_e32 v21, v[22:23]
	v_subbrev_co_u32_e64 v21, s[2:3], 0, v21, s[2:3]
	v_cvt_f32_i32_e32 v21, v21
	v_fma_f32 v22, v18, v19, -v20
	v_fmac_f32_e32 v22, v18, v24
	v_fmac_f32_e32 v22, v17, v19
	v_mul_f32_e32 v18, 0x3f317218, v21
	v_fma_f32 v24, v21, s19, -v18
	v_fmac_f32_e32 v24, 0xb102e308, v21
	v_ldexp_f32 v25, v16, 1
	v_add_f32_e32 v19, v20, v22
	v_pk_add_f32 v[16:17], v[18:19], v[24:25]
	v_mov_b32_e32 v26, v19
	v_mov_b32_e32 v27, v17
	;; [unrolled: 1-line block ×3, first 2 shown]
	v_pk_add_f32 v[20:21], v[26:27], v[20:21] neg_lo:[0,1] neg_hi:[0,1]
	v_mov_b32_e32 v23, v19
	v_ldexp_f32 v15, v15, 1
	v_pk_add_f32 v[20:21], v[22:23], v[20:21] neg_lo:[0,1] neg_hi:[0,1]
	v_add_f32_e32 v15, v15, v20
	v_add_f32_e32 v19, v15, v21
	v_pk_add_f32 v[20:21], v[16:17], v[18:19] neg_lo:[0,1] neg_hi:[0,1]
	v_pk_add_f32 v[22:23], v[16:17], v[18:19]
	v_mov_b32_e32 v26, v20
	v_mov_b32_e32 v27, v23
	;; [unrolled: 1-line block ×3, first 2 shown]
	v_pk_add_f32 v[26:27], v[24:25], v[26:27]
	v_mov_b32_e32 v18, v27
	v_pk_add_f32 v[28:29], v[18:19], v[16:17] neg_lo:[0,1] neg_hi:[0,1]
	v_mov_b32_e32 v15, v28
	v_mov_b32_e32 v26, v23
	;; [unrolled: 1-line block ×4, first 2 shown]
	v_pk_add_f32 v[20:21], v[24:25], v[20:21] neg_lo:[0,1] neg_hi:[0,1]
	v_pk_add_f32 v[30:31], v[22:23], v[14:15] neg_lo:[0,1] neg_hi:[0,1]
	;; [unrolled: 1-line block ×3, first 2 shown]
	v_mov_b32_e32 v24, v19
	v_pk_add_f32 v[16:17], v[24:25], v[16:17] neg_lo:[0,1] neg_hi:[0,1]
	v_mov_b32_e32 v30, v20
	v_pk_add_f32 v[22:23], v[30:31], v[16:17]
	v_mov_b32_e32 v24, v23
	v_pk_add_f32 v[24:25], v[22:23], v[24:25]
	v_pk_add_f32 v[18:19], v[18:19], v[24:25]
	v_mov_b32_e32 v21, v27
	v_mov_b32_e32 v23, v18
	v_pk_add_f32 v[26:27], v[22:23], v[20:21] neg_lo:[0,1] neg_hi:[0,1]
	v_mov_b32_e32 v17, v24
	v_sub_f32_e32 v15, v22, v26
	v_pk_add_f32 v[16:17], v[16:17], v[26:27] neg_lo:[0,1] neg_hi:[0,1]
	v_sub_f32_e32 v15, v20, v15
	v_add_f32_e32 v15, v16, v15
	v_add_f32_e32 v15, v15, v17
	;; [unrolled: 1-line block ×3, first 2 shown]
	v_sub_f32_e32 v17, v16, v18
	v_sub_f32_e32 v15, v15, v17
	v_mul_f32_e32 v17, v33, v16
	v_fma_f32 v16, v33, v16, -v17
	v_fmac_f32_e32 v16, v33, v15
	v_add_f32_e32 v15, v17, v16
	v_cmp_class_f32_e64 s[2:3], v17, s22
	v_sub_f32_e32 v18, v15, v17
	v_cndmask_b32_e64 v15, v15, v17, s[2:3]
	v_cmp_eq_f32_e64 s[2:3], s24, v15
	v_cndmask_b32_e64 v17, 0, v6, s[2:3]
	v_sub_f32_e32 v16, v16, v18
	v_sub_f32_e32 v18, v15, v17
	v_mul_f32_e32 v19, 0x3fb8aa3b, v18
	v_fma_f32 v20, v18, s25, -v19
	v_rndne_f32_e32 v21, v19
	v_fmac_f32_e32 v20, 0x32a5705f, v18
	v_sub_f32_e32 v19, v19, v21
	v_add_f32_e32 v19, v19, v20
	v_exp_f32_e32 v19, v19
	v_cvt_i32_f32_e32 v20, v21
	v_cmp_neq_f32_e64 s[2:3], |v15|, s23
	v_cndmask_b32_e64 v15, 0, v16, s[2:3]
	v_cmp_ngt_f32_e64 s[2:3], s26, v18
	v_ldexp_f32 v16, v19, v20
	v_cndmask_b32_e64 v16, 0, v16, s[2:3]
	v_cmp_nlt_f32_e64 s[2:3], s24, v18
	v_add_f32_e32 v15, v17, v15
	v_cndmask_b32_e64 v16, v7, v16, s[2:3]
	v_fma_f32 v15, v16, v15, v16
	v_cmp_class_f32_e64 s[2:3], v16, s22
	v_trunc_f32_e32 v17, v33
	v_cndmask_b32_e64 v15, v15, v16, s[2:3]
	v_cndmask_b32_e64 v16, v32, 1.0, s[0:1]
	v_cmp_eq_f32_e64 s[0:1], v17, v33
	v_mul_f32_e32 v17, 0.5, v33
	v_trunc_f32_e32 v18, v17
	v_cmp_neq_f32_e64 s[2:3], v18, v17
	s_and_b64 s[2:3], s[0:1], s[2:3]
	v_cndmask_b32_e64 v17, 1.0, v16, s[2:3]
	v_bfi_b32 v15, s27, v15, v17
	v_cndmask_b32_e64 v17, v8, v15, s[0:1]
	v_cmp_gt_f32_e64 s[0:1], 0, v16
	v_cndmask_b32_e64 v15, v15, v17, s[0:1]
	v_cndmask_b32_e64 v17, |v0|, 1.0, vcc
	v_cmp_neq_f32_e32 vcc, v33, v17
	v_cmp_gt_f32_e64 s[0:1], 1.0, v34
	s_xor_b64 s[0:1], vcc, s[0:1]
	v_cndmask_b32_e64 v18, v17, 0, s[0:1]
	v_cmp_eq_f32_e32 vcc, 1.0, v34
	v_cmp_eq_f32_e64 s[0:1], 0, v16
	v_cmp_gt_f32_e64 s[4:5], 0, v33
	v_cndmask_b32_e32 v18, v18, v34, vcc
	v_cmp_eq_f32_e32 vcc, s23, v17
	s_xor_b64 s[4:5], s[4:5], s[0:1]
	v_cndmask_b32_e32 v15, v15, v18, vcc
	v_cmp_eq_f32_e32 vcc, s23, v34
	v_cndmask_b32_e64 v17, v7, 0, s[4:5]
	v_cndmask_b32_e64 v18, 0, v16, s[2:3]
	v_cvt_f32_f16_sdwa v31, v14 dst_sel:DWORD dst_unused:UNUSED_PAD src0_sel:WORD_1
	v_bfi_b32 v17, s27, v17, v18
	s_or_b64 vcc, vcc, s[0:1]
	v_cmp_eq_f16_sdwa s[2:3], v14, v11 src0_sel:WORD_1 src1_sel:DWORD
	v_cndmask_b32_e32 v15, v15, v17, vcc
	v_cmp_o_f32_e32 vcc, v16, v33
	v_cndmask_b32_e64 v32, v0, 1.0, s[2:3]
	v_cndmask_b32_e32 v15, v8, v15, vcc
	v_cmp_eq_f32_e32 vcc, 0, v32
	v_cndmask_b32_e64 v33, |v31|, 1.0, vcc
	v_frexp_mant_f32_e32 v14, v33
	v_cmp_gt_f32_e64 s[0:1], s18, v14
	v_cvt_f16_f32_e32 v30, v15
	v_cndmask_b32_e64 v15, 1.0, 2.0, s[0:1]
	v_mul_f32_e32 v14, v14, v15
	v_add_f32_e32 v17, 1.0, v14
	v_rcp_f32_e32 v22, v17
	v_add_f32_e32 v15, -1.0, v17
	v_sub_f32_e32 v19, v14, v15
	v_add_f32_e32 v15, -1.0, v14
	v_mul_f32_e32 v23, v15, v22
	v_mul_f32_e32 v16, v17, v23
	v_fma_f32 v18, v23, v17, -v16
	v_fmac_f32_e32 v18, v23, v19
	v_add_f32_e32 v14, v16, v18
	v_sub_f32_e32 v17, v15, v14
	v_pk_add_f32 v[20:21], v[14:15], v[16:17] neg_lo:[0,1] neg_hi:[0,1]
	v_mov_b32_e32 v19, v14
	v_pk_add_f32 v[14:15], v[20:21], v[18:19] neg_lo:[0,1] neg_hi:[0,1]
	v_add_f32_e32 v14, v14, v15
	v_add_f32_e32 v14, v17, v14
	v_mul_f32_e32 v15, v22, v14
	v_add_f32_e32 v14, v23, v15
	v_sub_f32_e32 v16, v14, v23
	v_sub_f32_e32 v24, v15, v16
	v_mul_f32_e32 v15, v14, v14
	v_fma_f32 v17, v14, v14, -v15
	v_add_f32_e32 v16, v24, v24
	v_fmac_f32_e32 v17, v14, v16
	v_add_f32_e32 v16, v15, v17
	v_mov_b32_e32 v18, 0x3e91f4c4
	v_fmac_f32_e32 v18, 0x3e76c4e1, v16
	v_fma_f32 v18, v16, v18, v1
	v_sub_f32_e32 v15, v16, v15
	v_sub_f32_e32 v25, v17, v15
	v_mul_f32_e32 v15, v16, v18
	v_fma_f32 v17, v16, v18, -v15
	v_fmac_f32_e32 v17, v25, v18
	v_add_f32_e32 v18, v15, v17
	v_add_f32_e32 v19, 0x3f2aaaaa, v18
	v_sub_f32_e32 v15, v18, v15
	v_sub_f32_e32 v15, v17, v15
	v_add_f32_e32 v17, 0xbf2aaaaa, v19
	v_add_f32_e32 v15, 0x31739010, v15
	v_sub_f32_e32 v17, v18, v17
	v_pk_mul_f32 v[20:21], v[14:15], v[16:17]
	v_fma_f32 v18, v16, v14, -v20
	v_pk_add_f32 v[22:23], v[14:15], v[16:17]
	v_fmac_f32_e32 v18, v16, v24
	v_mov_b32_e32 v21, v23
	v_fmac_f32_e32 v18, v25, v14
	v_pk_add_f32 v[16:17], v[20:21], v[18:19]
	v_sub_f32_e32 v15, v16, v20
	v_sub_f32_e32 v15, v18, v15
	;; [unrolled: 1-line block ×3, first 2 shown]
	v_add_f32_e32 v22, v23, v18
	v_mov_b32_e32 v18, v17
	v_pk_mul_f32 v[18:19], v[16:17], v[18:19]
	v_cvt_f64_f32_e32 v[20:21], v33
	v_frexp_exp_i32_f64_e32 v19, v[20:21]
	v_subbrev_co_u32_e64 v19, s[0:1], 0, v19, s[0:1]
	v_cvt_f32_i32_e32 v19, v19
	v_fma_f32 v20, v16, v17, -v18
	v_fmac_f32_e32 v20, v16, v22
	v_fmac_f32_e32 v20, v15, v17
	v_mul_f32_e32 v16, 0x3f317218, v19
	v_fma_f32 v22, v19, s19, -v16
	v_fmac_f32_e32 v22, 0xb102e308, v19
	v_ldexp_f32 v23, v14, 1
	v_add_f32_e32 v17, v18, v20
	v_pk_add_f32 v[14:15], v[16:17], v[22:23]
	v_ldexp_f32 v26, v24, 1
	v_mov_b32_e32 v24, v17
	v_mov_b32_e32 v25, v15
	v_mov_b32_e32 v19, v23
	v_pk_add_f32 v[18:19], v[24:25], v[18:19] neg_lo:[0,1] neg_hi:[0,1]
	v_mov_b32_e32 v21, v17
	v_pk_add_f32 v[18:19], v[20:21], v[18:19] neg_lo:[0,1] neg_hi:[0,1]
	v_add_f32_e32 v17, v26, v18
	v_add_f32_e32 v17, v17, v19
	v_pk_add_f32 v[18:19], v[14:15], v[16:17] neg_lo:[0,1] neg_hi:[0,1]
	v_pk_add_f32 v[20:21], v[14:15], v[16:17]
	v_mov_b32_e32 v24, v18
	v_mov_b32_e32 v25, v21
	;; [unrolled: 1-line block ×3, first 2 shown]
	v_pk_add_f32 v[24:25], v[22:23], v[24:25]
	v_mov_b32_e32 v16, v25
	v_pk_add_f32 v[26:27], v[16:17], v[14:15] neg_lo:[0,1] neg_hi:[0,1]
	v_mov_b32_e32 v27, v26
	v_mov_b32_e32 v24, v21
	;; [unrolled: 1-line block ×4, first 2 shown]
	v_pk_add_f32 v[18:19], v[22:23], v[18:19] neg_lo:[0,1] neg_hi:[0,1]
	v_pk_add_f32 v[28:29], v[20:21], v[26:27] neg_lo:[0,1] neg_hi:[0,1]
	;; [unrolled: 1-line block ×3, first 2 shown]
	v_mov_b32_e32 v22, v17
	v_pk_add_f32 v[14:15], v[22:23], v[14:15] neg_lo:[0,1] neg_hi:[0,1]
	v_mov_b32_e32 v28, v18
	v_pk_add_f32 v[20:21], v[28:29], v[14:15]
	v_mov_b32_e32 v22, v21
	v_pk_add_f32 v[22:23], v[20:21], v[22:23]
	v_pk_add_f32 v[16:17], v[16:17], v[22:23]
	v_mov_b32_e32 v19, v25
	v_mov_b32_e32 v21, v16
	v_pk_add_f32 v[24:25], v[20:21], v[18:19] neg_lo:[0,1] neg_hi:[0,1]
	v_mov_b32_e32 v15, v22
	v_sub_f32_e32 v17, v20, v24
	v_pk_add_f32 v[14:15], v[14:15], v[24:25] neg_lo:[0,1] neg_hi:[0,1]
	v_sub_f32_e32 v17, v18, v17
	v_add_f32_e32 v14, v14, v17
	v_add_f32_e32 v14, v14, v15
	;; [unrolled: 1-line block ×3, first 2 shown]
	v_sub_f32_e32 v16, v15, v16
	v_sub_f32_e32 v14, v14, v16
	v_mul_f32_e32 v16, v32, v15
	v_fma_f32 v15, v32, v15, -v16
	v_fmac_f32_e32 v15, v32, v14
	v_add_f32_e32 v14, v16, v15
	v_cmp_class_f32_e64 s[0:1], v16, s22
	v_sub_f32_e32 v17, v14, v16
	v_cndmask_b32_e64 v14, v14, v16, s[0:1]
	v_cmp_eq_f32_e64 s[0:1], s24, v14
	v_cndmask_b32_e64 v16, 0, v6, s[0:1]
	v_sub_f32_e32 v15, v15, v17
	v_sub_f32_e32 v17, v14, v16
	v_mul_f32_e32 v18, 0x3fb8aa3b, v17
	v_fma_f32 v19, v17, s25, -v18
	v_rndne_f32_e32 v20, v18
	v_fmac_f32_e32 v19, 0x32a5705f, v17
	v_sub_f32_e32 v18, v18, v20
	v_add_f32_e32 v18, v18, v19
	v_exp_f32_e32 v18, v18
	v_cvt_i32_f32_e32 v19, v20
	v_cmp_neq_f32_e64 s[0:1], |v14|, s23
	v_cndmask_b32_e64 v14, 0, v15, s[0:1]
	v_cmp_ngt_f32_e64 s[0:1], s26, v17
	v_ldexp_f32 v15, v18, v19
	v_cndmask_b32_e64 v15, 0, v15, s[0:1]
	v_cmp_nlt_f32_e64 s[0:1], s24, v17
	v_add_f32_e32 v14, v16, v14
	v_cndmask_b32_e64 v15, v7, v15, s[0:1]
	v_fma_f32 v14, v15, v14, v15
	v_cmp_class_f32_e64 s[0:1], v15, s22
	v_trunc_f32_e32 v16, v32
	v_cndmask_b32_e64 v14, v14, v15, s[0:1]
	v_cndmask_b32_e64 v15, v31, 1.0, vcc
	v_cmp_eq_f32_e32 vcc, v16, v32
	v_mul_f32_e32 v16, 0.5, v32
	v_trunc_f32_e32 v17, v16
	v_cmp_neq_f32_e64 s[0:1], v17, v16
	s_and_b64 s[0:1], vcc, s[0:1]
	v_cndmask_b32_e64 v16, 1.0, v15, s[0:1]
	v_bfi_b32 v14, s27, v14, v16
	v_cndmask_b32_e32 v16, v8, v14, vcc
	v_cmp_gt_f32_e32 vcc, 0, v15
	v_cndmask_b32_e32 v14, v14, v16, vcc
	v_cndmask_b32_e64 v16, |v0|, 1.0, s[2:3]
	v_cmp_neq_f32_e32 vcc, v32, v16
	v_cmp_gt_f32_e64 s[2:3], 1.0, v33
	s_xor_b64 s[2:3], vcc, s[2:3]
	v_cndmask_b32_e64 v17, v16, 0, s[2:3]
	v_cmp_eq_f32_e32 vcc, 1.0, v33
	v_cmp_eq_f32_e64 s[2:3], 0, v15
	v_cmp_gt_f32_e64 s[4:5], 0, v32
	v_cndmask_b32_e32 v17, v17, v33, vcc
	v_cmp_eq_f32_e32 vcc, s23, v16
	s_xor_b64 s[4:5], s[4:5], s[2:3]
	v_cndmask_b32_e32 v14, v14, v17, vcc
	v_cmp_eq_f32_e32 vcc, s23, v33
	v_cndmask_b32_e64 v16, v7, 0, s[4:5]
	v_cndmask_b32_e64 v17, 0, v15, s[0:1]
	v_bfi_b32 v16, s27, v16, v17
	s_or_b64 vcc, vcc, s[2:3]
	v_cndmask_b32_e32 v14, v14, v16, vcc
	v_cmp_o_f32_e32 vcc, v15, v32
	v_cvt_f32_f16_e32 v32, v12
	v_cndmask_b32_e32 v14, v8, v14, vcc
	v_cmp_eq_f16_e32 vcc, 1.0, v12
	v_cndmask_b32_e64 v33, v0, 1.0, vcc
	v_cmp_eq_f32_e64 s[0:1], 0, v33
	v_cndmask_b32_e64 v34, |v32|, 1.0, s[0:1]
	v_frexp_mant_f32_e32 v12, v34
	v_cmp_gt_f32_e64 s[2:3], s18, v12
	v_cvt_f16_f32_e32 v31, v14
	v_cndmask_b32_e64 v14, 1.0, 2.0, s[2:3]
	v_mul_f32_e32 v12, v12, v14
	v_add_f32_e32 v14, 1.0, v12
	v_rcp_f32_e32 v22, v14
	v_add_f32_e32 v15, -1.0, v14
	v_sub_f32_e32 v17, v12, v15
	v_add_f32_e32 v15, -1.0, v12
	v_mul_f32_e32 v12, v15, v22
	v_mul_f32_e32 v16, v14, v12
	v_fma_f32 v18, v12, v14, -v16
	v_fmac_f32_e32 v18, v12, v17
	v_add_f32_e32 v14, v16, v18
	v_sub_f32_e32 v17, v15, v14
	v_pk_add_f32 v[20:21], v[14:15], v[16:17] neg_lo:[0,1] neg_hi:[0,1]
	v_mov_b32_e32 v19, v14
	v_pk_add_f32 v[14:15], v[20:21], v[18:19] neg_lo:[0,1] neg_hi:[0,1]
	v_add_f32_e32 v14, v14, v15
	v_add_f32_e32 v14, v17, v14
	v_mul_f32_e32 v15, v22, v14
	v_add_f32_e32 v14, v12, v15
	v_sub_f32_e32 v12, v14, v12
	v_sub_f32_e32 v24, v15, v12
	v_mul_f32_e32 v12, v14, v14
	v_fma_f32 v15, v14, v14, -v12
	v_add_f32_e32 v16, v24, v24
	v_fmac_f32_e32 v15, v14, v16
	v_add_f32_e32 v16, v12, v15
	v_mov_b32_e32 v17, 0x3e91f4c4
	v_fmac_f32_e32 v17, 0x3e76c4e1, v16
	v_fma_f32 v17, v16, v17, v1
	v_sub_f32_e32 v12, v16, v12
	v_sub_f32_e32 v12, v15, v12
	v_mul_f32_e32 v15, v16, v17
	v_fma_f32 v18, v16, v17, -v15
	v_fmac_f32_e32 v18, v12, v17
	v_add_f32_e32 v17, v15, v18
	v_add_f32_e32 v19, 0x3f2aaaaa, v17
	v_sub_f32_e32 v15, v17, v15
	v_sub_f32_e32 v15, v18, v15
	v_add_f32_e32 v18, 0xbf2aaaaa, v19
	v_add_f32_e32 v15, 0x31739010, v15
	v_sub_f32_e32 v17, v17, v18
	v_pk_mul_f32 v[20:21], v[14:15], v[16:17]
	v_fma_f32 v18, v16, v14, -v20
	v_pk_add_f32 v[22:23], v[14:15], v[16:17]
	v_fmac_f32_e32 v18, v16, v24
	v_mov_b32_e32 v21, v23
	v_fmac_f32_e32 v18, v12, v14
	v_cvt_f16_f32_e32 v13, v13
	v_pk_add_f32 v[16:17], v[20:21], v[18:19]
	v_sub_f32_e32 v12, v16, v20
	v_sub_f32_e32 v15, v18, v12
	v_sub_f32_e32 v12, v19, v17
	v_add_f32_e32 v22, v23, v12
	v_mov_b32_e32 v12, v17
	v_cvt_f64_f32_e32 v[20:21], v34
	v_pk_mul_f32 v[18:19], v[16:17], v[12:13]
	v_frexp_exp_i32_f64_e32 v12, v[20:21]
	v_subbrev_co_u32_e64 v12, s[2:3], 0, v12, s[2:3]
	v_cvt_f32_i32_e32 v12, v12
	v_fma_f32 v20, v16, v17, -v18
	v_fmac_f32_e32 v20, v16, v22
	v_fmac_f32_e32 v20, v15, v17
	v_mul_f32_e32 v16, 0x3f317218, v12
	v_fma_f32 v22, v12, s19, -v16
	v_fmac_f32_e32 v22, 0xb102e308, v12
	v_ldexp_f32 v23, v14, 1
	v_add_f32_e32 v17, v18, v20
	v_pk_add_f32 v[14:15], v[16:17], v[22:23]
	v_ldexp_f32 v12, v24, 1
	v_mov_b32_e32 v24, v17
	v_mov_b32_e32 v25, v15
	;; [unrolled: 1-line block ×3, first 2 shown]
	v_pk_add_f32 v[18:19], v[24:25], v[18:19] neg_lo:[0,1] neg_hi:[0,1]
	v_mov_b32_e32 v21, v17
	v_pk_add_f32 v[18:19], v[20:21], v[18:19] neg_lo:[0,1] neg_hi:[0,1]
	v_add_f32_e32 v12, v12, v18
	v_add_f32_e32 v17, v12, v19
	v_pk_add_f32 v[18:19], v[14:15], v[16:17] neg_lo:[0,1] neg_hi:[0,1]
	v_pk_add_f32 v[20:21], v[14:15], v[16:17]
	v_mov_b32_e32 v24, v18
	v_mov_b32_e32 v25, v21
	;; [unrolled: 1-line block ×3, first 2 shown]
	v_pk_add_f32 v[24:25], v[22:23], v[24:25]
	v_mov_b32_e32 v12, v25
	v_pk_add_f32 v[26:27], v[12:13], v[14:15] neg_lo:[0,1] neg_hi:[0,1]
	v_mov_b32_e32 v27, v26
	v_mov_b32_e32 v24, v21
	;; [unrolled: 1-line block ×4, first 2 shown]
	v_pk_add_f32 v[18:19], v[22:23], v[18:19] neg_lo:[0,1] neg_hi:[0,1]
	v_pk_add_f32 v[28:29], v[20:21], v[26:27] neg_lo:[0,1] neg_hi:[0,1]
	;; [unrolled: 1-line block ×3, first 2 shown]
	v_mov_b32_e32 v22, v17
	v_pk_add_f32 v[14:15], v[22:23], v[14:15] neg_lo:[0,1] neg_hi:[0,1]
	v_mov_b32_e32 v28, v18
	v_pk_add_f32 v[16:17], v[28:29], v[14:15]
	v_mov_b32_e32 v20, v17
	v_pk_add_f32 v[20:21], v[16:17], v[20:21]
	v_pk_add_f32 v[22:23], v[12:13], v[20:21]
	v_mov_b32_e32 v19, v25
	v_mov_b32_e32 v17, v22
	v_pk_add_f32 v[24:25], v[16:17], v[18:19] neg_lo:[0,1] neg_hi:[0,1]
	v_mov_b32_e32 v15, v20
	v_sub_f32_e32 v12, v16, v24
	v_pk_add_f32 v[14:15], v[14:15], v[24:25] neg_lo:[0,1] neg_hi:[0,1]
	v_sub_f32_e32 v12, v18, v12
	v_add_f32_e32 v12, v14, v12
	v_add_f32_e32 v12, v12, v15
	;; [unrolled: 1-line block ×3, first 2 shown]
	v_sub_f32_e32 v15, v14, v22
	v_sub_f32_e32 v12, v12, v15
	v_mul_f32_e32 v15, v33, v14
	v_fma_f32 v14, v33, v14, -v15
	v_fmac_f32_e32 v14, v33, v12
	v_add_f32_e32 v12, v15, v14
	v_cmp_class_f32_e64 s[2:3], v15, s22
	v_sub_f32_e32 v16, v12, v15
	v_cndmask_b32_e64 v12, v12, v15, s[2:3]
	v_cmp_eq_f32_e64 s[2:3], s24, v12
	v_cndmask_b32_e64 v15, 0, v6, s[2:3]
	v_sub_f32_e32 v14, v14, v16
	v_sub_f32_e32 v16, v12, v15
	v_mul_f32_e32 v17, 0x3fb8aa3b, v16
	v_fma_f32 v18, v16, s25, -v17
	v_rndne_f32_e32 v19, v17
	v_fmac_f32_e32 v18, 0x32a5705f, v16
	v_sub_f32_e32 v17, v17, v19
	v_add_f32_e32 v17, v17, v18
	v_exp_f32_e32 v17, v17
	v_cvt_i32_f32_e32 v18, v19
	v_cmp_neq_f32_e64 s[2:3], |v12|, s23
	v_cndmask_b32_e64 v12, 0, v14, s[2:3]
	v_cmp_ngt_f32_e64 s[2:3], s26, v16
	v_ldexp_f32 v14, v17, v18
	v_cndmask_b32_e64 v14, 0, v14, s[2:3]
	v_cmp_nlt_f32_e64 s[2:3], s24, v16
	v_add_f32_e32 v12, v15, v12
	v_cndmask_b32_e64 v14, v7, v14, s[2:3]
	v_fma_f32 v12, v14, v12, v14
	v_cmp_class_f32_e64 s[2:3], v14, s22
	v_trunc_f32_e32 v15, v33
	v_cndmask_b32_e64 v12, v12, v14, s[2:3]
	v_cndmask_b32_e64 v14, v32, 1.0, s[0:1]
	v_cmp_eq_f32_e64 s[0:1], v15, v33
	v_mul_f32_e32 v15, 0.5, v33
	v_trunc_f32_e32 v16, v15
	v_cmp_neq_f32_e64 s[2:3], v16, v15
	s_and_b64 s[2:3], s[0:1], s[2:3]
	v_cndmask_b32_e64 v15, 1.0, v14, s[2:3]
	v_bfi_b32 v12, s27, v12, v15
	v_cndmask_b32_e64 v15, v8, v12, s[0:1]
	v_cmp_gt_f32_e64 s[0:1], 0, v14
	v_cndmask_b32_e64 v12, v12, v15, s[0:1]
	v_cndmask_b32_e64 v15, |v0|, 1.0, vcc
	v_cmp_neq_f32_e32 vcc, v33, v15
	v_cmp_gt_f32_e64 s[0:1], 1.0, v34
	s_xor_b64 s[0:1], vcc, s[0:1]
	v_cndmask_b32_e64 v16, v15, 0, s[0:1]
	v_cmp_eq_f32_e32 vcc, 1.0, v34
	v_cmp_eq_f32_e64 s[0:1], 0, v14
	v_cmp_gt_f32_e64 s[4:5], 0, v33
	v_cndmask_b32_e32 v16, v16, v34, vcc
	v_cmp_eq_f32_e32 vcc, s23, v15
	s_xor_b64 s[4:5], s[4:5], s[0:1]
	v_cndmask_b32_e32 v12, v12, v16, vcc
	v_cmp_eq_f32_e32 vcc, s23, v34
	v_cndmask_b32_e64 v15, v7, 0, s[4:5]
	v_cndmask_b32_e64 v16, 0, v14, s[2:3]
	v_bfi_b32 v15, s27, v15, v16
	s_or_b64 vcc, vcc, s[0:1]
	v_cndmask_b32_e32 v12, v12, v15, vcc
	v_cmp_o_f32_e32 vcc, v14, v33
	v_cndmask_b32_e32 v12, v8, v12, vcc
	v_cvt_f16_f32_e32 v14, v12
	v_pack_b32_f16 v12, v13, v30
	v_cmp_le_i64_e32 vcc, s[20:21], v[2:3]
	v_cmp_lt_u64_e64 s[0:1], s[14:15], v[2:3]
	v_pack_b32_f16 v13, v31, v14
	global_store_dwordx2 v[4:5], v[12:13], off offset:-4
	s_or_b64 s[0:1], vcc, s[0:1]
	v_add_co_u32_e32 v4, vcc, s16, v4
	v_addc_co_u32_e32 v5, vcc, v5, v9, vcc
	s_and_b64 s[0:1], exec, s[0:1]
	v_add_co_u32_e32 v2, vcc, s17, v2
	s_or_b64 s[12:13], s[0:1], s[12:13]
	v_addc_co_u32_e32 v3, vcc, v3, v10, vcc
	s_andn2_b64 exec, exec, s[12:13]
	s_cbranch_execnz .LBB59_24
.LBB59_25:
	s_endpgm
	.section	.rodata,"a",@progbits
	.p2align	6, 0x0
	.amdhsa_kernel _ZN2at6native12_GLOBAL__N_125multi_tensor_apply_kernelINS1_18TensorListMetadataILi1EEENS1_21BinaryOpScalarFunctorIN3c104HalfELi1ELi1ELi0EEEJNS1_13power_functorIfEEfEEEvT_T0_DpT1_
		.amdhsa_group_segment_fixed_size 0
		.amdhsa_private_segment_fixed_size 0
		.amdhsa_kernarg_size 3632
		.amdhsa_user_sgpr_count 6
		.amdhsa_user_sgpr_private_segment_buffer 1
		.amdhsa_user_sgpr_dispatch_ptr 0
		.amdhsa_user_sgpr_queue_ptr 0
		.amdhsa_user_sgpr_kernarg_segment_ptr 1
		.amdhsa_user_sgpr_dispatch_id 0
		.amdhsa_user_sgpr_flat_scratch_init 0
		.amdhsa_user_sgpr_kernarg_preload_length 0
		.amdhsa_user_sgpr_kernarg_preload_offset 0
		.amdhsa_user_sgpr_private_segment_size 0
		.amdhsa_uses_dynamic_stack 0
		.amdhsa_system_sgpr_private_segment_wavefront_offset 0
		.amdhsa_system_sgpr_workgroup_id_x 1
		.amdhsa_system_sgpr_workgroup_id_y 0
		.amdhsa_system_sgpr_workgroup_id_z 0
		.amdhsa_system_sgpr_workgroup_info 0
		.amdhsa_system_vgpr_workitem_id 0
		.amdhsa_next_free_vgpr 39
		.amdhsa_next_free_sgpr 48
		.amdhsa_accum_offset 40
		.amdhsa_reserve_vcc 1
		.amdhsa_reserve_flat_scratch 0
		.amdhsa_float_round_mode_32 0
		.amdhsa_float_round_mode_16_64 0
		.amdhsa_float_denorm_mode_32 3
		.amdhsa_float_denorm_mode_16_64 3
		.amdhsa_dx10_clamp 1
		.amdhsa_ieee_mode 1
		.amdhsa_fp16_overflow 0
		.amdhsa_tg_split 0
		.amdhsa_exception_fp_ieee_invalid_op 0
		.amdhsa_exception_fp_denorm_src 0
		.amdhsa_exception_fp_ieee_div_zero 0
		.amdhsa_exception_fp_ieee_overflow 0
		.amdhsa_exception_fp_ieee_underflow 0
		.amdhsa_exception_fp_ieee_inexact 0
		.amdhsa_exception_int_div_zero 0
	.end_amdhsa_kernel
	.section	.text._ZN2at6native12_GLOBAL__N_125multi_tensor_apply_kernelINS1_18TensorListMetadataILi1EEENS1_21BinaryOpScalarFunctorIN3c104HalfELi1ELi1ELi0EEEJNS1_13power_functorIfEEfEEEvT_T0_DpT1_,"axG",@progbits,_ZN2at6native12_GLOBAL__N_125multi_tensor_apply_kernelINS1_18TensorListMetadataILi1EEENS1_21BinaryOpScalarFunctorIN3c104HalfELi1ELi1ELi0EEEJNS1_13power_functorIfEEfEEEvT_T0_DpT1_,comdat
.Lfunc_end59:
	.size	_ZN2at6native12_GLOBAL__N_125multi_tensor_apply_kernelINS1_18TensorListMetadataILi1EEENS1_21BinaryOpScalarFunctorIN3c104HalfELi1ELi1ELi0EEEJNS1_13power_functorIfEEfEEEvT_T0_DpT1_, .Lfunc_end59-_ZN2at6native12_GLOBAL__N_125multi_tensor_apply_kernelINS1_18TensorListMetadataILi1EEENS1_21BinaryOpScalarFunctorIN3c104HalfELi1ELi1ELi0EEEJNS1_13power_functorIfEEfEEEvT_T0_DpT1_
                                        ; -- End function
	.section	.AMDGPU.csdata,"",@progbits
; Kernel info:
; codeLenInByte = 9612
; NumSgprs: 52
; NumVgprs: 39
; NumAgprs: 0
; TotalNumVgprs: 39
; ScratchSize: 0
; MemoryBound: 0
; FloatMode: 240
; IeeeMode: 1
; LDSByteSize: 0 bytes/workgroup (compile time only)
; SGPRBlocks: 6
; VGPRBlocks: 4
; NumSGPRsForWavesPerEU: 52
; NumVGPRsForWavesPerEU: 39
; AccumOffset: 40
; Occupancy: 8
; WaveLimiterHint : 0
; COMPUTE_PGM_RSRC2:SCRATCH_EN: 0
; COMPUTE_PGM_RSRC2:USER_SGPR: 6
; COMPUTE_PGM_RSRC2:TRAP_HANDLER: 0
; COMPUTE_PGM_RSRC2:TGID_X_EN: 1
; COMPUTE_PGM_RSRC2:TGID_Y_EN: 0
; COMPUTE_PGM_RSRC2:TGID_Z_EN: 0
; COMPUTE_PGM_RSRC2:TIDIG_COMP_CNT: 0
; COMPUTE_PGM_RSRC3_GFX90A:ACCUM_OFFSET: 9
; COMPUTE_PGM_RSRC3_GFX90A:TG_SPLIT: 0
	.section	.text._ZN2at6native12_GLOBAL__N_125multi_tensor_apply_kernelINS1_18TensorListMetadataILi1EEENS1_21BinaryOpScalarFunctorIN3c108BFloat16ELi1ELi1ELi0EEEJNS1_13power_functorIfEEfEEEvT_T0_DpT1_,"axG",@progbits,_ZN2at6native12_GLOBAL__N_125multi_tensor_apply_kernelINS1_18TensorListMetadataILi1EEENS1_21BinaryOpScalarFunctorIN3c108BFloat16ELi1ELi1ELi0EEEJNS1_13power_functorIfEEfEEEvT_T0_DpT1_,comdat
	.globl	_ZN2at6native12_GLOBAL__N_125multi_tensor_apply_kernelINS1_18TensorListMetadataILi1EEENS1_21BinaryOpScalarFunctorIN3c108BFloat16ELi1ELi1ELi0EEEJNS1_13power_functorIfEEfEEEvT_T0_DpT1_ ; -- Begin function _ZN2at6native12_GLOBAL__N_125multi_tensor_apply_kernelINS1_18TensorListMetadataILi1EEENS1_21BinaryOpScalarFunctorIN3c108BFloat16ELi1ELi1ELi0EEEJNS1_13power_functorIfEEfEEEvT_T0_DpT1_
	.p2align	8
	.type	_ZN2at6native12_GLOBAL__N_125multi_tensor_apply_kernelINS1_18TensorListMetadataILi1EEENS1_21BinaryOpScalarFunctorIN3c108BFloat16ELi1ELi1ELi0EEEJNS1_13power_functorIfEEfEEEvT_T0_DpT1_,@function
_ZN2at6native12_GLOBAL__N_125multi_tensor_apply_kernelINS1_18TensorListMetadataILi1EEENS1_21BinaryOpScalarFunctorIN3c108BFloat16ELi1ELi1ELi0EEEJNS1_13power_functorIfEEfEEEvT_T0_DpT1_: ; @_ZN2at6native12_GLOBAL__N_125multi_tensor_apply_kernelINS1_18TensorListMetadataILi1EEENS1_21BinaryOpScalarFunctorIN3c108BFloat16ELi1ELi1ELi0EEEJNS1_13power_functorIfEEfEEEvT_T0_DpT1_
; %bb.0:
	v_mov_b32_e32 v1, s6
	global_load_ubyte v1, v1, s[4:5] offset:1760
	s_add_u32 s0, s4, s6
	s_mul_hi_u32 s1, s6, 3
	s_mul_i32 s6, s6, 3
	s_addc_u32 s2, s5, 0
	s_add_u32 s0, s0, s6
	s_addc_u32 s1, s2, s1
	s_load_dword s0, s[0:1], 0x820
	s_mov_b32 s7, 0
	s_waitcnt vmcnt(0)
	v_readfirstlane_b32 s1, v1
	s_lshl_b32 s1, s1, 3
	s_load_dword s30, s[4:5], 0xd2c
	s_load_dwordx2 s[2:3], s[4:5], s1 offset:0x370
	s_load_dwordx2 s[22:23], s[4:5], s1 offset:0x0
	s_waitcnt lgkmcnt(0)
	s_ashr_i32 s1, s0, 31
	s_lshl_b64 s[24:25], s[0:1], 17
	s_lshl_b64 s[0:1], s[0:1], 16
	s_and_b32 s6, s22, 7
	s_sub_u32 s20, s2, s0
	s_subb_u32 s21, s3, s1
	s_and_b32 s0, s2, 3
	s_mov_b32 s1, s7
	s_or_b64 s[0:1], s[6:7], s[0:1]
	s_cmp_eq_u64 s[0:1], 0
	s_cbranch_scc1 .LBB60_21
; %bb.1:
	v_cmp_lt_i64_e64 s[0:1], s[20:21], 1
	s_and_b64 vcc, exec, s[0:1]
	s_cbranch_vccnz .LBB60_20
; %bb.2:
	s_load_dword s0, s[4:5], 0xd3c
	v_mov_b32_e32 v2, 0x10000
	v_mov_b32_e32 v3, 0
	v_cmp_lt_u64_e32 vcc, s[20:21], v[2:3]
	v_lshlrev_b32_e32 v1, 1, v0
	s_waitcnt lgkmcnt(0)
	s_and_b32 s2, s0, 0xffff
	s_and_b64 s[0:1], vcc, exec
	s_cselect_b32 s27, s21, 0
	s_cselect_b32 s26, s20, 0x10000
	s_lshl_b32 s3, s2, 1
	s_lshl_b32 s38, s2, 2
	s_add_u32 s6, s22, s24
	s_addc_u32 s7, s23, s25
	v_mov_b32_e32 v3, s7
	v_add_co_u32_e32 v2, vcc, s6, v1
	s_mul_i32 s0, s2, 3
	v_addc_co_u32_e32 v3, vcc, 0, v3, vcc
	v_add_co_u32_e32 v1, vcc, s0, v0
	v_addc_co_u32_e64 v8, s[0:1], 0, 0, vcc
	v_add_co_u32_e32 v9, vcc, s3, v0
	v_addc_co_u32_e64 v10, s[0:1], 0, 0, vcc
	v_add_co_u32_e32 v11, vcc, s2, v0
	v_lshlrev_b32_e32 v4, 1, v11
	s_mov_b32 s33, 0
	v_addc_co_u32_e64 v12, s[0:1], 0, 0, vcc
	v_mov_b32_e32 v5, s7
	v_add_co_u32_e32 v4, vcc, s6, v4
	s_mov_b32 s34, 0x31739010
	s_lshl_b32 s39, s2, 3
	s_mov_b32 s40, s33
	s_mul_i32 s41, s2, 6
	s_mov_b32 s42, s33
	v_addc_co_u32_e32 v5, vcc, 0, v5, vcc
	s_mov_b64 s[28:29], 0
	s_mov_b32 s43, 0x7f800000
	s_brev_b32 s44, -2
	s_mov_b32 s45, 0x3f2aaaab
	s_mov_b32 s46, 0x3f317218
	v_mov_b32_e32 v13, 0x3ecccdef
	s_mov_b32 s31, 0x3f2aaaaa
	s_mov_b32 s35, 0xbf2aaaaa
	s_movk_i32 s47, 0x204
	s_mov_b32 s48, 0x42b17218
	s_mov_b32 s49, 0x3fb8aa3b
	;; [unrolled: 1-line block ×3, first 2 shown]
	s_movk_i32 s51, 0x7fff
	v_mov_b32_e32 v14, 0x7f800000
	v_mov_b32_e32 v15, 0x37000000
	v_mov_b32_e32 v16, 0x7fc00000
	v_mov_b32_e32 v17, 0x7fc0
	v_mov_b32_e32 v7, 0x3f2aaaaa
	s_branch .LBB60_4
.LBB60_3:                               ;   in Loop: Header=BB60_4 Depth=1
	s_or_b64 exec, exec, s[8:9]
	s_add_u32 s28, s28, s38
	s_addc_u32 s29, s29, 0
	s_waitcnt vmcnt(0)
	v_pk_mov_b32 v[18:19], s[20:21], s[20:21] op_sel:[0,1]
	v_cmp_lt_i64_e32 vcc, s[28:29], v[18:19]
	v_mov_b32_e32 v18, 0x10000
	v_mov_b32_e32 v19, 0
	v_cmp_lt_u64_e64 s[0:1], s[28:29], v[18:19]
	s_and_b64 s[0:1], vcc, s[0:1]
	v_mov_b32_e32 v6, s40
	v_add_co_u32_e32 v2, vcc, s39, v2
	v_addc_co_u32_e32 v3, vcc, v3, v6, vcc
	v_add_co_u32_e32 v4, vcc, s39, v4
	v_addc_co_u32_e32 v5, vcc, v5, v6, vcc
	s_and_b64 vcc, exec, s[0:1]
	s_cbranch_vccz .LBB60_20
.LBB60_4:                               ; =>This Inner Loop Header: Depth=1
	v_mov_b32_e32 v6, s29
	v_add_co_u32_e32 v18, vcc, s28, v0
	v_addc_co_u32_e32 v19, vcc, 0, v6, vcc
	v_cmp_gt_u64_e64 s[6:7], s[26:27], v[18:19]
	v_mov_b32_e32 v20, 0
	s_and_saveexec_b64 s[0:1], s[6:7]
	s_cbranch_execz .LBB60_6
; %bb.5:                                ;   in Loop: Header=BB60_4 Depth=1
	global_load_ushort v20, v[2:3], off
.LBB60_6:                               ;   in Loop: Header=BB60_4 Depth=1
	s_or_b64 exec, exec, s[0:1]
	v_mov_b32_e32 v6, s29
	v_add_co_u32_e32 v18, vcc, s28, v11
	v_addc_co_u32_e32 v19, vcc, v12, v6, vcc
	v_cmp_gt_u64_e64 s[2:3], s[26:27], v[18:19]
	v_mov_b32_e32 v6, 0
	s_and_saveexec_b64 s[0:1], s[2:3]
	s_cbranch_execz .LBB60_8
; %bb.7:                                ;   in Loop: Header=BB60_4 Depth=1
	global_load_ushort v6, v[4:5], off
.LBB60_8:                               ;   in Loop: Header=BB60_4 Depth=1
	s_or_b64 exec, exec, s[0:1]
	v_mov_b32_e32 v19, s29
	v_add_co_u32_e32 v18, vcc, s28, v9
	v_addc_co_u32_e32 v19, vcc, v10, v19, vcc
	v_cmp_gt_u64_e64 s[0:1], s[26:27], v[18:19]
	v_mov_b32_e32 v18, 0
	v_mov_b32_e32 v19, 0
	s_and_saveexec_b64 s[8:9], s[0:1]
	s_cbranch_execz .LBB60_10
; %bb.9:                                ;   in Loop: Header=BB60_4 Depth=1
	v_mov_b32_e32 v19, s33
	v_add_co_u32_e32 v22, vcc, s38, v2
	v_addc_co_u32_e32 v23, vcc, v3, v19, vcc
	global_load_ushort v19, v[22:23], off
.LBB60_10:                              ;   in Loop: Header=BB60_4 Depth=1
	s_or_b64 exec, exec, s[8:9]
	v_mov_b32_e32 v21, s29
	v_add_co_u32_e32 v22, vcc, s28, v1
	v_addc_co_u32_e32 v23, vcc, v8, v21, vcc
	v_cmp_gt_u64_e32 vcc, s[26:27], v[22:23]
	s_and_saveexec_b64 s[10:11], vcc
	s_cbranch_execnz .LBB60_15
; %bb.11:                               ;   in Loop: Header=BB60_4 Depth=1
	s_or_b64 exec, exec, s[10:11]
	s_and_saveexec_b64 s[36:37], s[6:7]
	s_cbranch_execnz .LBB60_16
.LBB60_12:                              ;   in Loop: Header=BB60_4 Depth=1
	s_or_b64 exec, exec, s[36:37]
	s_and_saveexec_b64 s[12:13], s[2:3]
	s_cbranch_execnz .LBB60_17
.LBB60_13:                              ;   in Loop: Header=BB60_4 Depth=1
	s_or_b64 exec, exec, s[12:13]
	s_and_saveexec_b64 s[10:11], s[0:1]
	s_cbranch_execnz .LBB60_18
.LBB60_14:                              ;   in Loop: Header=BB60_4 Depth=1
	s_or_b64 exec, exec, s[10:11]
	s_and_saveexec_b64 s[8:9], vcc
	s_cbranch_execz .LBB60_3
	s_branch .LBB60_19
.LBB60_15:                              ;   in Loop: Header=BB60_4 Depth=1
	v_mov_b32_e32 v18, s42
	v_add_co_u32_e64 v22, s[8:9], s41, v2
	v_addc_co_u32_e64 v23, s[8:9], v3, v18, s[8:9]
	global_load_ushort v18, v[22:23], off
	s_or_b64 exec, exec, s[10:11]
	s_and_saveexec_b64 s[36:37], s[6:7]
	s_cbranch_execz .LBB60_12
.LBB60_16:                              ;   in Loop: Header=BB60_4 Depth=1
	s_waitcnt vmcnt(0)
	v_lshlrev_b32_e32 v20, 16, v20
	v_mov_b32_e32 v22, s30
	v_cmp_eq_f32_e64 s[14:15], 1.0, v20
	v_cndmask_b32_e64 v36, v22, 1.0, s[14:15]
	v_cmp_eq_f32_e64 s[6:7], 0, v36
	v_cndmask_b32_e64 v37, v20, 1.0, s[6:7]
	v_cmp_eq_f32_e64 s[8:9], 0, v37
	v_cmp_gt_f32_e64 s[10:11], 0, v36
	s_xor_b64 s[10:11], s[10:11], s[8:9]
	v_trunc_f32_e32 v21, v36
	v_cndmask_b32_e64 v38, |v20|, 1.0, s[6:7]
	v_cndmask_b32_e64 v20, v14, 0, s[10:11]
	v_cmp_eq_f32_e64 s[10:11], v21, v36
	v_mul_f32_e32 v21, 0.5, v36
	v_trunc_f32_e32 v23, v21
	v_cmp_neq_f32_e64 s[12:13], v23, v21
	s_and_b64 s[12:13], s[10:11], s[12:13]
	v_cndmask_b32_e64 v21, 0, v37, s[12:13]
	v_bfi_b32 v39, s44, v20, v21
	v_cvt_f64_f32_e32 v[20:21], v38
	v_frexp_exp_i32_f64_e32 v20, v[20:21]
	v_frexp_mant_f32_e32 v21, v38
	v_cmp_gt_f32_e64 s[18:19], s45, v21
	v_subbrev_co_u32_e64 v20, s[16:17], 0, v20, s[18:19]
	v_cvt_f32_i32_e32 v23, v20
	v_cndmask_b32_e64 v40, |v22|, 1.0, s[14:15]
	v_cmp_neq_f32_e64 s[14:15], v36, v40
	v_cmp_gt_f32_e64 s[16:17], 1.0, v38
	v_mul_f32_e32 v20, 0x3f317218, v23
	v_fma_f32 v22, v23, s46, -v20
	v_fmac_f32_e32 v22, 0xb102e308, v23
	v_cndmask_b32_e64 v23, 1.0, 2.0, s[18:19]
	v_mul_f32_e32 v21, v21, v23
	v_add_f32_e32 v23, 1.0, v21
	v_rcp_f32_e32 v32, v23
	v_add_f32_e32 v24, -1.0, v23
	v_add_f32_e32 v25, -1.0, v21
	v_sub_f32_e32 v24, v21, v24
	v_mul_f32_e32 v21, v25, v32
	v_mul_f32_e32 v26, v23, v21
	v_fma_f32 v28, v21, v23, -v26
	v_fmac_f32_e32 v28, v21, v24
	v_add_f32_e32 v24, v26, v28
	v_sub_f32_e32 v27, v25, v24
	v_pk_add_f32 v[30:31], v[24:25], v[26:27] neg_lo:[0,1] neg_hi:[0,1]
	v_mov_b32_e32 v29, v24
	v_pk_add_f32 v[24:25], v[30:31], v[28:29] neg_lo:[0,1] neg_hi:[0,1]
	v_add_f32_e32 v23, v24, v25
	v_add_f32_e32 v23, v27, v23
	v_mul_f32_e32 v25, v32, v23
	v_add_f32_e32 v24, v21, v25
	v_sub_f32_e32 v21, v24, v21
	v_mul_f32_e32 v27, v24, v24
	v_sub_f32_e32 v34, v25, v21
	v_add_f32_e32 v21, v34, v34
	v_fma_f32 v25, v24, v24, -v27
	v_fmac_f32_e32 v25, v24, v21
	v_add_f32_e32 v26, v27, v25
	v_sub_f32_e32 v21, v26, v27
	v_sub_f32_e32 v21, v25, v21
	v_mov_b32_e32 v25, 0x3e91f4c4
	v_fmac_f32_e32 v25, 0x3e76c4e1, v26
	v_fma_f32 v25, v26, v25, v13
	v_mul_f32_e32 v27, v26, v25
	v_fma_f32 v28, v26, v25, -v27
	v_fmac_f32_e32 v28, v21, v25
	v_add_f32_e32 v30, v27, v28
	v_add_f32_e32 v29, 0x3f2aaaaa, v30
	v_sub_f32_e32 v25, v30, v27
	v_sub_f32_e32 v25, v28, v25
	v_add_f32_e32 v27, 0xbf2aaaaa, v29
	v_add_f32_e32 v25, 0x31739010, v25
	v_sub_f32_e32 v27, v30, v27
	v_pk_mul_f32 v[30:31], v[24:25], v[26:27]
	v_fma_f32 v28, v26, v24, -v30
	v_pk_add_f32 v[32:33], v[24:25], v[26:27]
	v_fmac_f32_e32 v28, v26, v34
	v_mov_b32_e32 v31, v33
	v_fmac_f32_e32 v28, v21, v24
	v_ldexp_f32 v23, v24, 1
	v_pk_add_f32 v[24:25], v[30:31], v[28:29]
	v_mov_b32_e32 v26, v25
	v_pk_mul_f32 v[26:27], v[24:25], v[26:27]
	v_sub_f32_e32 v21, v24, v30
	v_sub_f32_e32 v27, v29, v25
	;; [unrolled: 1-line block ×3, first 2 shown]
	v_add_f32_e32 v27, v33, v27
	v_fma_f32 v28, v24, v25, -v26
	v_fmac_f32_e32 v28, v24, v27
	v_fmac_f32_e32 v28, v21, v25
	v_add_f32_e32 v21, v26, v28
	v_pk_add_f32 v[24:25], v[20:21], v[22:23]
	v_mov_b32_e32 v30, v21
	v_mov_b32_e32 v31, v25
	v_mov_b32_e32 v27, v23
	v_pk_add_f32 v[26:27], v[30:31], v[26:27] neg_lo:[0,1] neg_hi:[0,1]
	v_mov_b32_e32 v29, v21
	v_ldexp_f32 v32, v34, 1
	v_pk_add_f32 v[26:27], v[28:29], v[26:27] neg_lo:[0,1] neg_hi:[0,1]
	v_add_f32_e32 v21, v32, v26
	v_add_f32_e32 v21, v21, v27
	v_pk_add_f32 v[26:27], v[24:25], v[20:21] neg_lo:[0,1] neg_hi:[0,1]
	v_pk_add_f32 v[28:29], v[24:25], v[20:21]
	v_mov_b32_e32 v30, v26
	v_mov_b32_e32 v31, v29
	;; [unrolled: 1-line block ×3, first 2 shown]
	v_pk_add_f32 v[30:31], v[22:23], v[30:31]
	v_mov_b32_e32 v20, v31
	v_pk_add_f32 v[32:33], v[20:21], v[24:25] neg_lo:[0,1] neg_hi:[0,1]
	v_mov_b32_e32 v33, v32
	v_mov_b32_e32 v30, v29
	;; [unrolled: 1-line block ×4, first 2 shown]
	v_pk_add_f32 v[26:27], v[22:23], v[26:27] neg_lo:[0,1] neg_hi:[0,1]
	v_pk_add_f32 v[34:35], v[28:29], v[32:33] neg_lo:[0,1] neg_hi:[0,1]
	;; [unrolled: 1-line block ×3, first 2 shown]
	v_mov_b32_e32 v22, v21
	v_pk_add_f32 v[22:23], v[22:23], v[24:25] neg_lo:[0,1] neg_hi:[0,1]
	v_mov_b32_e32 v34, v26
	v_pk_add_f32 v[24:25], v[34:35], v[22:23]
	v_mov_b32_e32 v28, v25
	v_pk_add_f32 v[28:29], v[24:25], v[28:29]
	v_pk_add_f32 v[20:21], v[20:21], v[28:29]
	v_mov_b32_e32 v27, v31
	v_mov_b32_e32 v25, v20
	v_pk_add_f32 v[30:31], v[24:25], v[26:27] neg_lo:[0,1] neg_hi:[0,1]
	v_mov_b32_e32 v23, v28
	v_sub_f32_e32 v21, v24, v30
	v_pk_add_f32 v[22:23], v[22:23], v[30:31] neg_lo:[0,1] neg_hi:[0,1]
	v_sub_f32_e32 v21, v26, v21
	v_add_f32_e32 v21, v22, v21
	v_add_f32_e32 v21, v21, v23
	;; [unrolled: 1-line block ×3, first 2 shown]
	v_mul_f32_e32 v23, v36, v22
	v_sub_f32_e32 v20, v22, v20
	v_sub_f32_e32 v20, v21, v20
	v_fma_f32 v21, v36, v22, -v23
	v_fmac_f32_e32 v21, v36, v20
	v_add_f32_e32 v20, v23, v21
	v_cmp_class_f32_e64 s[18:19], v23, s47
	v_cndmask_b32_e64 v22, v20, v23, s[18:19]
	v_cmp_eq_f32_e64 s[18:19], s48, v22
	v_cndmask_b32_e64 v24, 0, v15, s[18:19]
	v_sub_f32_e32 v25, v22, v24
	v_mul_f32_e32 v26, 0x3fb8aa3b, v25
	v_fma_f32 v27, v25, s49, -v26
	v_rndne_f32_e32 v28, v26
	v_fmac_f32_e32 v27, 0x32a5705f, v25
	v_sub_f32_e32 v26, v26, v28
	v_add_f32_e32 v26, v26, v27
	v_exp_f32_e32 v26, v26
	v_cvt_i32_f32_e32 v27, v28
	s_xor_b64 s[14:15], s[14:15], s[16:17]
	v_cndmask_b32_e64 v28, v40, 0, s[14:15]
	v_cmp_eq_f32_e64 s[14:15], 1.0, v38
	v_cndmask_b32_e64 v28, v28, v38, s[14:15]
	v_ldexp_f32 v26, v26, v27
	v_cmp_ngt_f32_e64 s[14:15], s50, v25
	v_cndmask_b32_e64 v26, 0, v26, s[14:15]
	v_cmp_nlt_f32_e64 s[14:15], s48, v25
	v_sub_f32_e32 v20, v20, v23
	v_cndmask_b32_e64 v25, v14, v26, s[14:15]
	v_sub_f32_e32 v20, v21, v20
	v_cmp_neq_f32_e64 s[14:15], |v22|, s43
	v_cndmask_b32_e64 v20, 0, v20, s[14:15]
	v_add_f32_e32 v20, v24, v20
	v_fma_f32 v20, v25, v20, v25
	v_cmp_class_f32_e64 s[14:15], v25, s47
	v_cndmask_b32_e64 v20, v20, v25, s[14:15]
	v_cndmask_b32_e64 v21, 1.0, v37, s[12:13]
	v_bfi_b32 v20, s44, v20, v21
	v_cndmask_b32_e64 v21, v16, v20, s[10:11]
	v_cmp_gt_f32_e64 s[10:11], 0, v37
	v_cmp_eq_f32_e64 s[6:7], s43, v38
	v_cndmask_b32_e64 v20, v20, v21, s[10:11]
	v_cmp_eq_f32_e64 s[10:11], s43, v40
	v_cndmask_b32_e64 v20, v20, v28, s[10:11]
	s_or_b64 s[6:7], s[6:7], s[8:9]
	v_cndmask_b32_e64 v20, v20, v39, s[6:7]
	v_cmp_o_f32_e64 s[6:7], v37, v36
	v_cndmask_b32_e64 v20, v16, v20, s[6:7]
	v_bfe_u32 v21, v20, 16, 1
	v_add3_u32 v21, v20, v21, s51
	v_lshrrev_b32_e32 v21, 16, v21
	v_cmp_o_f32_e64 s[6:7], v20, v20
	v_cndmask_b32_e64 v20, v17, v21, s[6:7]
	global_store_short v[2:3], v20, off
	s_or_b64 exec, exec, s[36:37]
	s_and_saveexec_b64 s[12:13], s[2:3]
	s_cbranch_execz .LBB60_13
.LBB60_17:                              ;   in Loop: Header=BB60_4 Depth=1
	s_waitcnt vmcnt(0)
	v_lshlrev_b32_e32 v36, 16, v6
	v_mov_b32_e32 v37, s30
	v_cmp_eq_f32_e64 s[2:3], 1.0, v36
	v_cndmask_b32_e64 v38, v37, 1.0, s[2:3]
	v_cmp_eq_f32_e64 s[6:7], 0, v38
	v_cndmask_b32_e64 v39, |v36|, 1.0, s[6:7]
	v_frexp_mant_f32_e32 v6, v39
	v_cmp_gt_f32_e64 s[8:9], s45, v6
	v_cndmask_b32_e64 v20, 1.0, 2.0, s[8:9]
	v_mul_f32_e32 v6, v6, v20
	v_add_f32_e32 v20, 1.0, v6
	v_rcp_f32_e32 v28, v20
	v_add_f32_e32 v21, -1.0, v20
	v_sub_f32_e32 v23, v6, v21
	v_add_f32_e32 v21, -1.0, v6
	v_mul_f32_e32 v6, v21, v28
	v_mul_f32_e32 v22, v20, v6
	v_fma_f32 v24, v6, v20, -v22
	v_fmac_f32_e32 v24, v6, v23
	v_add_f32_e32 v20, v22, v24
	v_sub_f32_e32 v23, v21, v20
	v_pk_add_f32 v[26:27], v[20:21], v[22:23] neg_lo:[0,1] neg_hi:[0,1]
	v_mov_b32_e32 v25, v20
	v_pk_add_f32 v[20:21], v[26:27], v[24:25] neg_lo:[0,1] neg_hi:[0,1]
	v_add_f32_e32 v20, v20, v21
	v_add_f32_e32 v20, v23, v20
	v_mul_f32_e32 v21, v28, v20
	v_add_f32_e32 v20, v6, v21
	v_sub_f32_e32 v6, v20, v6
	v_sub_f32_e32 v32, v21, v6
	v_mul_f32_e32 v6, v20, v20
	v_fma_f32 v21, v20, v20, -v6
	v_add_f32_e32 v22, v32, v32
	v_fmac_f32_e32 v21, v20, v22
	v_add_f32_e32 v22, v6, v21
	v_mov_b32_e32 v23, 0x3e91f4c4
	v_fmac_f32_e32 v23, 0x3e76c4e1, v22
	v_fma_f32 v23, v22, v23, v13
	v_sub_f32_e32 v6, v22, v6
	v_sub_f32_e32 v33, v21, v6
	v_mul_f32_e32 v21, v22, v23
	v_fma_f32 v6, v22, v23, -v21
	v_fmac_f32_e32 v6, v33, v23
	v_add_f32_e32 v25, v21, v6
	v_sub_f32_e32 v24, v25, v21
	v_pk_add_f32 v[26:27], v[6:7], v[24:25] neg_lo:[0,1] neg_hi:[0,1]
	v_pk_add_f32 v[28:29], v[24:25], s[30:31]
	v_mov_b32_e32 v27, v29
	v_pk_add_f32 v[30:31], v[26:27], s[34:35]
	v_sub_f32_e32 v23, v25, v31
	v_mov_b32_e32 v21, v30
	v_pk_mul_f32 v[24:25], v[20:21], v[22:23]
	v_fma_f32 v26, v22, v20, -v24
	v_pk_add_f32 v[30:31], v[20:21], v[22:23]
	v_fmac_f32_e32 v26, v22, v32
	v_mov_b32_e32 v25, v31
	v_fmac_f32_e32 v26, v33, v20
	v_pk_add_f32 v[22:23], v[24:25], v[26:27]
	v_sub_f32_e32 v6, v22, v24
	v_sub_f32_e32 v21, v26, v6
	;; [unrolled: 1-line block ×3, first 2 shown]
	v_add_f32_e32 v28, v31, v6
	v_mov_b32_e32 v6, v23
	v_cvt_f64_f32_e32 v[26:27], v39
	v_pk_mul_f32 v[24:25], v[22:23], v[6:7]
	v_frexp_exp_i32_f64_e32 v6, v[26:27]
	v_subbrev_co_u32_e64 v6, s[8:9], 0, v6, s[8:9]
	v_cvt_f32_i32_e32 v6, v6
	v_fma_f32 v26, v22, v23, -v24
	v_fmac_f32_e32 v26, v22, v28
	v_fmac_f32_e32 v26, v21, v23
	v_mul_f32_e32 v22, 0x3f317218, v6
	v_fma_f32 v28, v6, s46, -v22
	v_fmac_f32_e32 v28, 0xb102e308, v6
	v_ldexp_f32 v29, v20, 1
	v_add_f32_e32 v23, v24, v26
	v_pk_add_f32 v[20:21], v[22:23], v[28:29]
	v_mov_b32_e32 v30, v23
	v_mov_b32_e32 v31, v21
	;; [unrolled: 1-line block ×3, first 2 shown]
	v_pk_add_f32 v[24:25], v[30:31], v[24:25] neg_lo:[0,1] neg_hi:[0,1]
	v_mov_b32_e32 v27, v23
	v_ldexp_f32 v6, v32, 1
	v_pk_add_f32 v[24:25], v[26:27], v[24:25] neg_lo:[0,1] neg_hi:[0,1]
	v_add_f32_e32 v6, v6, v24
	v_add_f32_e32 v23, v6, v25
	v_pk_add_f32 v[24:25], v[20:21], v[22:23] neg_lo:[0,1] neg_hi:[0,1]
	v_pk_add_f32 v[26:27], v[20:21], v[22:23]
	v_mov_b32_e32 v30, v24
	v_mov_b32_e32 v31, v27
	;; [unrolled: 1-line block ×3, first 2 shown]
	v_pk_add_f32 v[30:31], v[28:29], v[30:31]
	v_mov_b32_e32 v6, v31
	v_pk_add_f32 v[32:33], v[6:7], v[20:21] neg_lo:[0,1] neg_hi:[0,1]
	v_mov_b32_e32 v33, v32
	v_mov_b32_e32 v30, v27
	;; [unrolled: 1-line block ×4, first 2 shown]
	v_pk_add_f32 v[24:25], v[28:29], v[24:25] neg_lo:[0,1] neg_hi:[0,1]
	v_pk_add_f32 v[34:35], v[26:27], v[32:33] neg_lo:[0,1] neg_hi:[0,1]
	;; [unrolled: 1-line block ×3, first 2 shown]
	v_mov_b32_e32 v28, v23
	v_pk_add_f32 v[20:21], v[28:29], v[20:21] neg_lo:[0,1] neg_hi:[0,1]
	v_mov_b32_e32 v34, v24
	v_pk_add_f32 v[22:23], v[34:35], v[20:21]
	v_mov_b32_e32 v26, v23
	v_pk_add_f32 v[26:27], v[22:23], v[26:27]
	v_pk_add_f32 v[28:29], v[6:7], v[26:27]
	v_mov_b32_e32 v25, v31
	v_mov_b32_e32 v23, v28
	v_pk_add_f32 v[30:31], v[22:23], v[24:25] neg_lo:[0,1] neg_hi:[0,1]
	v_mov_b32_e32 v21, v26
	v_sub_f32_e32 v6, v22, v30
	v_pk_add_f32 v[20:21], v[20:21], v[30:31] neg_lo:[0,1] neg_hi:[0,1]
	v_sub_f32_e32 v6, v24, v6
	v_add_f32_e32 v6, v20, v6
	v_add_f32_e32 v6, v6, v21
	;; [unrolled: 1-line block ×3, first 2 shown]
	v_sub_f32_e32 v21, v20, v28
	v_sub_f32_e32 v6, v6, v21
	v_mul_f32_e32 v21, v38, v20
	v_fma_f32 v20, v38, v20, -v21
	v_fmac_f32_e32 v20, v38, v6
	v_add_f32_e32 v6, v21, v20
	v_cmp_class_f32_e64 s[8:9], v21, s47
	v_sub_f32_e32 v22, v6, v21
	v_cndmask_b32_e64 v6, v6, v21, s[8:9]
	v_cmp_eq_f32_e64 s[8:9], s48, v6
	v_cndmask_b32_e64 v21, 0, v15, s[8:9]
	v_sub_f32_e32 v20, v20, v22
	v_sub_f32_e32 v22, v6, v21
	v_mul_f32_e32 v23, 0x3fb8aa3b, v22
	v_fma_f32 v24, v22, s49, -v23
	v_rndne_f32_e32 v25, v23
	v_fmac_f32_e32 v24, 0x32a5705f, v22
	v_sub_f32_e32 v23, v23, v25
	v_add_f32_e32 v23, v23, v24
	v_exp_f32_e32 v23, v23
	v_cvt_i32_f32_e32 v24, v25
	v_cmp_neq_f32_e64 s[8:9], |v6|, s43
	v_cndmask_b32_e64 v6, 0, v20, s[8:9]
	v_cmp_ngt_f32_e64 s[8:9], s50, v22
	v_ldexp_f32 v20, v23, v24
	v_cndmask_b32_e64 v20, 0, v20, s[8:9]
	v_cmp_nlt_f32_e64 s[8:9], s48, v22
	v_add_f32_e32 v6, v21, v6
	v_cndmask_b32_e64 v20, v14, v20, s[8:9]
	v_fma_f32 v6, v20, v6, v20
	v_cmp_class_f32_e64 s[8:9], v20, s47
	v_trunc_f32_e32 v21, v38
	v_cndmask_b32_e64 v6, v6, v20, s[8:9]
	v_cndmask_b32_e64 v20, v36, 1.0, s[6:7]
	v_cmp_eq_f32_e64 s[6:7], v21, v38
	v_mul_f32_e32 v21, 0.5, v38
	v_trunc_f32_e32 v22, v21
	v_cmp_neq_f32_e64 s[8:9], v22, v21
	s_and_b64 s[8:9], s[6:7], s[8:9]
	v_cndmask_b32_e64 v21, 1.0, v20, s[8:9]
	v_bfi_b32 v6, s44, v6, v21
	v_cndmask_b32_e64 v21, v16, v6, s[6:7]
	v_cmp_gt_f32_e64 s[6:7], 0, v20
	v_cndmask_b32_e64 v6, v6, v21, s[6:7]
	v_cndmask_b32_e64 v21, |v37|, 1.0, s[2:3]
	v_cmp_neq_f32_e64 s[2:3], v38, v21
	v_cmp_gt_f32_e64 s[6:7], 1.0, v39
	s_xor_b64 s[2:3], s[2:3], s[6:7]
	v_cndmask_b32_e64 v22, v21, 0, s[2:3]
	v_cmp_eq_f32_e64 s[2:3], 1.0, v39
	v_cmp_eq_f32_e64 s[6:7], 0, v20
	v_cmp_gt_f32_e64 s[10:11], 0, v38
	v_cndmask_b32_e64 v22, v22, v39, s[2:3]
	v_cmp_eq_f32_e64 s[2:3], s43, v21
	s_xor_b64 s[10:11], s[10:11], s[6:7]
	v_cndmask_b32_e64 v6, v6, v22, s[2:3]
	v_cmp_eq_f32_e64 s[2:3], s43, v39
	v_cndmask_b32_e64 v21, v14, 0, s[10:11]
	v_cndmask_b32_e64 v22, 0, v20, s[8:9]
	v_bfi_b32 v21, s44, v21, v22
	s_or_b64 s[2:3], s[2:3], s[6:7]
	v_cndmask_b32_e64 v6, v6, v21, s[2:3]
	v_cmp_o_f32_e64 s[2:3], v20, v38
	v_cndmask_b32_e64 v6, v16, v6, s[2:3]
	v_bfe_u32 v20, v6, 16, 1
	v_add3_u32 v20, v6, v20, s51
	v_lshrrev_b32_e32 v20, 16, v20
	v_cmp_o_f32_e64 s[2:3], v6, v6
	v_cndmask_b32_e64 v6, v17, v20, s[2:3]
	global_store_short v[4:5], v6, off
	s_or_b64 exec, exec, s[12:13]
	s_and_saveexec_b64 s[10:11], s[0:1]
	s_cbranch_execz .LBB60_14
.LBB60_18:                              ;   in Loop: Header=BB60_4 Depth=1
	s_waitcnt vmcnt(0)
	v_lshlrev_b32_e32 v36, 16, v19
	v_mov_b32_e32 v37, s30
	v_cmp_eq_f32_e64 s[0:1], 1.0, v36
	v_cndmask_b32_e64 v38, v37, 1.0, s[0:1]
	v_cmp_eq_f32_e64 s[2:3], 0, v38
	v_cndmask_b32_e64 v39, |v36|, 1.0, s[2:3]
	v_frexp_mant_f32_e32 v6, v39
	v_cmp_gt_f32_e64 s[6:7], s45, v6
	v_cndmask_b32_e64 v19, 1.0, 2.0, s[6:7]
	v_mul_f32_e32 v6, v6, v19
	v_add_f32_e32 v19, 1.0, v6
	v_rcp_f32_e32 v28, v19
	v_add_f32_e32 v20, -1.0, v19
	v_add_f32_e32 v21, -1.0, v6
	v_sub_f32_e32 v20, v6, v20
	v_mul_f32_e32 v6, v21, v28
	v_mul_f32_e32 v22, v19, v6
	v_fma_f32 v24, v6, v19, -v22
	v_fmac_f32_e32 v24, v6, v20
	v_add_f32_e32 v20, v22, v24
	v_sub_f32_e32 v23, v21, v20
	v_pk_add_f32 v[26:27], v[20:21], v[22:23] neg_lo:[0,1] neg_hi:[0,1]
	v_mov_b32_e32 v25, v20
	v_pk_add_f32 v[20:21], v[26:27], v[24:25] neg_lo:[0,1] neg_hi:[0,1]
	v_add_f32_e32 v19, v20, v21
	v_add_f32_e32 v19, v23, v19
	v_mul_f32_e32 v19, v28, v19
	v_add_f32_e32 v20, v6, v19
	v_sub_f32_e32 v6, v20, v6
	v_sub_f32_e32 v19, v19, v6
	v_mul_f32_e32 v6, v20, v20
	v_fma_f32 v21, v20, v20, -v6
	v_add_f32_e32 v22, v19, v19
	v_fmac_f32_e32 v21, v20, v22
	v_add_f32_e32 v22, v6, v21
	v_mov_b32_e32 v23, 0x3e91f4c4
	v_fmac_f32_e32 v23, 0x3e76c4e1, v22
	v_fma_f32 v23, v22, v23, v13
	v_sub_f32_e32 v6, v22, v6
	v_sub_f32_e32 v32, v21, v6
	v_mul_f32_e32 v21, v22, v23
	v_fma_f32 v6, v22, v23, -v21
	v_fmac_f32_e32 v6, v32, v23
	v_add_f32_e32 v25, v21, v6
	v_sub_f32_e32 v24, v25, v21
	v_pk_add_f32 v[26:27], v[6:7], v[24:25] neg_lo:[0,1] neg_hi:[0,1]
	v_pk_add_f32 v[28:29], v[24:25], s[30:31]
	v_mov_b32_e32 v27, v29
	v_pk_add_f32 v[30:31], v[26:27], s[34:35]
	v_sub_f32_e32 v23, v25, v31
	v_mov_b32_e32 v21, v30
	v_pk_mul_f32 v[24:25], v[20:21], v[22:23]
	v_fma_f32 v26, v22, v20, -v24
	v_pk_add_f32 v[30:31], v[20:21], v[22:23]
	v_fmac_f32_e32 v26, v22, v19
	v_mov_b32_e32 v25, v31
	v_fmac_f32_e32 v26, v32, v20
	v_pk_add_f32 v[22:23], v[24:25], v[26:27]
	v_sub_f32_e32 v6, v22, v24
	v_sub_f32_e32 v21, v26, v6
	;; [unrolled: 1-line block ×3, first 2 shown]
	v_add_f32_e32 v28, v31, v6
	v_mov_b32_e32 v6, v23
	v_cvt_f64_f32_e32 v[26:27], v39
	v_pk_mul_f32 v[24:25], v[22:23], v[6:7]
	v_frexp_exp_i32_f64_e32 v6, v[26:27]
	v_subbrev_co_u32_e64 v6, s[6:7], 0, v6, s[6:7]
	v_cvt_f32_i32_e32 v6, v6
	v_fma_f32 v26, v22, v23, -v24
	v_fmac_f32_e32 v26, v22, v28
	v_fmac_f32_e32 v26, v21, v23
	v_mul_f32_e32 v22, 0x3f317218, v6
	v_fma_f32 v28, v6, s46, -v22
	v_fmac_f32_e32 v28, 0xb102e308, v6
	v_ldexp_f32 v29, v20, 1
	v_add_f32_e32 v23, v24, v26
	v_pk_add_f32 v[20:21], v[22:23], v[28:29]
	v_mov_b32_e32 v30, v23
	v_mov_b32_e32 v31, v21
	;; [unrolled: 1-line block ×3, first 2 shown]
	v_pk_add_f32 v[24:25], v[30:31], v[24:25] neg_lo:[0,1] neg_hi:[0,1]
	v_mov_b32_e32 v27, v23
	v_ldexp_f32 v6, v19, 1
	v_pk_add_f32 v[24:25], v[26:27], v[24:25] neg_lo:[0,1] neg_hi:[0,1]
	v_add_f32_e32 v6, v6, v24
	v_add_f32_e32 v23, v6, v25
	v_pk_add_f32 v[24:25], v[20:21], v[22:23] neg_lo:[0,1] neg_hi:[0,1]
	v_pk_add_f32 v[26:27], v[20:21], v[22:23]
	v_mov_b32_e32 v30, v24
	v_mov_b32_e32 v31, v27
	;; [unrolled: 1-line block ×3, first 2 shown]
	v_pk_add_f32 v[30:31], v[28:29], v[30:31]
	v_mov_b32_e32 v6, v31
	v_pk_add_f32 v[32:33], v[6:7], v[20:21] neg_lo:[0,1] neg_hi:[0,1]
	v_mov_b32_e32 v19, v32
	v_mov_b32_e32 v30, v27
	;; [unrolled: 1-line block ×4, first 2 shown]
	v_pk_add_f32 v[24:25], v[28:29], v[24:25] neg_lo:[0,1] neg_hi:[0,1]
	v_pk_add_f32 v[34:35], v[26:27], v[18:19] neg_lo:[0,1] neg_hi:[0,1]
	;; [unrolled: 1-line block ×3, first 2 shown]
	v_mov_b32_e32 v28, v23
	v_pk_add_f32 v[20:21], v[28:29], v[20:21] neg_lo:[0,1] neg_hi:[0,1]
	v_mov_b32_e32 v34, v24
	v_pk_add_f32 v[22:23], v[34:35], v[20:21]
	v_mov_b32_e32 v26, v23
	v_pk_add_f32 v[26:27], v[22:23], v[26:27]
	v_pk_add_f32 v[28:29], v[6:7], v[26:27]
	v_mov_b32_e32 v25, v31
	v_mov_b32_e32 v23, v28
	v_pk_add_f32 v[30:31], v[22:23], v[24:25] neg_lo:[0,1] neg_hi:[0,1]
	v_mov_b32_e32 v21, v26
	v_sub_f32_e32 v6, v22, v30
	v_pk_add_f32 v[20:21], v[20:21], v[30:31] neg_lo:[0,1] neg_hi:[0,1]
	v_sub_f32_e32 v6, v24, v6
	v_add_f32_e32 v6, v20, v6
	v_add_f32_e32 v6, v6, v21
	;; [unrolled: 1-line block ×3, first 2 shown]
	v_sub_f32_e32 v20, v19, v28
	v_sub_f32_e32 v6, v6, v20
	v_mul_f32_e32 v20, v38, v19
	v_fma_f32 v19, v38, v19, -v20
	v_fmac_f32_e32 v19, v38, v6
	v_add_f32_e32 v6, v20, v19
	v_cmp_class_f32_e64 s[6:7], v20, s47
	v_sub_f32_e32 v21, v6, v20
	v_cndmask_b32_e64 v6, v6, v20, s[6:7]
	v_cmp_eq_f32_e64 s[6:7], s48, v6
	v_cndmask_b32_e64 v20, 0, v15, s[6:7]
	v_sub_f32_e32 v19, v19, v21
	v_sub_f32_e32 v21, v6, v20
	v_mul_f32_e32 v22, 0x3fb8aa3b, v21
	v_fma_f32 v23, v21, s49, -v22
	v_rndne_f32_e32 v24, v22
	v_fmac_f32_e32 v23, 0x32a5705f, v21
	v_sub_f32_e32 v22, v22, v24
	v_add_f32_e32 v22, v22, v23
	v_exp_f32_e32 v22, v22
	v_cvt_i32_f32_e32 v23, v24
	v_cmp_neq_f32_e64 s[6:7], |v6|, s43
	v_cndmask_b32_e64 v6, 0, v19, s[6:7]
	v_cmp_ngt_f32_e64 s[6:7], s50, v21
	v_ldexp_f32 v19, v22, v23
	v_cndmask_b32_e64 v19, 0, v19, s[6:7]
	v_cmp_nlt_f32_e64 s[6:7], s48, v21
	v_add_f32_e32 v6, v20, v6
	v_cndmask_b32_e64 v19, v14, v19, s[6:7]
	v_fma_f32 v6, v19, v6, v19
	v_cmp_class_f32_e64 s[6:7], v19, s47
	v_trunc_f32_e32 v20, v38
	v_cndmask_b32_e64 v6, v6, v19, s[6:7]
	v_cndmask_b32_e64 v19, v36, 1.0, s[2:3]
	v_cmp_eq_f32_e64 s[2:3], v20, v38
	v_mul_f32_e32 v20, 0.5, v38
	v_trunc_f32_e32 v21, v20
	v_cmp_neq_f32_e64 s[6:7], v21, v20
	s_and_b64 s[6:7], s[2:3], s[6:7]
	v_cndmask_b32_e64 v20, 1.0, v19, s[6:7]
	v_bfi_b32 v6, s44, v6, v20
	v_cndmask_b32_e64 v20, v16, v6, s[2:3]
	v_cmp_gt_f32_e64 s[2:3], 0, v19
	v_cndmask_b32_e64 v6, v6, v20, s[2:3]
	v_cndmask_b32_e64 v20, |v37|, 1.0, s[0:1]
	v_cmp_neq_f32_e64 s[0:1], v38, v20
	v_cmp_gt_f32_e64 s[2:3], 1.0, v39
	s_xor_b64 s[0:1], s[0:1], s[2:3]
	v_cndmask_b32_e64 v21, v20, 0, s[0:1]
	v_cmp_eq_f32_e64 s[0:1], 1.0, v39
	v_cmp_eq_f32_e64 s[2:3], 0, v19
	v_cmp_gt_f32_e64 s[8:9], 0, v38
	v_cndmask_b32_e64 v21, v21, v39, s[0:1]
	v_cmp_eq_f32_e64 s[0:1], s43, v20
	s_xor_b64 s[8:9], s[8:9], s[2:3]
	v_cndmask_b32_e64 v6, v6, v21, s[0:1]
	v_cmp_eq_f32_e64 s[0:1], s43, v39
	v_cndmask_b32_e64 v20, v14, 0, s[8:9]
	v_cndmask_b32_e64 v21, 0, v19, s[6:7]
	v_bfi_b32 v20, s44, v20, v21
	s_or_b64 s[0:1], s[0:1], s[2:3]
	v_cndmask_b32_e64 v6, v6, v20, s[0:1]
	v_cmp_o_f32_e64 s[0:1], v19, v38
	v_cndmask_b32_e64 v6, v16, v6, s[0:1]
	v_bfe_u32 v19, v6, 16, 1
	v_add3_u32 v19, v6, v19, s51
	v_lshrrev_b32_e32 v19, 16, v19
	v_cmp_o_f32_e64 s[0:1], v6, v6
	v_cndmask_b32_e64 v6, v17, v19, s[0:1]
	v_mov_b32_e32 v19, s33
	v_add_co_u32_e64 v20, s[0:1], s38, v2
	v_addc_co_u32_e64 v21, s[0:1], v3, v19, s[0:1]
	global_store_short v[20:21], v6, off
	s_or_b64 exec, exec, s[10:11]
	s_and_saveexec_b64 s[8:9], vcc
	s_cbranch_execz .LBB60_3
.LBB60_19:                              ;   in Loop: Header=BB60_4 Depth=1
	s_waitcnt vmcnt(0)
	v_lshlrev_b32_e32 v34, 16, v18
	v_mov_b32_e32 v35, s30
	v_cmp_eq_f32_e32 vcc, 1.0, v34
	v_cndmask_b32_e64 v36, v35, 1.0, vcc
	v_cmp_eq_f32_e64 s[0:1], 0, v36
	v_cndmask_b32_e64 v37, |v34|, 1.0, s[0:1]
	v_frexp_mant_f32_e32 v6, v37
	v_cmp_gt_f32_e64 s[2:3], s45, v6
	v_cndmask_b32_e64 v18, 1.0, 2.0, s[2:3]
	v_mul_f32_e32 v6, v6, v18
	v_add_f32_e32 v18, 1.0, v6
	v_rcp_f32_e32 v26, v18
	v_add_f32_e32 v19, -1.0, v18
	v_sub_f32_e32 v21, v6, v19
	v_add_f32_e32 v19, -1.0, v6
	v_mul_f32_e32 v6, v19, v26
	v_mul_f32_e32 v20, v18, v6
	v_fma_f32 v22, v6, v18, -v20
	v_fmac_f32_e32 v22, v6, v21
	v_add_f32_e32 v18, v20, v22
	v_sub_f32_e32 v21, v19, v18
	v_pk_add_f32 v[24:25], v[18:19], v[20:21] neg_lo:[0,1] neg_hi:[0,1]
	v_mov_b32_e32 v23, v18
	v_pk_add_f32 v[18:19], v[24:25], v[22:23] neg_lo:[0,1] neg_hi:[0,1]
	v_add_f32_e32 v18, v18, v19
	v_add_f32_e32 v18, v21, v18
	v_mul_f32_e32 v19, v26, v18
	v_add_f32_e32 v18, v6, v19
	v_sub_f32_e32 v6, v18, v6
	v_sub_f32_e32 v30, v19, v6
	v_mul_f32_e32 v6, v18, v18
	v_fma_f32 v19, v18, v18, -v6
	v_add_f32_e32 v20, v30, v30
	v_fmac_f32_e32 v19, v18, v20
	v_add_f32_e32 v20, v6, v19
	v_mov_b32_e32 v21, 0x3e91f4c4
	v_fmac_f32_e32 v21, 0x3e76c4e1, v20
	v_fma_f32 v21, v20, v21, v13
	v_sub_f32_e32 v6, v20, v6
	v_sub_f32_e32 v31, v19, v6
	v_mul_f32_e32 v19, v20, v21
	v_fma_f32 v6, v20, v21, -v19
	v_fmac_f32_e32 v6, v31, v21
	v_add_f32_e32 v23, v19, v6
	v_sub_f32_e32 v22, v23, v19
	v_pk_add_f32 v[24:25], v[6:7], v[22:23] neg_lo:[0,1] neg_hi:[0,1]
	v_pk_add_f32 v[26:27], v[22:23], s[30:31]
	v_mov_b32_e32 v25, v27
	v_pk_add_f32 v[28:29], v[24:25], s[34:35]
	v_sub_f32_e32 v21, v23, v29
	v_mov_b32_e32 v19, v28
	v_pk_mul_f32 v[22:23], v[18:19], v[20:21]
	v_fma_f32 v24, v20, v18, -v22
	v_pk_add_f32 v[28:29], v[18:19], v[20:21]
	v_fmac_f32_e32 v24, v20, v30
	v_mov_b32_e32 v23, v29
	v_fmac_f32_e32 v24, v31, v18
	v_pk_add_f32 v[20:21], v[22:23], v[24:25]
	v_sub_f32_e32 v6, v20, v22
	v_sub_f32_e32 v19, v24, v6
	v_sub_f32_e32 v6, v27, v21
	v_add_f32_e32 v26, v29, v6
	v_mov_b32_e32 v6, v21
	v_cvt_f64_f32_e32 v[24:25], v37
	v_pk_mul_f32 v[22:23], v[20:21], v[6:7]
	v_frexp_exp_i32_f64_e32 v6, v[24:25]
	v_subbrev_co_u32_e64 v6, s[2:3], 0, v6, s[2:3]
	v_cvt_f32_i32_e32 v6, v6
	v_fma_f32 v24, v20, v21, -v22
	v_fmac_f32_e32 v24, v20, v26
	v_fmac_f32_e32 v24, v19, v21
	v_mul_f32_e32 v20, 0x3f317218, v6
	v_fma_f32 v26, v6, s46, -v20
	v_fmac_f32_e32 v26, 0xb102e308, v6
	v_ldexp_f32 v27, v18, 1
	v_add_f32_e32 v21, v22, v24
	v_pk_add_f32 v[18:19], v[20:21], v[26:27]
	v_mov_b32_e32 v28, v21
	v_mov_b32_e32 v29, v19
	;; [unrolled: 1-line block ×3, first 2 shown]
	v_pk_add_f32 v[22:23], v[28:29], v[22:23] neg_lo:[0,1] neg_hi:[0,1]
	v_mov_b32_e32 v25, v21
	v_ldexp_f32 v6, v30, 1
	v_pk_add_f32 v[22:23], v[24:25], v[22:23] neg_lo:[0,1] neg_hi:[0,1]
	v_add_f32_e32 v6, v6, v22
	v_add_f32_e32 v21, v6, v23
	v_pk_add_f32 v[22:23], v[18:19], v[20:21] neg_lo:[0,1] neg_hi:[0,1]
	v_pk_add_f32 v[24:25], v[18:19], v[20:21]
	v_mov_b32_e32 v28, v22
	v_mov_b32_e32 v29, v25
	;; [unrolled: 1-line block ×3, first 2 shown]
	v_pk_add_f32 v[28:29], v[26:27], v[28:29]
	v_mov_b32_e32 v6, v29
	v_pk_add_f32 v[30:31], v[6:7], v[18:19] neg_lo:[0,1] neg_hi:[0,1]
	v_mov_b32_e32 v31, v30
	v_mov_b32_e32 v28, v25
	;; [unrolled: 1-line block ×4, first 2 shown]
	v_pk_add_f32 v[22:23], v[26:27], v[22:23] neg_lo:[0,1] neg_hi:[0,1]
	v_pk_add_f32 v[32:33], v[24:25], v[30:31] neg_lo:[0,1] neg_hi:[0,1]
	;; [unrolled: 1-line block ×3, first 2 shown]
	v_mov_b32_e32 v26, v21
	v_pk_add_f32 v[18:19], v[26:27], v[18:19] neg_lo:[0,1] neg_hi:[0,1]
	v_mov_b32_e32 v32, v22
	v_pk_add_f32 v[20:21], v[32:33], v[18:19]
	v_mov_b32_e32 v24, v21
	v_pk_add_f32 v[24:25], v[20:21], v[24:25]
	v_pk_add_f32 v[26:27], v[6:7], v[24:25]
	v_mov_b32_e32 v23, v29
	v_mov_b32_e32 v21, v26
	v_pk_add_f32 v[28:29], v[20:21], v[22:23] neg_lo:[0,1] neg_hi:[0,1]
	v_mov_b32_e32 v19, v24
	v_sub_f32_e32 v6, v20, v28
	v_pk_add_f32 v[18:19], v[18:19], v[28:29] neg_lo:[0,1] neg_hi:[0,1]
	v_sub_f32_e32 v6, v22, v6
	v_add_f32_e32 v6, v18, v6
	v_add_f32_e32 v6, v6, v19
	v_add_f32_e32 v18, v26, v6
	v_sub_f32_e32 v19, v18, v26
	v_sub_f32_e32 v6, v6, v19
	v_mul_f32_e32 v19, v36, v18
	v_fma_f32 v18, v36, v18, -v19
	v_fmac_f32_e32 v18, v36, v6
	v_add_f32_e32 v6, v19, v18
	v_cmp_class_f32_e64 s[2:3], v19, s47
	v_sub_f32_e32 v20, v6, v19
	v_cndmask_b32_e64 v6, v6, v19, s[2:3]
	v_cmp_eq_f32_e64 s[2:3], s48, v6
	v_cndmask_b32_e64 v19, 0, v15, s[2:3]
	v_sub_f32_e32 v18, v18, v20
	v_sub_f32_e32 v20, v6, v19
	v_mul_f32_e32 v21, 0x3fb8aa3b, v20
	v_fma_f32 v22, v20, s49, -v21
	v_rndne_f32_e32 v23, v21
	v_fmac_f32_e32 v22, 0x32a5705f, v20
	v_sub_f32_e32 v21, v21, v23
	v_add_f32_e32 v21, v21, v22
	v_exp_f32_e32 v21, v21
	v_cvt_i32_f32_e32 v22, v23
	v_cmp_neq_f32_e64 s[2:3], |v6|, s43
	v_cndmask_b32_e64 v6, 0, v18, s[2:3]
	v_cmp_ngt_f32_e64 s[2:3], s50, v20
	v_ldexp_f32 v18, v21, v22
	v_cndmask_b32_e64 v18, 0, v18, s[2:3]
	v_cmp_nlt_f32_e64 s[2:3], s48, v20
	v_add_f32_e32 v6, v19, v6
	v_cndmask_b32_e64 v18, v14, v18, s[2:3]
	v_fma_f32 v6, v18, v6, v18
	v_cmp_class_f32_e64 s[2:3], v18, s47
	v_trunc_f32_e32 v19, v36
	v_cndmask_b32_e64 v6, v6, v18, s[2:3]
	v_cndmask_b32_e64 v18, v34, 1.0, s[0:1]
	v_cmp_eq_f32_e64 s[0:1], v19, v36
	v_mul_f32_e32 v19, 0.5, v36
	v_trunc_f32_e32 v20, v19
	v_cmp_neq_f32_e64 s[2:3], v20, v19
	s_and_b64 s[2:3], s[0:1], s[2:3]
	v_cndmask_b32_e64 v19, 1.0, v18, s[2:3]
	v_bfi_b32 v6, s44, v6, v19
	v_cndmask_b32_e64 v19, v16, v6, s[0:1]
	v_cmp_gt_f32_e64 s[0:1], 0, v18
	v_cndmask_b32_e64 v6, v6, v19, s[0:1]
	v_cndmask_b32_e64 v19, |v35|, 1.0, vcc
	v_cmp_neq_f32_e32 vcc, v36, v19
	v_cmp_gt_f32_e64 s[0:1], 1.0, v37
	s_xor_b64 s[0:1], vcc, s[0:1]
	v_cndmask_b32_e64 v20, v19, 0, s[0:1]
	v_cmp_eq_f32_e32 vcc, 1.0, v37
	v_cmp_eq_f32_e64 s[0:1], 0, v18
	v_cmp_gt_f32_e64 s[6:7], 0, v36
	v_cndmask_b32_e32 v20, v20, v37, vcc
	v_cmp_eq_f32_e32 vcc, s43, v19
	s_xor_b64 s[6:7], s[6:7], s[0:1]
	v_cndmask_b32_e32 v6, v6, v20, vcc
	v_cmp_eq_f32_e32 vcc, s43, v37
	v_cndmask_b32_e64 v19, v14, 0, s[6:7]
	v_cndmask_b32_e64 v20, 0, v18, s[2:3]
	v_bfi_b32 v19, s44, v19, v20
	s_or_b64 vcc, vcc, s[0:1]
	v_cndmask_b32_e32 v6, v6, v19, vcc
	v_cmp_o_f32_e32 vcc, v18, v36
	v_cndmask_b32_e32 v6, v16, v6, vcc
	v_bfe_u32 v18, v6, 16, 1
	v_add3_u32 v18, v6, v18, s51
	v_lshrrev_b32_e32 v18, 16, v18
	v_cmp_o_f32_e32 vcc, v6, v6
	v_cndmask_b32_e32 v6, v17, v18, vcc
	v_mov_b32_e32 v19, s42
	v_add_co_u32_e32 v18, vcc, s41, v2
	v_addc_co_u32_e32 v19, vcc, v3, v19, vcc
	global_store_short v[18:19], v6, off
	s_branch .LBB60_3
.LBB60_20:
	s_cbranch_execz .LBB60_22
	s_branch .LBB60_25
.LBB60_21:
.LBB60_22:
	v_mov_b32_e32 v3, 0
	v_lshlrev_b32_e32 v2, 2, v0
	s_mov_b32 s0, 0
	v_cmp_gt_i64_e32 vcc, s[20:21], v[2:3]
	s_and_saveexec_b64 s[2:3], vcc
	s_cbranch_execz .LBB60_25
; %bb.23:
	s_load_dword s1, s[4:5], 0xd3c
	v_lshlrev_b32_e32 v1, 3, v0
	s_mov_b32 s16, 0x31739010
	s_mov_b64 s[12:13], 0
	v_mov_b32_e32 v8, s30
	s_waitcnt lgkmcnt(0)
	s_and_b32 s1, s1, 0xffff
	s_add_u32 s2, s22, s24
	s_addc_u32 s3, s23, s25
	v_mov_b32_e32 v2, s3
	v_add_co_u32_e32 v4, vcc, s2, v1
	v_addc_co_u32_e32 v5, vcc, 0, v2, vcc
	s_lshl_b32 s14, s1, 3
	v_add_lshl_u32 v2, v0, s1, 2
	s_lshl_b32 s22, s1, 2
	s_mov_b32 s23, 0x3f2aaaab
	v_mov_b32_e32 v9, 0x3ecccdef
	s_mov_b32 s15, 0x3f2aaaaa
	s_mov_b32 s17, 0xbf2aaaaa
	s_mov_b32 s24, 0x3f317218
	s_movk_i32 s25, 0x204
	s_mov_b32 s26, 0x7f800000
	s_mov_b32 s27, 0x42b17218
	v_mov_b32_e32 v10, 0x37000000
	s_mov_b32 s28, 0x3fb8aa3b
	s_mov_b32 s29, 0xc2ce8ed0
	v_mov_b32_e32 v11, 0x7f800000
	s_brev_b32 s30, -2
	v_mov_b32_e32 v12, 0x7fc00000
	s_movk_i32 s31, 0x7fff
	v_mov_b32_e32 v13, 0x7fc0
	s_mov_b64 s[18:19], 0xffff
	v_mov_b32_e32 v14, s0
	v_mov_b32_e32 v15, s0
	;; [unrolled: 1-line block ×3, first 2 shown]
.LBB60_24:                              ; =>This Inner Loop Header: Depth=1
	global_load_dwordx2 v[6:7], v[4:5], off
	v_mov_b32_e32 v0, 0x3e91f4c4
	s_waitcnt vmcnt(0)
	v_lshlrev_b32_e32 v19, 16, v6
	v_cmp_eq_f32_e64 s[0:1], 1.0, v19
	v_cndmask_b32_e64 v34, v8, 1.0, s[0:1]
	v_cmp_eq_f32_e32 vcc, 0, v34
	v_cndmask_b32_e64 v20, |v19|, 1.0, vcc
	v_frexp_mant_f32_e32 v23, v20
	v_trunc_f32_e32 v21, v34
	v_mul_f32_e32 v22, 0.5, v34
	v_cmp_gt_f32_e64 s[8:9], s23, v23
	v_cndmask_b32_e64 v35, |v8|, 1.0, s[0:1]
	v_cmp_eq_f32_e64 s[0:1], v21, v34
	v_trunc_f32_e32 v21, v22
	v_cndmask_b32_e64 v24, 1.0, 2.0, s[8:9]
	v_cmp_neq_f32_e64 s[10:11], v21, v22
	v_mul_f32_e32 v21, v23, v24
	v_cvt_f64_f32_e32 v[16:17], v20
	v_add_f32_e32 v23, 1.0, v21
	v_cmp_neq_f32_e64 s[2:3], v34, v35
	v_cmp_gt_f32_e64 s[6:7], 1.0, v20
	v_frexp_exp_i32_f64_e32 v16, v[16:17]
	v_rcp_f32_e32 v28, v23
	s_xor_b64 s[2:3], s[2:3], s[6:7]
	v_subbrev_co_u32_e64 v16, s[6:7], 0, v16, s[8:9]
	v_cndmask_b32_e64 v17, v35, 0, s[2:3]
	v_cmp_eq_f32_e64 s[8:9], 1.0, v20
	v_cvt_f32_i32_e32 v16, v16
	v_cndmask_b32_e64 v37, v17, v20, s[8:9]
	v_add_f32_e32 v17, -1.0, v21
	v_mul_f32_e32 v29, v17, v28
	v_cndmask_b32_e64 v19, v19, 1.0, vcc
	v_cmp_eq_f32_e32 vcc, s26, v20
	v_add_f32_e32 v20, -1.0, v23
	v_mul_f32_e32 v24, v23, v29
	v_sub_f32_e32 v21, v21, v20
	v_mul_f32_e32 v20, 0x3f317218, v16
	v_fma_f32 v26, v29, v23, -v24
	v_fma_f32 v22, v16, s24, -v20
	v_fmac_f32_e32 v26, v29, v21
	v_fmac_f32_e32 v22, 0xb102e308, v16
	v_add_f32_e32 v16, v24, v26
	v_sub_f32_e32 v25, v17, v16
	v_mov_b32_e32 v27, v16
	v_pk_add_f32 v[16:17], v[16:17], v[24:25] neg_lo:[0,1] neg_hi:[0,1]
	v_pk_add_f32 v[16:17], v[16:17], v[26:27] neg_lo:[0,1] neg_hi:[0,1]
	v_add_f32_e32 v16, v16, v17
	v_add_f32_e32 v16, v25, v16
	v_mul_f32_e32 v17, v28, v16
	v_add_f32_e32 v16, v29, v17
	v_sub_f32_e32 v21, v16, v29
	v_mul_f32_e32 v25, v16, v16
	v_sub_f32_e32 v21, v17, v21
	v_fma_f32 v17, v16, v16, -v25
	v_add_f32_e32 v24, v21, v21
	v_fmac_f32_e32 v17, v16, v24
	v_add_f32_e32 v24, v25, v17
	v_fmac_f32_e32 v0, 0x3e76c4e1, v24
	v_sub_f32_e32 v25, v24, v25
	v_fma_f32 v26, v24, v0, v9
	v_sub_f32_e32 v41, v17, v25
	v_mul_f32_e32 v17, v24, v26
	v_fma_f32 v0, v24, v26, -v17
	v_fmac_f32_e32 v0, v41, v26
	v_add_f32_e32 v27, v17, v0
	v_sub_f32_e32 v26, v27, v17
	v_pk_add_f32 v[28:29], v[0:1], v[26:27] neg_lo:[0,1] neg_hi:[0,1]
	v_pk_add_f32 v[30:31], v[26:27], s[14:15]
	v_mov_b32_e32 v29, v31
	v_pk_add_f32 v[32:33], v[28:29], s[16:17]
	v_sub_f32_e32 v25, v27, v33
	v_mov_b32_e32 v17, v32
	v_pk_mul_f32 v[26:27], v[16:17], v[24:25]
	v_fma_f32 v28, v24, v16, -v26
	v_pk_add_f32 v[32:33], v[16:17], v[24:25]
	v_fmac_f32_e32 v28, v24, v21
	v_mov_b32_e32 v27, v33
	v_fmac_f32_e32 v28, v41, v16
	v_ldexp_f32 v23, v16, 1
	v_pk_add_f32 v[16:17], v[26:27], v[28:29]
	v_sub_f32_e32 v24, v31, v17
	v_mov_b32_e32 v0, v17
	v_add_f32_e32 v27, v33, v24
	v_pk_mul_f32 v[24:25], v[16:17], v[0:1]
	v_ldexp_f32 v40, v21, 1
	v_sub_f32_e32 v21, v16, v26
	v_fma_f32 v26, v16, v17, -v24
	v_sub_f32_e32 v21, v28, v21
	v_fmac_f32_e32 v26, v16, v27
	v_fmac_f32_e32 v26, v21, v17
	v_add_f32_e32 v21, v24, v26
	v_pk_add_f32 v[16:17], v[20:21], v[22:23]
	v_mov_b32_e32 v25, v23
	v_mov_b32_e32 v28, v21
	;; [unrolled: 1-line block ×4, first 2 shown]
	v_pk_add_f32 v[24:25], v[28:29], v[24:25] neg_lo:[0,1] neg_hi:[0,1]
	v_pk_add_f32 v[24:25], v[26:27], v[24:25] neg_lo:[0,1] neg_hi:[0,1]
	v_add_f32_e32 v0, v40, v24
	v_add_f32_e32 v21, v0, v25
	v_pk_add_f32 v[24:25], v[16:17], v[20:21] neg_lo:[0,1] neg_hi:[0,1]
	v_pk_add_f32 v[26:27], v[16:17], v[20:21]
	v_mov_b32_e32 v23, v16
	v_mov_b32_e32 v28, v24
	;; [unrolled: 1-line block ×3, first 2 shown]
	v_pk_add_f32 v[28:29], v[22:23], v[28:29]
	v_mov_b32_e32 v0, v29
	v_mov_b32_e32 v30, v17
	v_pk_add_f32 v[16:17], v[0:1], v[16:17] neg_lo:[0,1] neg_hi:[0,1]
	v_mov_b32_e32 v28, v27
	v_mov_b32_e32 v17, v16
	;; [unrolled: 1-line block ×3, first 2 shown]
	v_pk_add_f32 v[24:25], v[22:23], v[24:25] neg_lo:[0,1] neg_hi:[0,1]
	v_mov_b32_e32 v22, v21
	v_pk_add_f32 v[16:17], v[26:27], v[16:17] neg_lo:[0,1] neg_hi:[0,1]
	v_pk_add_f32 v[20:21], v[28:29], v[30:31] neg_lo:[0,1] neg_hi:[0,1]
	;; [unrolled: 1-line block ×3, first 2 shown]
	v_mov_b32_e32 v16, v24
	v_pk_add_f32 v[16:17], v[16:17], v[20:21]
	v_mov_b32_e32 v22, v17
	v_pk_add_f32 v[22:23], v[16:17], v[22:23]
	v_pk_add_f32 v[26:27], v[0:1], v[22:23]
	v_mov_b32_e32 v25, v29
	v_mov_b32_e32 v17, v26
	;; [unrolled: 1-line block ×3, first 2 shown]
	v_pk_add_f32 v[22:23], v[16:17], v[24:25] neg_lo:[0,1] neg_hi:[0,1]
	v_sub_f32_e32 v0, v16, v22
	v_pk_add_f32 v[20:21], v[20:21], v[22:23] neg_lo:[0,1] neg_hi:[0,1]
	v_sub_f32_e32 v0, v24, v0
	v_add_f32_e32 v0, v20, v0
	v_add_f32_e32 v0, v0, v21
	v_add_f32_e32 v16, v26, v0
	v_sub_f32_e32 v17, v16, v26
	v_mul_f32_e32 v20, v34, v16
	v_cmp_gt_f32_e64 s[4:5], 0, v34
	v_cmp_eq_f32_e64 s[2:3], 0, v19
	v_sub_f32_e32 v0, v0, v17
	v_fma_f32 v16, v34, v16, -v20
	s_xor_b64 s[4:5], s[4:5], s[2:3]
	v_fmac_f32_e32 v16, v34, v0
	v_cndmask_b32_e64 v38, v11, 0, s[4:5]
	v_add_f32_e32 v0, v20, v16
	v_cmp_class_f32_e64 s[4:5], v20, s25
	v_sub_f32_e32 v17, v0, v20
	v_cndmask_b32_e64 v0, v0, v20, s[4:5]
	v_cmp_eq_f32_e64 s[4:5], s27, v0
	v_sub_f32_e32 v16, v16, v17
	v_cndmask_b32_e64 v17, 0, v10, s[4:5]
	v_sub_f32_e32 v20, v0, v17
	v_mul_f32_e32 v21, 0x3fb8aa3b, v20
	v_fma_f32 v22, v20, s28, -v21
	v_rndne_f32_e32 v23, v21
	v_fmac_f32_e32 v22, 0x32a5705f, v20
	v_sub_f32_e32 v21, v21, v23
	v_add_f32_e32 v21, v21, v22
	v_cvt_i32_f32_e32 v23, v23
	v_exp_f32_e32 v21, v21
	v_cmp_neq_f32_e64 s[4:5], |v0|, s26
	v_cndmask_b32_e64 v0, 0, v16, s[4:5]
	v_cmp_ngt_f32_e64 s[4:5], s29, v20
	v_ldexp_f32 v16, v21, v23
	v_cndmask_b32_e64 v16, 0, v16, s[4:5]
	v_cmp_nlt_f32_e64 s[4:5], s27, v20
	v_add_f32_e32 v0, v17, v0
	v_cndmask_b32_e64 v16, v11, v16, s[4:5]
	s_and_b64 s[6:7], s[0:1], s[10:11]
	v_fma_f32 v0, v16, v0, v16
	v_cmp_class_f32_e64 s[4:5], v16, s25
	v_cndmask_b32_e64 v36, 1.0, v19, s[6:7]
	v_cndmask_b32_e64 v0, v0, v16, s[4:5]
	v_bfi_b32 v0, s30, v0, v36
	v_cndmask_b32_e64 v16, v12, v0, s[0:1]
	v_cmp_gt_f32_e64 s[0:1], 0, v19
	v_cndmask_b32_e64 v39, 0, v19, s[6:7]
	v_cndmask_b32_e64 v0, v0, v16, s[0:1]
	v_cmp_eq_f32_e64 s[0:1], s26, v35
	v_cndmask_b32_e64 v0, v0, v37, s[0:1]
	v_bfi_b32 v16, s30, v38, v39
	s_or_b64 vcc, vcc, s[2:3]
	v_and_b32_e32 v18, 0xffff0000, v6
	v_cndmask_b32_e32 v0, v0, v16, vcc
	v_cmp_o_f32_e32 vcc, v19, v34
	v_cndmask_b32_e32 v16, v12, v0, vcc
	v_cmp_eq_f32_e32 vcc, 1.0, v18
	v_cndmask_b32_e64 v36, v8, 1.0, vcc
	v_bfe_u32 v0, v16, 16, 1
	v_cmp_eq_f32_e64 s[0:1], 0, v36
	v_add3_u32 v0, v16, v0, s31
	v_cndmask_b32_e64 v37, |v18|, 1.0, s[0:1]
	v_lshrrev_b32_e32 v17, 16, v0
	v_frexp_mant_f32_e32 v0, v37
	v_cmp_gt_f32_e64 s[2:3], s23, v0
	v_cndmask_b32_e64 v19, 1.0, 2.0, s[2:3]
	v_mul_f32_e32 v0, v0, v19
	v_add_f32_e32 v19, 1.0, v0
	v_rcp_f32_e32 v28, v19
	v_add_f32_e32 v20, -1.0, v19
	v_add_f32_e32 v21, -1.0, v0
	v_sub_f32_e32 v20, v0, v20
	v_mul_f32_e32 v0, v21, v28
	v_mul_f32_e32 v22, v19, v0
	v_fma_f32 v24, v0, v19, -v22
	v_fmac_f32_e32 v24, v0, v20
	v_add_f32_e32 v20, v22, v24
	v_sub_f32_e32 v23, v21, v20
	v_pk_add_f32 v[26:27], v[20:21], v[22:23] neg_lo:[0,1] neg_hi:[0,1]
	v_mov_b32_e32 v25, v20
	v_pk_add_f32 v[20:21], v[26:27], v[24:25] neg_lo:[0,1] neg_hi:[0,1]
	v_add_f32_e32 v19, v20, v21
	v_add_f32_e32 v19, v23, v19
	v_mul_f32_e32 v19, v28, v19
	v_add_f32_e32 v20, v0, v19
	v_sub_f32_e32 v0, v20, v0
	v_sub_f32_e32 v19, v19, v0
	v_mul_f32_e32 v0, v20, v20
	v_fma_f32 v21, v20, v20, -v0
	v_add_f32_e32 v22, v19, v19
	v_fmac_f32_e32 v21, v20, v22
	v_add_f32_e32 v22, v0, v21
	v_mov_b32_e32 v23, 0x3e91f4c4
	v_fmac_f32_e32 v23, 0x3e76c4e1, v22
	v_fma_f32 v23, v22, v23, v9
	v_sub_f32_e32 v0, v22, v0
	v_sub_f32_e32 v32, v21, v0
	v_mul_f32_e32 v21, v22, v23
	v_fma_f32 v0, v22, v23, -v21
	v_fmac_f32_e32 v0, v32, v23
	v_add_f32_e32 v25, v21, v0
	v_sub_f32_e32 v24, v25, v21
	v_pk_add_f32 v[26:27], v[0:1], v[24:25] neg_lo:[0,1] neg_hi:[0,1]
	v_pk_add_f32 v[28:29], v[24:25], s[14:15]
	v_mov_b32_e32 v27, v29
	v_pk_add_f32 v[30:31], v[26:27], s[16:17]
	v_sub_f32_e32 v23, v25, v31
	v_mov_b32_e32 v21, v30
	v_pk_mul_f32 v[24:25], v[20:21], v[22:23]
	v_fma_f32 v26, v22, v20, -v24
	v_pk_add_f32 v[30:31], v[20:21], v[22:23]
	v_fmac_f32_e32 v26, v22, v19
	v_mov_b32_e32 v25, v31
	v_fmac_f32_e32 v26, v32, v20
	v_pk_add_f32 v[22:23], v[24:25], v[26:27]
	v_sub_f32_e32 v0, v22, v24
	v_sub_f32_e32 v21, v26, v0
	;; [unrolled: 1-line block ×3, first 2 shown]
	v_add_f32_e32 v28, v31, v0
	v_mov_b32_e32 v0, v23
	v_cvt_f64_f32_e32 v[26:27], v37
	v_pk_mul_f32 v[24:25], v[22:23], v[0:1]
	v_frexp_exp_i32_f64_e32 v0, v[26:27]
	v_subbrev_co_u32_e64 v0, s[2:3], 0, v0, s[2:3]
	v_cvt_f32_i32_e32 v0, v0
	v_fma_f32 v26, v22, v23, -v24
	v_fmac_f32_e32 v26, v22, v28
	v_fmac_f32_e32 v26, v21, v23
	v_mul_f32_e32 v22, 0x3f317218, v0
	v_fma_f32 v28, v0, s24, -v22
	v_fmac_f32_e32 v28, 0xb102e308, v0
	v_ldexp_f32 v29, v20, 1
	v_add_f32_e32 v23, v24, v26
	v_pk_add_f32 v[20:21], v[22:23], v[28:29]
	v_mov_b32_e32 v30, v23
	v_mov_b32_e32 v31, v21
	;; [unrolled: 1-line block ×3, first 2 shown]
	v_pk_add_f32 v[24:25], v[30:31], v[24:25] neg_lo:[0,1] neg_hi:[0,1]
	v_mov_b32_e32 v27, v23
	v_ldexp_f32 v0, v19, 1
	v_pk_add_f32 v[24:25], v[26:27], v[24:25] neg_lo:[0,1] neg_hi:[0,1]
	v_add_f32_e32 v0, v0, v24
	v_add_f32_e32 v23, v0, v25
	v_pk_add_f32 v[24:25], v[20:21], v[22:23] neg_lo:[0,1] neg_hi:[0,1]
	v_pk_add_f32 v[26:27], v[20:21], v[22:23]
	v_mov_b32_e32 v30, v24
	v_mov_b32_e32 v31, v27
	;; [unrolled: 1-line block ×3, first 2 shown]
	v_pk_add_f32 v[30:31], v[28:29], v[30:31]
	v_mov_b32_e32 v0, v31
	v_pk_add_f32 v[32:33], v[0:1], v[20:21] neg_lo:[0,1] neg_hi:[0,1]
	v_mov_b32_e32 v19, v32
	v_mov_b32_e32 v30, v27
	;; [unrolled: 1-line block ×4, first 2 shown]
	v_pk_add_f32 v[24:25], v[28:29], v[24:25] neg_lo:[0,1] neg_hi:[0,1]
	v_pk_add_f32 v[34:35], v[26:27], v[18:19] neg_lo:[0,1] neg_hi:[0,1]
	;; [unrolled: 1-line block ×3, first 2 shown]
	v_mov_b32_e32 v28, v23
	v_pk_add_f32 v[20:21], v[28:29], v[20:21] neg_lo:[0,1] neg_hi:[0,1]
	v_mov_b32_e32 v34, v24
	v_pk_add_f32 v[22:23], v[34:35], v[20:21]
	v_mov_b32_e32 v26, v23
	v_pk_add_f32 v[26:27], v[22:23], v[26:27]
	v_pk_add_f32 v[28:29], v[0:1], v[26:27]
	v_mov_b32_e32 v25, v31
	v_mov_b32_e32 v23, v28
	v_pk_add_f32 v[30:31], v[22:23], v[24:25] neg_lo:[0,1] neg_hi:[0,1]
	v_mov_b32_e32 v21, v26
	v_sub_f32_e32 v0, v22, v30
	v_pk_add_f32 v[20:21], v[20:21], v[30:31] neg_lo:[0,1] neg_hi:[0,1]
	v_sub_f32_e32 v0, v24, v0
	v_add_f32_e32 v0, v20, v0
	v_add_f32_e32 v0, v0, v21
	;; [unrolled: 1-line block ×3, first 2 shown]
	v_sub_f32_e32 v20, v19, v28
	v_sub_f32_e32 v0, v0, v20
	v_mul_f32_e32 v20, v36, v19
	v_fma_f32 v19, v36, v19, -v20
	v_fmac_f32_e32 v19, v36, v0
	v_add_f32_e32 v0, v20, v19
	v_cmp_class_f32_e64 s[2:3], v20, s25
	v_sub_f32_e32 v21, v0, v20
	v_cndmask_b32_e64 v0, v0, v20, s[2:3]
	v_cmp_eq_f32_e64 s[2:3], s27, v0
	v_cndmask_b32_e64 v20, 0, v10, s[2:3]
	v_sub_f32_e32 v19, v19, v21
	v_sub_f32_e32 v21, v0, v20
	v_mul_f32_e32 v22, 0x3fb8aa3b, v21
	v_fma_f32 v23, v21, s28, -v22
	v_rndne_f32_e32 v24, v22
	v_fmac_f32_e32 v23, 0x32a5705f, v21
	v_sub_f32_e32 v22, v22, v24
	v_add_f32_e32 v22, v22, v23
	v_exp_f32_e32 v22, v22
	v_cvt_i32_f32_e32 v23, v24
	v_cmp_neq_f32_e64 s[2:3], |v0|, s26
	v_cndmask_b32_e64 v0, 0, v19, s[2:3]
	v_cmp_ngt_f32_e64 s[2:3], s29, v21
	v_ldexp_f32 v19, v22, v23
	v_cndmask_b32_e64 v19, 0, v19, s[2:3]
	v_cmp_nlt_f32_e64 s[2:3], s27, v21
	v_add_f32_e32 v0, v20, v0
	v_cndmask_b32_e64 v19, v11, v19, s[2:3]
	v_fma_f32 v0, v19, v0, v19
	v_cmp_class_f32_e64 s[2:3], v19, s25
	v_cndmask_b32_e64 v0, v0, v19, s[2:3]
	v_trunc_f32_e32 v19, v36
	v_cndmask_b32_e64 v18, v18, 1.0, s[0:1]
	v_cmp_eq_f32_e64 s[0:1], v19, v36
	v_mul_f32_e32 v19, 0.5, v36
	v_trunc_f32_e32 v20, v19
	v_cmp_neq_f32_e64 s[2:3], v20, v19
	s_and_b64 s[2:3], s[0:1], s[2:3]
	v_cndmask_b32_e64 v19, 1.0, v18, s[2:3]
	v_bfi_b32 v0, s30, v0, v19
	v_cndmask_b32_e64 v19, v12, v0, s[0:1]
	v_cmp_gt_f32_e64 s[0:1], 0, v18
	v_cndmask_b32_e64 v0, v0, v19, s[0:1]
	v_cndmask_b32_e64 v19, |v8|, 1.0, vcc
	v_cmp_neq_f32_e32 vcc, v36, v19
	v_cmp_gt_f32_e64 s[0:1], 1.0, v37
	s_xor_b64 s[0:1], vcc, s[0:1]
	v_cndmask_b32_e64 v20, v19, 0, s[0:1]
	v_cmp_eq_f32_e32 vcc, 1.0, v37
	v_cmp_eq_f32_e64 s[0:1], 0, v18
	v_cmp_gt_f32_e64 s[4:5], 0, v36
	v_cndmask_b32_e32 v20, v20, v37, vcc
	v_cmp_eq_f32_e32 vcc, s26, v19
	s_xor_b64 s[4:5], s[4:5], s[0:1]
	v_cndmask_b32_e32 v0, v0, v20, vcc
	v_cmp_eq_f32_e32 vcc, s26, v37
	v_cndmask_b32_e64 v19, v11, 0, s[4:5]
	v_cndmask_b32_e64 v20, 0, v18, s[2:3]
	v_bfi_b32 v19, s30, v19, v20
	s_or_b64 vcc, vcc, s[0:1]
	v_cndmask_b32_e32 v0, v0, v19, vcc
	v_cmp_o_f32_e32 vcc, v18, v36
	v_cndmask_b32_e32 v34, v12, v0, vcc
	v_bfe_u32 v0, v34, 16, 1
	v_add3_u32 v0, v34, v0, s31
	v_and_b32_e32 v35, 0xffff0000, v0
	v_alignbit_b32 v0, v7, v6, 16
	v_and_b32_e32 v36, 0xffff0000, v0
	v_cmp_eq_f32_e32 vcc, 1.0, v36
	v_cndmask_b32_e64 v37, v8, 1.0, vcc
	v_cmp_eq_f32_e64 s[0:1], 0, v37
	v_cndmask_b32_e64 v38, |v36|, 1.0, s[0:1]
	v_frexp_mant_f32_e32 v0, v38
	v_cmp_gt_f32_e64 s[2:3], s23, v0
	v_cndmask_b32_e64 v6, 1.0, 2.0, s[2:3]
	v_mul_f32_e32 v0, v0, v6
	v_add_f32_e32 v6, 1.0, v0
	v_rcp_f32_e32 v26, v6
	v_add_f32_e32 v18, -1.0, v6
	v_add_f32_e32 v19, -1.0, v0
	v_sub_f32_e32 v18, v0, v18
	v_mul_f32_e32 v0, v19, v26
	v_mul_f32_e32 v20, v6, v0
	v_fma_f32 v22, v0, v6, -v20
	v_fmac_f32_e32 v22, v0, v18
	v_add_f32_e32 v18, v20, v22
	v_sub_f32_e32 v21, v19, v18
	v_pk_add_f32 v[24:25], v[18:19], v[20:21] neg_lo:[0,1] neg_hi:[0,1]
	v_mov_b32_e32 v23, v18
	v_pk_add_f32 v[18:19], v[24:25], v[22:23] neg_lo:[0,1] neg_hi:[0,1]
	v_add_f32_e32 v6, v18, v19
	v_add_f32_e32 v6, v21, v6
	v_mul_f32_e32 v6, v26, v6
	v_add_f32_e32 v18, v0, v6
	v_sub_f32_e32 v0, v18, v0
	v_sub_f32_e32 v6, v6, v0
	v_mul_f32_e32 v0, v18, v18
	v_fma_f32 v19, v18, v18, -v0
	v_add_f32_e32 v20, v6, v6
	v_fmac_f32_e32 v19, v18, v20
	v_add_f32_e32 v20, v0, v19
	v_mov_b32_e32 v21, 0x3e91f4c4
	v_fmac_f32_e32 v21, 0x3e76c4e1, v20
	v_fma_f32 v21, v20, v21, v9
	v_sub_f32_e32 v0, v20, v0
	v_sub_f32_e32 v30, v19, v0
	v_mul_f32_e32 v19, v20, v21
	v_fma_f32 v0, v20, v21, -v19
	v_fmac_f32_e32 v0, v30, v21
	v_add_f32_e32 v23, v19, v0
	v_sub_f32_e32 v22, v23, v19
	v_pk_add_f32 v[24:25], v[0:1], v[22:23] neg_lo:[0,1] neg_hi:[0,1]
	v_pk_add_f32 v[26:27], v[22:23], s[14:15]
	v_mov_b32_e32 v25, v27
	v_pk_add_f32 v[28:29], v[24:25], s[16:17]
	v_sub_f32_e32 v21, v23, v29
	v_mov_b32_e32 v19, v28
	v_pk_mul_f32 v[22:23], v[18:19], v[20:21]
	v_fma_f32 v24, v20, v18, -v22
	v_pk_add_f32 v[28:29], v[18:19], v[20:21]
	v_fmac_f32_e32 v24, v20, v6
	v_mov_b32_e32 v23, v29
	v_fmac_f32_e32 v24, v30, v18
	v_pk_add_f32 v[20:21], v[22:23], v[24:25]
	v_sub_f32_e32 v0, v20, v22
	v_sub_f32_e32 v19, v24, v0
	;; [unrolled: 1-line block ×3, first 2 shown]
	v_add_f32_e32 v26, v29, v0
	v_mov_b32_e32 v0, v21
	v_cvt_f64_f32_e32 v[24:25], v38
	v_pk_mul_f32 v[22:23], v[20:21], v[0:1]
	v_frexp_exp_i32_f64_e32 v0, v[24:25]
	v_subbrev_co_u32_e64 v0, s[2:3], 0, v0, s[2:3]
	v_cvt_f32_i32_e32 v0, v0
	v_fma_f32 v24, v20, v21, -v22
	v_fmac_f32_e32 v24, v20, v26
	v_fmac_f32_e32 v24, v19, v21
	v_mul_f32_e32 v20, 0x3f317218, v0
	v_fma_f32 v26, v0, s24, -v20
	v_fmac_f32_e32 v26, 0xb102e308, v0
	v_ldexp_f32 v27, v18, 1
	v_add_f32_e32 v21, v22, v24
	v_pk_add_f32 v[18:19], v[20:21], v[26:27]
	v_mov_b32_e32 v28, v21
	v_mov_b32_e32 v29, v19
	;; [unrolled: 1-line block ×3, first 2 shown]
	v_pk_add_f32 v[22:23], v[28:29], v[22:23] neg_lo:[0,1] neg_hi:[0,1]
	v_mov_b32_e32 v25, v21
	v_ldexp_f32 v0, v6, 1
	v_pk_add_f32 v[22:23], v[24:25], v[22:23] neg_lo:[0,1] neg_hi:[0,1]
	v_add_f32_e32 v0, v0, v22
	v_add_f32_e32 v21, v0, v23
	v_pk_add_f32 v[22:23], v[18:19], v[20:21] neg_lo:[0,1] neg_hi:[0,1]
	v_pk_add_f32 v[24:25], v[18:19], v[20:21]
	v_mov_b32_e32 v28, v22
	v_mov_b32_e32 v29, v25
	;; [unrolled: 1-line block ×3, first 2 shown]
	v_pk_add_f32 v[28:29], v[26:27], v[28:29]
	v_mov_b32_e32 v0, v29
	v_pk_add_f32 v[30:31], v[0:1], v[18:19] neg_lo:[0,1] neg_hi:[0,1]
	v_mov_b32_e32 v31, v30
	v_mov_b32_e32 v28, v25
	;; [unrolled: 1-line block ×4, first 2 shown]
	v_pk_add_f32 v[22:23], v[26:27], v[22:23] neg_lo:[0,1] neg_hi:[0,1]
	v_pk_add_f32 v[32:33], v[24:25], v[30:31] neg_lo:[0,1] neg_hi:[0,1]
	;; [unrolled: 1-line block ×3, first 2 shown]
	v_mov_b32_e32 v26, v21
	v_pk_add_f32 v[18:19], v[26:27], v[18:19] neg_lo:[0,1] neg_hi:[0,1]
	v_mov_b32_e32 v32, v22
	v_pk_add_f32 v[20:21], v[32:33], v[18:19]
	v_mov_b32_e32 v6, v21
	v_pk_add_f32 v[24:25], v[20:21], v[6:7]
	v_pk_add_f32 v[26:27], v[0:1], v[24:25]
	v_mov_b32_e32 v23, v29
	v_mov_b32_e32 v21, v26
	v_pk_add_f32 v[28:29], v[20:21], v[22:23] neg_lo:[0,1] neg_hi:[0,1]
	v_mov_b32_e32 v19, v24
	v_sub_f32_e32 v0, v20, v28
	v_pk_add_f32 v[18:19], v[18:19], v[28:29] neg_lo:[0,1] neg_hi:[0,1]
	v_sub_f32_e32 v0, v22, v0
	v_add_f32_e32 v0, v18, v0
	v_add_f32_e32 v0, v0, v19
	;; [unrolled: 1-line block ×3, first 2 shown]
	v_sub_f32_e32 v18, v6, v26
	v_sub_f32_e32 v0, v0, v18
	v_mul_f32_e32 v18, v37, v6
	v_fma_f32 v6, v37, v6, -v18
	v_fmac_f32_e32 v6, v37, v0
	v_add_f32_e32 v0, v18, v6
	v_cmp_class_f32_e64 s[2:3], v18, s25
	v_sub_f32_e32 v19, v0, v18
	v_cndmask_b32_e64 v0, v0, v18, s[2:3]
	v_cmp_eq_f32_e64 s[2:3], s27, v0
	v_cndmask_b32_e64 v18, 0, v10, s[2:3]
	v_sub_f32_e32 v6, v6, v19
	v_sub_f32_e32 v19, v0, v18
	v_mul_f32_e32 v20, 0x3fb8aa3b, v19
	v_fma_f32 v21, v19, s28, -v20
	v_rndne_f32_e32 v22, v20
	v_fmac_f32_e32 v21, 0x32a5705f, v19
	v_sub_f32_e32 v20, v20, v22
	v_add_f32_e32 v20, v20, v21
	v_exp_f32_e32 v20, v20
	v_cvt_i32_f32_e32 v21, v22
	v_cmp_neq_f32_e64 s[2:3], |v0|, s26
	v_cndmask_b32_e64 v0, 0, v6, s[2:3]
	v_cmp_ngt_f32_e64 s[2:3], s29, v19
	v_ldexp_f32 v6, v20, v21
	v_cndmask_b32_e64 v6, 0, v6, s[2:3]
	v_cmp_nlt_f32_e64 s[2:3], s27, v19
	v_add_f32_e32 v0, v18, v0
	v_cndmask_b32_e64 v6, v11, v6, s[2:3]
	v_fma_f32 v0, v6, v0, v6
	v_cmp_class_f32_e64 s[2:3], v6, s25
	v_trunc_f32_e32 v18, v37
	v_cndmask_b32_e64 v0, v0, v6, s[2:3]
	v_cndmask_b32_e64 v6, v36, 1.0, s[0:1]
	v_cmp_eq_f32_e64 s[0:1], v18, v37
	v_mul_f32_e32 v18, 0.5, v37
	v_trunc_f32_e32 v19, v18
	v_cmp_neq_f32_e64 s[2:3], v19, v18
	s_and_b64 s[2:3], s[0:1], s[2:3]
	v_cndmask_b32_e64 v18, 1.0, v6, s[2:3]
	v_bfi_b32 v0, s30, v0, v18
	v_cndmask_b32_e64 v18, v12, v0, s[0:1]
	v_cmp_gt_f32_e64 s[0:1], 0, v6
	v_cndmask_b32_e64 v0, v0, v18, s[0:1]
	v_cndmask_b32_e64 v18, |v8|, 1.0, vcc
	v_cmp_neq_f32_e32 vcc, v37, v18
	v_cmp_gt_f32_e64 s[0:1], 1.0, v38
	s_xor_b64 s[0:1], vcc, s[0:1]
	v_cndmask_b32_e64 v19, v18, 0, s[0:1]
	v_cmp_eq_f32_e32 vcc, 1.0, v38
	v_cmp_eq_f32_e64 s[0:1], 0, v6
	v_cmp_gt_f32_e64 s[4:5], 0, v37
	v_cndmask_b32_e32 v19, v19, v38, vcc
	v_cmp_eq_f32_e32 vcc, s26, v18
	s_xor_b64 s[4:5], s[4:5], s[0:1]
	v_cndmask_b32_e32 v0, v0, v19, vcc
	v_cmp_eq_f32_e32 vcc, s26, v38
	v_cndmask_b32_e64 v18, v11, 0, s[4:5]
	v_cndmask_b32_e64 v19, 0, v6, s[2:3]
	v_bfi_b32 v18, s30, v18, v19
	s_or_b64 vcc, vcc, s[0:1]
	v_cndmask_b32_e32 v0, v0, v18, vcc
	v_cmp_o_f32_e32 vcc, v6, v37
	v_and_b32_e32 v36, 0xffff0000, v7
	v_cndmask_b32_e32 v32, v12, v0, vcc
	v_cmp_eq_f32_e32 vcc, 1.0, v36
	v_cndmask_b32_e64 v37, v8, 1.0, vcc
	v_bfe_u32 v0, v32, 16, 1
	v_cmp_eq_f32_e64 s[0:1], 0, v37
	v_add3_u32 v0, v32, v0, s31
	v_cndmask_b32_e64 v38, |v36|, 1.0, s[0:1]
	v_lshrrev_b32_e32 v33, 16, v0
	v_frexp_mant_f32_e32 v0, v38
	v_cmp_gt_f32_e64 s[2:3], s23, v0
	v_cndmask_b32_e64 v6, 1.0, 2.0, s[2:3]
	v_mul_f32_e32 v0, v0, v6
	v_add_f32_e32 v6, 1.0, v0
	v_rcp_f32_e32 v24, v6
	v_add_f32_e32 v7, -1.0, v6
	v_sub_f32_e32 v19, v0, v7
	v_add_f32_e32 v7, -1.0, v0
	v_mul_f32_e32 v0, v7, v24
	v_mul_f32_e32 v18, v6, v0
	v_fma_f32 v20, v0, v6, -v18
	v_fmac_f32_e32 v20, v0, v19
	v_add_f32_e32 v6, v18, v20
	v_sub_f32_e32 v19, v7, v6
	v_pk_add_f32 v[22:23], v[6:7], v[18:19] neg_lo:[0,1] neg_hi:[0,1]
	v_mov_b32_e32 v21, v6
	v_pk_add_f32 v[6:7], v[22:23], v[20:21] neg_lo:[0,1] neg_hi:[0,1]
	v_add_f32_e32 v6, v6, v7
	v_add_f32_e32 v6, v19, v6
	v_mul_f32_e32 v7, v24, v6
	v_add_f32_e32 v6, v0, v7
	v_sub_f32_e32 v0, v6, v0
	v_sub_f32_e32 v28, v7, v0
	v_mul_f32_e32 v0, v6, v6
	v_fma_f32 v7, v6, v6, -v0
	v_add_f32_e32 v18, v28, v28
	v_fmac_f32_e32 v7, v6, v18
	v_add_f32_e32 v18, v0, v7
	v_mov_b32_e32 v19, 0x3e91f4c4
	v_fmac_f32_e32 v19, 0x3e76c4e1, v18
	v_fma_f32 v19, v18, v19, v9
	v_sub_f32_e32 v0, v18, v0
	v_sub_f32_e32 v29, v7, v0
	v_mul_f32_e32 v7, v18, v19
	v_fma_f32 v0, v18, v19, -v7
	v_fmac_f32_e32 v0, v29, v19
	v_add_f32_e32 v21, v7, v0
	v_sub_f32_e32 v20, v21, v7
	v_pk_add_f32 v[22:23], v[0:1], v[20:21] neg_lo:[0,1] neg_hi:[0,1]
	v_pk_add_f32 v[24:25], v[20:21], s[14:15]
	v_mov_b32_e32 v23, v25
	v_pk_add_f32 v[26:27], v[22:23], s[16:17]
	v_sub_f32_e32 v19, v21, v27
	v_mov_b32_e32 v7, v26
	v_pk_mul_f32 v[20:21], v[6:7], v[18:19]
	v_fma_f32 v22, v18, v6, -v20
	v_pk_add_f32 v[26:27], v[6:7], v[18:19]
	v_fmac_f32_e32 v22, v18, v28
	v_mov_b32_e32 v21, v27
	v_fmac_f32_e32 v22, v29, v6
	v_pk_add_f32 v[18:19], v[20:21], v[22:23]
	v_sub_f32_e32 v0, v18, v20
	v_sub_f32_e32 v7, v22, v0
	v_sub_f32_e32 v0, v25, v19
	v_add_f32_e32 v24, v27, v0
	v_mov_b32_e32 v0, v19
	v_cvt_f64_f32_e32 v[22:23], v38
	v_pk_mul_f32 v[20:21], v[18:19], v[0:1]
	v_frexp_exp_i32_f64_e32 v0, v[22:23]
	v_subbrev_co_u32_e64 v0, s[2:3], 0, v0, s[2:3]
	v_cvt_f32_i32_e32 v0, v0
	v_fma_f32 v22, v18, v19, -v20
	v_fmac_f32_e32 v22, v18, v24
	v_fmac_f32_e32 v22, v7, v19
	v_mul_f32_e32 v18, 0x3f317218, v0
	v_fma_f32 v24, v0, s24, -v18
	v_fmac_f32_e32 v24, 0xb102e308, v0
	v_ldexp_f32 v25, v6, 1
	v_add_f32_e32 v19, v20, v22
	v_pk_add_f32 v[6:7], v[18:19], v[24:25]
	v_mov_b32_e32 v26, v19
	v_mov_b32_e32 v27, v7
	;; [unrolled: 1-line block ×3, first 2 shown]
	v_pk_add_f32 v[20:21], v[26:27], v[20:21] neg_lo:[0,1] neg_hi:[0,1]
	v_mov_b32_e32 v23, v19
	v_ldexp_f32 v0, v28, 1
	v_pk_add_f32 v[20:21], v[22:23], v[20:21] neg_lo:[0,1] neg_hi:[0,1]
	v_add_f32_e32 v0, v0, v20
	v_add_f32_e32 v19, v0, v21
	v_pk_add_f32 v[20:21], v[6:7], v[18:19] neg_lo:[0,1] neg_hi:[0,1]
	v_pk_add_f32 v[22:23], v[6:7], v[18:19]
	v_mov_b32_e32 v26, v20
	v_mov_b32_e32 v27, v23
	;; [unrolled: 1-line block ×3, first 2 shown]
	v_pk_add_f32 v[26:27], v[24:25], v[26:27]
	v_mov_b32_e32 v0, v27
	v_pk_add_f32 v[28:29], v[0:1], v[6:7] neg_lo:[0,1] neg_hi:[0,1]
	v_mov_b32_e32 v29, v28
	v_mov_b32_e32 v26, v23
	v_mov_b32_e32 v6, v7
	v_mov_b32_e32 v7, v28
	v_pk_add_f32 v[20:21], v[24:25], v[20:21] neg_lo:[0,1] neg_hi:[0,1]
	v_pk_add_f32 v[30:31], v[22:23], v[28:29] neg_lo:[0,1] neg_hi:[0,1]
	;; [unrolled: 1-line block ×3, first 2 shown]
	v_mov_b32_e32 v24, v19
	v_pk_add_f32 v[6:7], v[24:25], v[6:7] neg_lo:[0,1] neg_hi:[0,1]
	v_mov_b32_e32 v30, v20
	v_pk_add_f32 v[18:19], v[30:31], v[6:7]
	v_mov_b32_e32 v22, v19
	v_pk_add_f32 v[22:23], v[18:19], v[22:23]
	v_pk_add_f32 v[24:25], v[0:1], v[22:23]
	v_mov_b32_e32 v21, v27
	v_mov_b32_e32 v19, v24
	v_pk_add_f32 v[26:27], v[18:19], v[20:21] neg_lo:[0,1] neg_hi:[0,1]
	v_mov_b32_e32 v7, v22
	v_sub_f32_e32 v0, v18, v26
	v_pk_add_f32 v[6:7], v[6:7], v[26:27] neg_lo:[0,1] neg_hi:[0,1]
	v_sub_f32_e32 v0, v20, v0
	v_add_f32_e32 v0, v6, v0
	v_add_f32_e32 v0, v0, v7
	;; [unrolled: 1-line block ×3, first 2 shown]
	v_sub_f32_e32 v7, v6, v24
	v_sub_f32_e32 v0, v0, v7
	v_mul_f32_e32 v7, v37, v6
	v_fma_f32 v6, v37, v6, -v7
	v_fmac_f32_e32 v6, v37, v0
	v_add_f32_e32 v0, v7, v6
	v_cmp_class_f32_e64 s[2:3], v7, s25
	v_sub_f32_e32 v18, v0, v7
	v_cndmask_b32_e64 v0, v0, v7, s[2:3]
	v_cmp_eq_f32_e64 s[2:3], s27, v0
	v_cndmask_b32_e64 v7, 0, v10, s[2:3]
	v_sub_f32_e32 v6, v6, v18
	v_sub_f32_e32 v18, v0, v7
	v_mul_f32_e32 v19, 0x3fb8aa3b, v18
	v_fma_f32 v20, v18, s28, -v19
	v_rndne_f32_e32 v21, v19
	v_fmac_f32_e32 v20, 0x32a5705f, v18
	v_sub_f32_e32 v19, v19, v21
	v_add_f32_e32 v19, v19, v20
	v_exp_f32_e32 v19, v19
	v_cvt_i32_f32_e32 v20, v21
	v_cmp_neq_f32_e64 s[2:3], |v0|, s26
	v_cndmask_b32_e64 v0, 0, v6, s[2:3]
	v_cmp_ngt_f32_e64 s[2:3], s29, v18
	v_ldexp_f32 v6, v19, v20
	v_cndmask_b32_e64 v6, 0, v6, s[2:3]
	v_cmp_nlt_f32_e64 s[2:3], s27, v18
	v_add_f32_e32 v0, v7, v0
	v_cndmask_b32_e64 v6, v11, v6, s[2:3]
	v_fma_f32 v0, v6, v0, v6
	v_cmp_class_f32_e64 s[2:3], v6, s25
	v_trunc_f32_e32 v7, v37
	v_cndmask_b32_e64 v0, v0, v6, s[2:3]
	v_cndmask_b32_e64 v6, v36, 1.0, s[0:1]
	v_cmp_eq_f32_e64 s[0:1], v7, v37
	v_mul_f32_e32 v7, 0.5, v37
	v_trunc_f32_e32 v18, v7
	v_cmp_neq_f32_e64 s[2:3], v18, v7
	s_and_b64 s[2:3], s[0:1], s[2:3]
	v_cndmask_b32_e64 v7, 1.0, v6, s[2:3]
	v_bfi_b32 v0, s30, v0, v7
	v_cndmask_b32_e64 v7, v12, v0, s[0:1]
	v_cmp_gt_f32_e64 s[0:1], 0, v6
	v_cndmask_b32_e64 v0, v0, v7, s[0:1]
	v_cndmask_b32_e64 v7, |v8|, 1.0, vcc
	v_cmp_neq_f32_e32 vcc, v37, v7
	v_cmp_gt_f32_e64 s[0:1], 1.0, v38
	s_xor_b64 s[0:1], vcc, s[0:1]
	v_cndmask_b32_e64 v18, v7, 0, s[0:1]
	v_cmp_eq_f32_e32 vcc, 1.0, v38
	v_cmp_eq_f32_e64 s[0:1], 0, v6
	v_cmp_gt_f32_e64 s[4:5], 0, v37
	v_cndmask_b32_e32 v18, v18, v38, vcc
	v_cmp_eq_f32_e32 vcc, s26, v7
	s_xor_b64 s[4:5], s[4:5], s[0:1]
	v_cndmask_b32_e32 v0, v0, v18, vcc
	v_cmp_eq_f32_e32 vcc, s26, v38
	v_cndmask_b32_e64 v7, v11, 0, s[4:5]
	v_cndmask_b32_e64 v18, 0, v6, s[2:3]
	v_bfi_b32 v7, s30, v7, v18
	s_or_b64 vcc, vcc, s[0:1]
	v_cndmask_b32_e32 v0, v0, v7, vcc
	v_cmp_o_f32_e32 vcc, v6, v37
	v_cndmask_b32_e32 v0, v12, v0, vcc
	v_bfe_u32 v6, v0, 16, 1
	v_add3_u32 v6, v0, v6, s31
	v_and_b32_e32 v6, 0xffff0000, v6
	v_cmp_o_f32_e32 vcc, v0, v0
	v_cndmask_b32_e32 v0, v12, v6, vcc
	v_cmp_o_f32_e32 vcc, v32, v32
	v_cndmask_b32_e32 v6, v13, v33, vcc
	;; [unrolled: 2-line block ×4, first 2 shown]
	v_or_b32_e32 v16, v16, v7
	v_or3_b32 v7, 0, v6, v0
	v_or3_b32 v6, v16, 0, 0
	v_cmp_le_i64_e32 vcc, s[20:21], v[2:3]
	v_cmp_lt_u64_e64 s[0:1], s[18:19], v[2:3]
	global_store_dwordx2 v[4:5], v[6:7], off
	s_or_b64 s[0:1], vcc, s[0:1]
	v_add_co_u32_e32 v4, vcc, s14, v4
	v_addc_co_u32_e32 v5, vcc, v5, v14, vcc
	s_and_b64 s[0:1], exec, s[0:1]
	v_add_co_u32_e32 v2, vcc, s22, v2
	s_or_b64 s[12:13], s[0:1], s[12:13]
	v_addc_co_u32_e32 v3, vcc, v3, v15, vcc
	s_andn2_b64 exec, exec, s[12:13]
	s_cbranch_execnz .LBB60_24
.LBB60_25:
	s_endpgm
	.section	.rodata,"a",@progbits
	.p2align	6, 0x0
	.amdhsa_kernel _ZN2at6native12_GLOBAL__N_125multi_tensor_apply_kernelINS1_18TensorListMetadataILi1EEENS1_21BinaryOpScalarFunctorIN3c108BFloat16ELi1ELi1ELi0EEEJNS1_13power_functorIfEEfEEEvT_T0_DpT1_
		.amdhsa_group_segment_fixed_size 0
		.amdhsa_private_segment_fixed_size 0
		.amdhsa_kernarg_size 3632
		.amdhsa_user_sgpr_count 6
		.amdhsa_user_sgpr_private_segment_buffer 1
		.amdhsa_user_sgpr_dispatch_ptr 0
		.amdhsa_user_sgpr_queue_ptr 0
		.amdhsa_user_sgpr_kernarg_segment_ptr 1
		.amdhsa_user_sgpr_dispatch_id 0
		.amdhsa_user_sgpr_flat_scratch_init 0
		.amdhsa_user_sgpr_kernarg_preload_length 0
		.amdhsa_user_sgpr_kernarg_preload_offset 0
		.amdhsa_user_sgpr_private_segment_size 0
		.amdhsa_uses_dynamic_stack 0
		.amdhsa_system_sgpr_private_segment_wavefront_offset 0
		.amdhsa_system_sgpr_workgroup_id_x 1
		.amdhsa_system_sgpr_workgroup_id_y 0
		.amdhsa_system_sgpr_workgroup_id_z 0
		.amdhsa_system_sgpr_workgroup_info 0
		.amdhsa_system_vgpr_workitem_id 0
		.amdhsa_next_free_vgpr 42
		.amdhsa_next_free_sgpr 52
		.amdhsa_accum_offset 44
		.amdhsa_reserve_vcc 1
		.amdhsa_reserve_flat_scratch 0
		.amdhsa_float_round_mode_32 0
		.amdhsa_float_round_mode_16_64 0
		.amdhsa_float_denorm_mode_32 3
		.amdhsa_float_denorm_mode_16_64 3
		.amdhsa_dx10_clamp 1
		.amdhsa_ieee_mode 1
		.amdhsa_fp16_overflow 0
		.amdhsa_tg_split 0
		.amdhsa_exception_fp_ieee_invalid_op 0
		.amdhsa_exception_fp_denorm_src 0
		.amdhsa_exception_fp_ieee_div_zero 0
		.amdhsa_exception_fp_ieee_overflow 0
		.amdhsa_exception_fp_ieee_underflow 0
		.amdhsa_exception_fp_ieee_inexact 0
		.amdhsa_exception_int_div_zero 0
	.end_amdhsa_kernel
	.section	.text._ZN2at6native12_GLOBAL__N_125multi_tensor_apply_kernelINS1_18TensorListMetadataILi1EEENS1_21BinaryOpScalarFunctorIN3c108BFloat16ELi1ELi1ELi0EEEJNS1_13power_functorIfEEfEEEvT_T0_DpT1_,"axG",@progbits,_ZN2at6native12_GLOBAL__N_125multi_tensor_apply_kernelINS1_18TensorListMetadataILi1EEENS1_21BinaryOpScalarFunctorIN3c108BFloat16ELi1ELi1ELi0EEEJNS1_13power_functorIfEEfEEEvT_T0_DpT1_,comdat
.Lfunc_end60:
	.size	_ZN2at6native12_GLOBAL__N_125multi_tensor_apply_kernelINS1_18TensorListMetadataILi1EEENS1_21BinaryOpScalarFunctorIN3c108BFloat16ELi1ELi1ELi0EEEJNS1_13power_functorIfEEfEEEvT_T0_DpT1_, .Lfunc_end60-_ZN2at6native12_GLOBAL__N_125multi_tensor_apply_kernelINS1_18TensorListMetadataILi1EEENS1_21BinaryOpScalarFunctorIN3c108BFloat16ELi1ELi1ELi0EEEJNS1_13power_functorIfEEfEEEvT_T0_DpT1_
                                        ; -- End function
	.section	.AMDGPU.csdata,"",@progbits
; Kernel info:
; codeLenInByte = 9968
; NumSgprs: 56
; NumVgprs: 42
; NumAgprs: 0
; TotalNumVgprs: 42
; ScratchSize: 0
; MemoryBound: 0
; FloatMode: 240
; IeeeMode: 1
; LDSByteSize: 0 bytes/workgroup (compile time only)
; SGPRBlocks: 6
; VGPRBlocks: 5
; NumSGPRsForWavesPerEU: 56
; NumVGPRsForWavesPerEU: 42
; AccumOffset: 44
; Occupancy: 8
; WaveLimiterHint : 0
; COMPUTE_PGM_RSRC2:SCRATCH_EN: 0
; COMPUTE_PGM_RSRC2:USER_SGPR: 6
; COMPUTE_PGM_RSRC2:TRAP_HANDLER: 0
; COMPUTE_PGM_RSRC2:TGID_X_EN: 1
; COMPUTE_PGM_RSRC2:TGID_Y_EN: 0
; COMPUTE_PGM_RSRC2:TGID_Z_EN: 0
; COMPUTE_PGM_RSRC2:TIDIG_COMP_CNT: 0
; COMPUTE_PGM_RSRC3_GFX90A:ACCUM_OFFSET: 10
; COMPUTE_PGM_RSRC3_GFX90A:TG_SPLIT: 0
	.section	.text._ZN2at6native12_GLOBAL__N_125multi_tensor_apply_kernelINS1_18TensorListMetadataILi2EEENS1_21BinaryOpScalarFunctorIhLi2ELi1ELi1EEEJNS1_13power_functorIhEEhEEEvT_T0_DpT1_,"axG",@progbits,_ZN2at6native12_GLOBAL__N_125multi_tensor_apply_kernelINS1_18TensorListMetadataILi2EEENS1_21BinaryOpScalarFunctorIhLi2ELi1ELi1EEEJNS1_13power_functorIhEEhEEEvT_T0_DpT1_,comdat
	.globl	_ZN2at6native12_GLOBAL__N_125multi_tensor_apply_kernelINS1_18TensorListMetadataILi2EEENS1_21BinaryOpScalarFunctorIhLi2ELi1ELi1EEEJNS1_13power_functorIhEEhEEEvT_T0_DpT1_ ; -- Begin function _ZN2at6native12_GLOBAL__N_125multi_tensor_apply_kernelINS1_18TensorListMetadataILi2EEENS1_21BinaryOpScalarFunctorIhLi2ELi1ELi1EEEJNS1_13power_functorIhEEhEEEvT_T0_DpT1_
	.p2align	8
	.type	_ZN2at6native12_GLOBAL__N_125multi_tensor_apply_kernelINS1_18TensorListMetadataILi2EEENS1_21BinaryOpScalarFunctorIhLi2ELi1ELi1EEEJNS1_13power_functorIhEEhEEEvT_T0_DpT1_,@function
_ZN2at6native12_GLOBAL__N_125multi_tensor_apply_kernelINS1_18TensorListMetadataILi2EEENS1_21BinaryOpScalarFunctorIhLi2ELi1ELi1EEEJNS1_13power_functorIhEEhEEEvT_T0_DpT1_: ; @_ZN2at6native12_GLOBAL__N_125multi_tensor_apply_kernelINS1_18TensorListMetadataILi2EEENS1_21BinaryOpScalarFunctorIhLi2ELi1ELi1EEEJNS1_13power_functorIhEEhEEEvT_T0_DpT1_
; %bb.0:
	v_mov_b32_e32 v1, s6
	global_load_ubyte v1, v1, s[4:5] offset:1536
	s_load_dword s0, s[4:5], 0xc48
	s_mul_i32 s2, s6, 3
	s_mul_hi_u32 s1, s6, 3
	s_waitcnt lgkmcnt(0)
	s_lshr_b32 s22, s0, 16
	s_add_u32 s0, s4, s6
	s_addc_u32 s3, s5, 0
	s_add_u32 s0, s0, s2
	s_addc_u32 s1, s3, s1
	s_load_dword s0, s[0:1], 0x740
	s_waitcnt vmcnt(0)
	v_readfirstlane_b32 s2, v1
	s_lshl_b32 s1, s2, 3
	s_load_dwordx2 s[2:3], s[4:5], s1 offset:0x0
	s_load_dwordx2 s[6:7], s[4:5], s1 offset:0x400
	;; [unrolled: 1-line block ×3, first 2 shown]
	s_waitcnt lgkmcnt(0)
	s_ashr_i32 s1, s0, 31
	s_lshl_b64 s[0:1], s[0:1], 16
	s_add_u32 s12, s2, s0
	s_addc_u32 s13, s3, s1
	s_add_u32 s23, s8, s0
	s_addc_u32 s24, s9, s1
	s_or_b64 s[2:3], s[6:7], s[12:13]
	s_or_b32 s2, s23, s2
	s_and_b32 s2, s2, 3
	s_sub_u32 s14, s6, s0
	s_subb_u32 s15, s7, s1
	s_cmp_eq_u32 s2, 0
	s_mov_b64 s[0:1], -1
	s_cbranch_scc1 .LBB61_32
; %bb.1:
	v_cmp_lt_i64_e64 s[0:1], s[14:15], 1
	s_and_b64 vcc, exec, s[0:1]
	s_cbranch_vccnz .LBB61_31
; %bb.2:
	s_load_dword s0, s[4:5], 0xc5c
	v_mov_b32_e32 v2, 0x10000
	v_mov_b32_e32 v3, 0
	v_cmp_lt_u64_e32 vcc, s[14:15], v[2:3]
	v_mov_b32_e32 v4, 0
	s_waitcnt lgkmcnt(0)
	s_and_b32 s25, s0, 0xffff
	s_and_b64 s[0:1], vcc, exec
	v_cmp_ne_u16_sdwa s[0:1], s22, v4 src0_sel:BYTE_0 src1_sel:DWORD
	s_mov_b32 s2, 0
	v_cndmask_b32_e64 v2, 0, 1, s[0:1]
	v_mov_b32_e32 v4, 0xffff
	s_cselect_b32 s17, s15, 0
	s_cselect_b32 s16, s14, 0x10000
	s_lshl_b32 s26, s25, 1
	s_mul_i32 s27, s25, 3
	s_lshl_b32 s28, s25, 2
	s_mov_b64 s[18:19], 0
	v_mov_b32_e32 v1, s2
	v_mov_b32_e32 v14, s2
	;; [unrolled: 1-line block ×3, first 2 shown]
	v_cmp_ne_u32_e64 s[0:1], 1, v2
	v_pk_mov_b32 v[2:3], s[14:15], s[14:15] op_sel:[0,1]
	v_mov_b32_e32 v5, 0
	v_mov_b32_e32 v16, 1
	s_branch .LBB61_4
.LBB61_3:                               ;   in Loop: Header=BB61_4 Depth=1
	s_or_b64 exec, exec, s[2:3]
	s_add_u32 s18, s18, s28
	s_addc_u32 s19, s19, 0
	v_cmp_ge_i64_e32 vcc, s[18:19], v[2:3]
	v_cmp_gt_u64_e64 s[2:3], s[18:19], v[4:5]
	s_or_b64 s[2:3], vcc, s[2:3]
	s_and_b64 vcc, exec, s[2:3]
	s_cbranch_vccnz .LBB61_31
.LBB61_4:                               ; =>This Loop Header: Depth=1
                                        ;     Child Loop BB61_14 Depth 2
                                        ;     Child Loop BB61_17 Depth 2
	;; [unrolled: 1-line block ×4, first 2 shown]
	v_mov_b32_e32 v7, s19
	v_add_co_u32_e32 v6, vcc, s18, v0
	v_addc_co_u32_e32 v7, vcc, 0, v7, vcc
	v_cmp_gt_u64_e64 s[2:3], s[16:17], v[6:7]
	v_mov_b32_e32 v21, 0
	s_and_saveexec_b64 s[6:7], s[2:3]
	s_cbranch_execz .LBB61_6
; %bb.5:                                ;   in Loop: Header=BB61_4 Depth=1
	v_mov_b32_e32 v9, s13
	v_add_co_u32_e32 v8, vcc, s12, v6
	v_addc_co_u32_e32 v9, vcc, v9, v7, vcc
	global_load_ubyte v21, v[8:9], off
.LBB61_6:                               ;   in Loop: Header=BB61_4 Depth=1
	s_or_b64 exec, exec, s[6:7]
	v_add_co_u32_e32 v8, vcc, s25, v6
	v_addc_co_u32_e32 v9, vcc, v7, v1, vcc
	v_cmp_gt_u64_e64 s[6:7], s[16:17], v[8:9]
	v_mov_b32_e32 v20, 0
	s_and_saveexec_b64 s[8:9], s[6:7]
	s_cbranch_execz .LBB61_8
; %bb.7:                                ;   in Loop: Header=BB61_4 Depth=1
	v_mov_b32_e32 v11, s13
	v_add_co_u32_e32 v10, vcc, s12, v8
	v_addc_co_u32_e32 v11, vcc, v11, v9, vcc
	global_load_ubyte v20, v[10:11], off
.LBB61_8:                               ;   in Loop: Header=BB61_4 Depth=1
	s_or_b64 exec, exec, s[8:9]
	v_add_co_u32_e32 v10, vcc, s26, v6
	v_addc_co_u32_e32 v11, vcc, v7, v14, vcc
	v_cmp_gt_u64_e64 s[8:9], s[16:17], v[10:11]
	v_mov_b32_e32 v17, 0
	v_mov_b32_e32 v19, 0
	s_and_saveexec_b64 s[10:11], s[8:9]
	s_cbranch_execz .LBB61_10
; %bb.9:                                ;   in Loop: Header=BB61_4 Depth=1
	v_mov_b32_e32 v13, s13
	v_add_co_u32_e32 v12, vcc, s12, v10
	v_addc_co_u32_e32 v13, vcc, v13, v11, vcc
	global_load_ubyte v19, v[12:13], off
.LBB61_10:                              ;   in Loop: Header=BB61_4 Depth=1
	s_or_b64 exec, exec, s[10:11]
	v_add_co_u32_e32 v12, vcc, s27, v6
	v_addc_co_u32_e32 v13, vcc, v7, v15, vcc
	v_cmp_gt_u64_e64 s[10:11], s[16:17], v[12:13]
	s_and_saveexec_b64 s[20:21], s[10:11]
	s_cbranch_execz .LBB61_12
; %bb.11:                               ;   in Loop: Header=BB61_4 Depth=1
	v_mov_b32_e32 v17, s13
	v_add_co_u32_e32 v22, vcc, s12, v12
	v_addc_co_u32_e32 v23, vcc, v17, v13, vcc
	global_load_ubyte v17, v[22:23], off
.LBB61_12:                              ;   in Loop: Header=BB61_4 Depth=1
	s_or_b64 exec, exec, s[20:21]
	v_mov_b32_e32 v18, 1
	s_and_b64 vcc, exec, s[0:1]
	s_cbranch_vccnz .LBB61_15
; %bb.13:                               ;   in Loop: Header=BB61_4 Depth=1
	s_mov_b32 s20, s22
.LBB61_14:                              ;   Parent Loop BB61_4 Depth=1
                                        ; =>  This Inner Loop Header: Depth=2
	s_bitcmp1_b32 s20, 0
	s_cselect_b64 vcc, -1, 0
	s_waitcnt vmcnt(0)
	v_cndmask_b32_e32 v22, 1, v21, vcc
	s_bfe_u32 s29, s20, 0x70001
	v_cmp_gt_u16_sdwa s[20:21], s20, v16 src0_sel:BYTE_0 src1_sel:DWORD
	v_mul_lo_u16_e32 v18, v22, v18
	v_mul_lo_u16_e32 v21, v21, v21
	s_and_b64 vcc, exec, s[20:21]
	s_mov_b32 s20, s29
	s_cbranch_vccnz .LBB61_14
.LBB61_15:                              ;   in Loop: Header=BB61_4 Depth=1
	s_and_b64 vcc, exec, s[0:1]
	v_mov_b32_e32 v22, 1
	s_waitcnt vmcnt(0)
	v_mov_b32_e32 v21, 1
	s_cbranch_vccnz .LBB61_20
; %bb.16:                               ;   in Loop: Header=BB61_4 Depth=1
	v_mov_b32_e32 v21, 1
	s_mov_b32 s20, s22
.LBB61_17:                              ;   Parent Loop BB61_4 Depth=1
                                        ; =>  This Inner Loop Header: Depth=2
	s_bitcmp1_b32 s20, 0
	s_cselect_b64 vcc, -1, 0
	v_cndmask_b32_e32 v22, 1, v20, vcc
	s_bfe_u32 s29, s20, 0x70001
	v_cmp_gt_u16_sdwa s[20:21], s20, v16 src0_sel:BYTE_0 src1_sel:DWORD
	v_mul_lo_u16_e32 v21, v22, v21
	v_mul_lo_u16_e32 v20, v20, v20
	s_and_b64 vcc, exec, s[20:21]
	s_mov_b32 s20, s29
	s_cbranch_vccnz .LBB61_17
; %bb.18:                               ;   in Loop: Header=BB61_4 Depth=1
	v_mov_b32_e32 v22, 1
	s_mov_b32 s20, s22
.LBB61_19:                              ;   Parent Loop BB61_4 Depth=1
                                        ; =>  This Inner Loop Header: Depth=2
	s_bitcmp1_b32 s20, 0
	s_cselect_b64 vcc, -1, 0
	v_cndmask_b32_e32 v20, 1, v19, vcc
	s_bfe_u32 s29, s20, 0x70001
	v_cmp_gt_u16_sdwa s[20:21], s20, v16 src0_sel:BYTE_0 src1_sel:DWORD
	v_mul_lo_u16_e32 v22, v20, v22
	v_mul_lo_u16_e32 v19, v19, v19
	s_and_b64 vcc, exec, s[20:21]
	s_mov_b32 s20, s29
	s_cbranch_vccnz .LBB61_19
.LBB61_20:                              ;   in Loop: Header=BB61_4 Depth=1
	v_mov_b32_e32 v19, 1
	s_and_b64 vcc, exec, s[0:1]
	s_cbranch_vccnz .LBB61_23
; %bb.21:                               ;   in Loop: Header=BB61_4 Depth=1
	s_mov_b32 s20, s22
.LBB61_22:                              ;   Parent Loop BB61_4 Depth=1
                                        ; =>  This Inner Loop Header: Depth=2
	s_bitcmp1_b32 s20, 0
	s_cselect_b64 vcc, -1, 0
	v_cndmask_b32_e32 v20, 1, v17, vcc
	s_bfe_u32 s29, s20, 0x70001
	v_cmp_gt_u16_sdwa s[20:21], s20, v16 src0_sel:BYTE_0 src1_sel:DWORD
	v_mul_lo_u16_e32 v19, v20, v19
	v_mul_lo_u16_e32 v17, v17, v17
	s_and_b64 vcc, exec, s[20:21]
	s_mov_b32 s20, s29
	s_cbranch_vccnz .LBB61_22
.LBB61_23:                              ;   in Loop: Header=BB61_4 Depth=1
	s_and_saveexec_b64 s[20:21], s[2:3]
	s_xor_b64 s[2:3], exec, s[20:21]
	s_cbranch_execnz .LBB61_27
; %bb.24:                               ;   in Loop: Header=BB61_4 Depth=1
	s_or_b64 exec, exec, s[2:3]
	s_and_saveexec_b64 s[2:3], s[6:7]
	s_cbranch_execnz .LBB61_28
.LBB61_25:                              ;   in Loop: Header=BB61_4 Depth=1
	s_or_b64 exec, exec, s[2:3]
	s_and_saveexec_b64 s[2:3], s[8:9]
	s_cbranch_execnz .LBB61_29
.LBB61_26:                              ;   in Loop: Header=BB61_4 Depth=1
	s_or_b64 exec, exec, s[2:3]
	s_and_saveexec_b64 s[2:3], s[10:11]
	s_cbranch_execz .LBB61_3
	s_branch .LBB61_30
.LBB61_27:                              ;   in Loop: Header=BB61_4 Depth=1
	v_mov_b32_e32 v17, s24
	v_add_co_u32_e32 v6, vcc, s23, v6
	v_addc_co_u32_e32 v7, vcc, v17, v7, vcc
	global_store_byte v[6:7], v18, off
	s_or_b64 exec, exec, s[2:3]
	s_and_saveexec_b64 s[2:3], s[6:7]
	s_cbranch_execz .LBB61_25
.LBB61_28:                              ;   in Loop: Header=BB61_4 Depth=1
	v_mov_b32_e32 v7, s24
	v_add_co_u32_e32 v6, vcc, s23, v8
	v_addc_co_u32_e32 v7, vcc, v7, v9, vcc
	global_store_byte v[6:7], v21, off
	s_or_b64 exec, exec, s[2:3]
	s_and_saveexec_b64 s[2:3], s[8:9]
	s_cbranch_execz .LBB61_26
.LBB61_29:                              ;   in Loop: Header=BB61_4 Depth=1
	v_mov_b32_e32 v7, s24
	v_add_co_u32_e32 v6, vcc, s23, v10
	v_addc_co_u32_e32 v7, vcc, v7, v11, vcc
	global_store_byte v[6:7], v22, off
	s_or_b64 exec, exec, s[2:3]
	s_and_saveexec_b64 s[2:3], s[10:11]
	s_cbranch_execz .LBB61_3
.LBB61_30:                              ;   in Loop: Header=BB61_4 Depth=1
	v_mov_b32_e32 v7, s24
	v_add_co_u32_e32 v6, vcc, s23, v12
	v_addc_co_u32_e32 v7, vcc, v7, v13, vcc
	global_store_byte v[6:7], v19, off
	s_branch .LBB61_3
.LBB61_31:
	s_mov_b64 s[0:1], 0
.LBB61_32:
	s_andn2_b64 vcc, exec, s[0:1]
	s_cbranch_vccnz .LBB61_46
; %bb.33:
	v_mov_b32_e32 v3, 0
	v_lshlrev_b32_e32 v2, 2, v0
	s_mov_b32 s2, 0
	v_cmp_gt_i64_e32 vcc, s[14:15], v[2:3]
	s_and_saveexec_b64 s[0:1], vcc
	s_cbranch_execz .LBB61_46
; %bb.34:
	s_load_dword s0, s[4:5], 0xc5c
	v_mov_b32_e32 v1, v3
	s_mov_b64 s[4:5], 0
	v_mov_b32_e32 v4, s13
	v_mov_b32_e32 v5, s24
	s_waitcnt lgkmcnt(0)
	s_and_b32 s8, s0, 0xffff
	v_cmp_ne_u16_sdwa s[0:1], s22, v3 src0_sel:BYTE_0 src1_sel:DWORD
	v_cndmask_b32_e64 v2, 0, 1, s[0:1]
	v_cmp_ne_u32_e64 s[0:1], 1, v2
	v_mov_b32_e32 v6, s2
	s_mov_b64 s[6:7], 0xffff
	v_mov_b32_e32 v7, 1
	v_mov_b32_e32 v8, 8
	s_branch .LBB61_36
.LBB61_35:                              ;   in Loop: Header=BB61_36 Depth=1
	v_add_co_u32_e32 v2, vcc, s23, v2
	v_addc_co_u32_e32 v3, vcc, v5, v3, vcc
	s_waitcnt vmcnt(0)
	v_and_b32_e32 v11, 0xff, v12
	v_lshlrev_b32_e32 v11, 16, v11
	v_add_co_u32_e32 v0, vcc, s8, v0
	v_lshl_or_b32 v11, v13, 24, v11
	v_lshlrev_b32_sdwa v10, v8, v10 dst_sel:DWORD dst_unused:UNUSED_PAD src0_sel:DWORD src1_sel:BYTE_0
	v_and_b32_e32 v9, 0xff, v9
	v_addc_co_u32_e32 v1, vcc, v1, v6, vcc
	v_or3_b32 v9, v11, v10, v9
	v_lshlrev_b64 v[10:11], 2, v[0:1]
	v_cmp_le_i64_e32 vcc, s[14:15], v[10:11]
	v_cmp_lt_u64_e64 s[2:3], s[6:7], v[10:11]
	s_or_b64 s[2:3], vcc, s[2:3]
	s_and_b64 s[2:3], exec, s[2:3]
	s_or_b64 s[4:5], s[2:3], s[4:5]
	global_store_dword v[2:3], v9, off
	s_andn2_b64 exec, exec, s[4:5]
	s_cbranch_execz .LBB61_46
.LBB61_36:                              ; =>This Loop Header: Depth=1
                                        ;     Child Loop BB61_38 Depth 2
                                        ;     Child Loop BB61_40 Depth 2
	;; [unrolled: 1-line block ×4, first 2 shown]
	v_lshlrev_b64 v[2:3], 2, v[0:1]
	v_add_co_u32_e32 v10, vcc, s12, v2
	v_addc_co_u32_e32 v11, vcc, v4, v3, vcc
	global_load_dword v11, v[10:11], off
	s_and_b64 vcc, exec, s[0:1]
	v_mov_b32_e32 v10, 1
	v_mov_b32_e32 v9, 1
	s_cbranch_vccnz .LBB61_41
; %bb.37:                               ;   in Loop: Header=BB61_36 Depth=1
	v_mov_b32_e32 v9, 1
	s_mov_b32 s2, s22
	s_waitcnt vmcnt(0)
	v_mov_b32_e32 v10, v11
.LBB61_38:                              ;   Parent Loop BB61_36 Depth=1
                                        ; =>  This Inner Loop Header: Depth=2
	s_bitcmp1_b32 s2, 0
	s_cselect_b64 vcc, -1, 0
	v_cndmask_b32_e32 v12, 1, v10, vcc
	s_bfe_u32 s9, s2, 0x70001
	v_cmp_gt_u16_sdwa s[2:3], s2, v7 src0_sel:BYTE_0 src1_sel:DWORD
	v_mul_lo_u16_e32 v9, v12, v9
	v_mul_lo_u16_e32 v10, v10, v10
	s_and_b64 vcc, exec, s[2:3]
	s_mov_b32 s2, s9
	s_cbranch_vccnz .LBB61_38
; %bb.39:                               ;   in Loop: Header=BB61_36 Depth=1
	v_lshrrev_b32_e32 v12, 8, v11
	v_mov_b32_e32 v10, 1
	s_mov_b32 s2, s22
.LBB61_40:                              ;   Parent Loop BB61_36 Depth=1
                                        ; =>  This Inner Loop Header: Depth=2
	s_bitcmp1_b32 s2, 0
	s_cselect_b64 vcc, -1, 0
	v_cndmask_b32_e32 v13, 1, v12, vcc
	s_bfe_u32 s9, s2, 0x70001
	v_cmp_gt_u16_sdwa s[2:3], s2, v7 src0_sel:BYTE_0 src1_sel:DWORD
	v_mul_lo_u16_e32 v10, v13, v10
	v_mul_lo_u16_e32 v12, v12, v12
	s_and_b64 vcc, exec, s[2:3]
	s_mov_b32 s2, s9
	s_cbranch_vccnz .LBB61_40
.LBB61_41:                              ;   in Loop: Header=BB61_36 Depth=1
	s_and_b64 vcc, exec, s[0:1]
	v_mov_b32_e32 v13, 1
	v_mov_b32_e32 v12, 1
	s_cbranch_vccnz .LBB61_35
; %bb.42:                               ;   in Loop: Header=BB61_36 Depth=1
	s_waitcnt vmcnt(0)
	v_lshrrev_b32_e32 v13, 16, v11
	v_mov_b32_e32 v12, 1
	s_mov_b32 s2, s22
.LBB61_43:                              ;   Parent Loop BB61_36 Depth=1
                                        ; =>  This Inner Loop Header: Depth=2
	s_bitcmp1_b32 s2, 0
	s_cselect_b64 vcc, -1, 0
	v_cndmask_b32_e32 v14, 1, v13, vcc
	s_bfe_u32 s9, s2, 0x70001
	v_cmp_gt_u16_sdwa s[2:3], s2, v7 src0_sel:BYTE_0 src1_sel:DWORD
	v_mul_lo_u16_e32 v12, v14, v12
	v_mul_lo_u16_e32 v13, v13, v13
	s_and_b64 vcc, exec, s[2:3]
	s_mov_b32 s2, s9
	s_cbranch_vccnz .LBB61_43
; %bb.44:                               ;   in Loop: Header=BB61_36 Depth=1
	v_lshrrev_b32_e32 v11, 24, v11
	v_mov_b32_e32 v13, 1
	s_mov_b32 s2, s22
.LBB61_45:                              ;   Parent Loop BB61_36 Depth=1
                                        ; =>  This Inner Loop Header: Depth=2
	s_bitcmp1_b32 s2, 0
	s_cselect_b64 vcc, -1, 0
	v_cndmask_b32_e32 v14, 1, v11, vcc
	s_bfe_u32 s9, s2, 0x70001
	v_cmp_gt_u16_sdwa s[2:3], s2, v7 src0_sel:BYTE_0 src1_sel:DWORD
	v_mul_lo_u16_e32 v13, v14, v13
	v_mul_lo_u16_e32 v11, v11, v11
	s_and_b64 vcc, exec, s[2:3]
	s_mov_b32 s2, s9
	s_cbranch_vccnz .LBB61_45
	s_branch .LBB61_35
.LBB61_46:
	s_endpgm
	.section	.rodata,"a",@progbits
	.p2align	6, 0x0
	.amdhsa_kernel _ZN2at6native12_GLOBAL__N_125multi_tensor_apply_kernelINS1_18TensorListMetadataILi2EEENS1_21BinaryOpScalarFunctorIhLi2ELi1ELi1EEEJNS1_13power_functorIhEEhEEEvT_T0_DpT1_
		.amdhsa_group_segment_fixed_size 0
		.amdhsa_private_segment_fixed_size 0
		.amdhsa_kernarg_size 3408
		.amdhsa_user_sgpr_count 6
		.amdhsa_user_sgpr_private_segment_buffer 1
		.amdhsa_user_sgpr_dispatch_ptr 0
		.amdhsa_user_sgpr_queue_ptr 0
		.amdhsa_user_sgpr_kernarg_segment_ptr 1
		.amdhsa_user_sgpr_dispatch_id 0
		.amdhsa_user_sgpr_flat_scratch_init 0
		.amdhsa_user_sgpr_kernarg_preload_length 0
		.amdhsa_user_sgpr_kernarg_preload_offset 0
		.amdhsa_user_sgpr_private_segment_size 0
		.amdhsa_uses_dynamic_stack 0
		.amdhsa_system_sgpr_private_segment_wavefront_offset 0
		.amdhsa_system_sgpr_workgroup_id_x 1
		.amdhsa_system_sgpr_workgroup_id_y 0
		.amdhsa_system_sgpr_workgroup_id_z 0
		.amdhsa_system_sgpr_workgroup_info 0
		.amdhsa_system_vgpr_workitem_id 0
		.amdhsa_next_free_vgpr 24
		.amdhsa_next_free_sgpr 30
		.amdhsa_accum_offset 24
		.amdhsa_reserve_vcc 1
		.amdhsa_reserve_flat_scratch 0
		.amdhsa_float_round_mode_32 0
		.amdhsa_float_round_mode_16_64 0
		.amdhsa_float_denorm_mode_32 3
		.amdhsa_float_denorm_mode_16_64 3
		.amdhsa_dx10_clamp 1
		.amdhsa_ieee_mode 1
		.amdhsa_fp16_overflow 0
		.amdhsa_tg_split 0
		.amdhsa_exception_fp_ieee_invalid_op 0
		.amdhsa_exception_fp_denorm_src 0
		.amdhsa_exception_fp_ieee_div_zero 0
		.amdhsa_exception_fp_ieee_overflow 0
		.amdhsa_exception_fp_ieee_underflow 0
		.amdhsa_exception_fp_ieee_inexact 0
		.amdhsa_exception_int_div_zero 0
	.end_amdhsa_kernel
	.section	.text._ZN2at6native12_GLOBAL__N_125multi_tensor_apply_kernelINS1_18TensorListMetadataILi2EEENS1_21BinaryOpScalarFunctorIhLi2ELi1ELi1EEEJNS1_13power_functorIhEEhEEEvT_T0_DpT1_,"axG",@progbits,_ZN2at6native12_GLOBAL__N_125multi_tensor_apply_kernelINS1_18TensorListMetadataILi2EEENS1_21BinaryOpScalarFunctorIhLi2ELi1ELi1EEEJNS1_13power_functorIhEEhEEEvT_T0_DpT1_,comdat
.Lfunc_end61:
	.size	_ZN2at6native12_GLOBAL__N_125multi_tensor_apply_kernelINS1_18TensorListMetadataILi2EEENS1_21BinaryOpScalarFunctorIhLi2ELi1ELi1EEEJNS1_13power_functorIhEEhEEEvT_T0_DpT1_, .Lfunc_end61-_ZN2at6native12_GLOBAL__N_125multi_tensor_apply_kernelINS1_18TensorListMetadataILi2EEENS1_21BinaryOpScalarFunctorIhLi2ELi1ELi1EEEJNS1_13power_functorIhEEhEEEvT_T0_DpT1_
                                        ; -- End function
	.section	.AMDGPU.csdata,"",@progbits
; Kernel info:
; codeLenInByte = 1540
; NumSgprs: 34
; NumVgprs: 24
; NumAgprs: 0
; TotalNumVgprs: 24
; ScratchSize: 0
; MemoryBound: 0
; FloatMode: 240
; IeeeMode: 1
; LDSByteSize: 0 bytes/workgroup (compile time only)
; SGPRBlocks: 4
; VGPRBlocks: 2
; NumSGPRsForWavesPerEU: 34
; NumVGPRsForWavesPerEU: 24
; AccumOffset: 24
; Occupancy: 8
; WaveLimiterHint : 0
; COMPUTE_PGM_RSRC2:SCRATCH_EN: 0
; COMPUTE_PGM_RSRC2:USER_SGPR: 6
; COMPUTE_PGM_RSRC2:TRAP_HANDLER: 0
; COMPUTE_PGM_RSRC2:TGID_X_EN: 1
; COMPUTE_PGM_RSRC2:TGID_Y_EN: 0
; COMPUTE_PGM_RSRC2:TGID_Z_EN: 0
; COMPUTE_PGM_RSRC2:TIDIG_COMP_CNT: 0
; COMPUTE_PGM_RSRC3_GFX90A:ACCUM_OFFSET: 5
; COMPUTE_PGM_RSRC3_GFX90A:TG_SPLIT: 0
	.section	.text._ZN2at6native12_GLOBAL__N_125multi_tensor_apply_kernelINS1_18TensorListMetadataILi2EEENS1_21BinaryOpScalarFunctorIaLi2ELi1ELi1EEEJNS1_13power_functorIaEEaEEEvT_T0_DpT1_,"axG",@progbits,_ZN2at6native12_GLOBAL__N_125multi_tensor_apply_kernelINS1_18TensorListMetadataILi2EEENS1_21BinaryOpScalarFunctorIaLi2ELi1ELi1EEEJNS1_13power_functorIaEEaEEEvT_T0_DpT1_,comdat
	.globl	_ZN2at6native12_GLOBAL__N_125multi_tensor_apply_kernelINS1_18TensorListMetadataILi2EEENS1_21BinaryOpScalarFunctorIaLi2ELi1ELi1EEEJNS1_13power_functorIaEEaEEEvT_T0_DpT1_ ; -- Begin function _ZN2at6native12_GLOBAL__N_125multi_tensor_apply_kernelINS1_18TensorListMetadataILi2EEENS1_21BinaryOpScalarFunctorIaLi2ELi1ELi1EEEJNS1_13power_functorIaEEaEEEvT_T0_DpT1_
	.p2align	8
	.type	_ZN2at6native12_GLOBAL__N_125multi_tensor_apply_kernelINS1_18TensorListMetadataILi2EEENS1_21BinaryOpScalarFunctorIaLi2ELi1ELi1EEEJNS1_13power_functorIaEEaEEEvT_T0_DpT1_,@function
_ZN2at6native12_GLOBAL__N_125multi_tensor_apply_kernelINS1_18TensorListMetadataILi2EEENS1_21BinaryOpScalarFunctorIaLi2ELi1ELi1EEEJNS1_13power_functorIaEEaEEEvT_T0_DpT1_: ; @_ZN2at6native12_GLOBAL__N_125multi_tensor_apply_kernelINS1_18TensorListMetadataILi2EEENS1_21BinaryOpScalarFunctorIaLi2ELi1ELi1EEEJNS1_13power_functorIaEEaEEEvT_T0_DpT1_
; %bb.0:
	v_mov_b32_e32 v1, s6
	global_load_ubyte v1, v1, s[4:5] offset:1536
	s_load_dword s0, s[4:5], 0xc48
	s_mul_i32 s2, s6, 3
	s_mul_hi_u32 s1, s6, 3
	s_waitcnt lgkmcnt(0)
	s_lshr_b32 s28, s0, 16
	s_add_u32 s0, s4, s6
	s_addc_u32 s3, s5, 0
	s_add_u32 s0, s0, s2
	s_addc_u32 s1, s3, s1
	s_load_dword s0, s[0:1], 0x740
	s_waitcnt vmcnt(0)
	v_readfirstlane_b32 s2, v1
	s_lshl_b32 s1, s2, 3
	s_load_dwordx2 s[2:3], s[4:5], s1 offset:0x0
	s_load_dwordx2 s[6:7], s[4:5], s1 offset:0x400
	;; [unrolled: 1-line block ×3, first 2 shown]
	s_waitcnt lgkmcnt(0)
	s_ashr_i32 s1, s0, 31
	s_lshl_b64 s[0:1], s[0:1], 16
	s_add_u32 s14, s2, s0
	s_addc_u32 s15, s3, s1
	s_add_u32 s29, s8, s0
	s_addc_u32 s30, s9, s1
	s_or_b64 s[2:3], s[6:7], s[14:15]
	s_or_b32 s2, s29, s2
	s_and_b32 s2, s2, 3
	s_sub_u32 s16, s6, s0
	s_subb_u32 s17, s7, s1
	s_cmp_eq_u32 s2, 0
	s_mov_b64 s[0:1], -1
	s_cbranch_scc1 .LBB62_77
; %bb.1:
	v_cmp_lt_i64_e64 s[0:1], s[16:17], 1
	s_and_b64 vcc, exec, s[0:1]
	s_cbranch_vccnz .LBB62_76
; %bb.2:
	s_load_dword s0, s[4:5], 0xc5c
	v_mov_b32_e32 v2, 0x10000
	v_mov_b32_e32 v3, 0
	v_cmp_lt_u64_e32 vcc, s[16:17], v[2:3]
	v_and_b32_e64 v1, s28, 1
	s_waitcnt lgkmcnt(0)
	s_and_b32 s31, s0, 0xffff
	s_and_b64 s[0:1], vcc, exec
	s_cselect_b32 s19, s17, 0
	s_cselect_b32 s18, s16, 0x10000
	s_lshl_b32 s33, s31, 1
	s_sext_i32_i8 s0, s28
	s_cmp_gt_i32 s0, -1
	v_cmp_eq_u16_e32 vcc, 0, v1
	v_mov_b32_e32 v4, 0
	s_cselect_b64 s[20:21], -1, 0
	s_and_b64 s[0:1], vcc, exec
	v_cmp_ne_u16_sdwa s[0:1], s28, v4 src0_sel:BYTE_0 src1_sel:DWORD
	v_cndmask_b32_e64 v2, 0, 1, s[0:1]
	s_mov_b32 s2, 0
	v_cmp_ne_u32_e64 s[0:1], 1, v2
	v_cndmask_b32_e64 v2, 0, 1, s[20:21]
	s_mul_i32 s34, s31, 3
	s_cselect_b32 s35, 1, 0xff
	s_lshl_b32 s36, s31, 2
	s_mov_b64 s[22:23], 0
	v_mov_b32_e32 v1, s2
	v_mov_b32_e32 v10, s2
	;; [unrolled: 1-line block ×3, first 2 shown]
	s_movk_i32 s37, 0xfe
	v_cmp_ne_u32_e64 s[2:3], 1, v2
	v_mov_b32_e32 v12, 1
	v_mov_b32_e32 v13, 2
	;; [unrolled: 1-line block ×3, first 2 shown]
	s_branch .LBB62_4
.LBB62_3:                               ;   in Loop: Header=BB62_4 Depth=1
	s_or_b64 exec, exec, s[6:7]
	s_add_u32 s22, s22, s36
	s_addc_u32 s23, s23, 0
	v_pk_mov_b32 v[2:3], s[16:17], s[16:17] op_sel:[0,1]
	v_cmp_ge_i64_e32 vcc, s[22:23], v[2:3]
	v_mov_b32_e32 v2, 0xffff
	v_mov_b32_e32 v3, 0
	v_cmp_gt_u64_e64 s[6:7], s[22:23], v[2:3]
	s_or_b64 s[6:7], vcc, s[6:7]
	s_and_b64 vcc, exec, s[6:7]
	s_cbranch_vccnz .LBB62_76
.LBB62_4:                               ; =>This Loop Header: Depth=1
                                        ;     Child Loop BB62_15 Depth 2
                                        ;     Child Loop BB62_20 Depth 2
                                        ;     Child Loop BB62_34 Depth 2
                                        ;     Child Loop BB62_48 Depth 2
	v_mov_b32_e32 v3, s23
	v_add_co_u32_e32 v2, vcc, s22, v0
	v_addc_co_u32_e32 v3, vcc, 0, v3, vcc
	v_cmp_gt_u64_e64 s[6:7], s[18:19], v[2:3]
	s_waitcnt vmcnt(0)
	v_mov_b32_e32 v18, 0
	s_and_saveexec_b64 s[8:9], s[6:7]
	s_cbranch_execz .LBB62_6
; %bb.5:                                ;   in Loop: Header=BB62_4 Depth=1
	v_mov_b32_e32 v5, s15
	v_add_co_u32_e32 v4, vcc, s14, v2
	v_addc_co_u32_e32 v5, vcc, v5, v3, vcc
	global_load_ubyte v18, v[4:5], off
.LBB62_6:                               ;   in Loop: Header=BB62_4 Depth=1
	s_or_b64 exec, exec, s[8:9]
	v_add_co_u32_e32 v4, vcc, s31, v2
	v_addc_co_u32_e32 v5, vcc, v3, v1, vcc
	v_cmp_gt_u64_e64 s[8:9], s[18:19], v[4:5]
	v_mov_b32_e32 v19, 0
	s_and_saveexec_b64 s[10:11], s[8:9]
	s_cbranch_execz .LBB62_8
; %bb.7:                                ;   in Loop: Header=BB62_4 Depth=1
	v_mov_b32_e32 v7, s15
	v_add_co_u32_e32 v6, vcc, s14, v4
	v_addc_co_u32_e32 v7, vcc, v7, v5, vcc
	global_load_ubyte v19, v[6:7], off
.LBB62_8:                               ;   in Loop: Header=BB62_4 Depth=1
	s_or_b64 exec, exec, s[10:11]
	v_add_co_u32_e32 v6, vcc, s33, v2
	v_addc_co_u32_e32 v7, vcc, v3, v10, vcc
	v_cmp_gt_u64_e64 s[10:11], s[18:19], v[6:7]
	v_mov_b32_e32 v15, 0
	v_mov_b32_e32 v17, 0
	s_and_saveexec_b64 s[12:13], s[10:11]
	s_cbranch_execz .LBB62_10
; %bb.9:                                ;   in Loop: Header=BB62_4 Depth=1
	v_mov_b32_e32 v9, s15
	v_add_co_u32_e32 v8, vcc, s14, v6
	v_addc_co_u32_e32 v9, vcc, v9, v7, vcc
	global_load_ubyte v17, v[8:9], off
.LBB62_10:                              ;   in Loop: Header=BB62_4 Depth=1
	s_or_b64 exec, exec, s[12:13]
	v_add_co_u32_e32 v8, vcc, s34, v2
	v_addc_co_u32_e32 v9, vcc, v3, v11, vcc
	v_cmp_gt_u64_e64 s[12:13], s[18:19], v[8:9]
	s_and_saveexec_b64 s[24:25], s[12:13]
	s_cbranch_execz .LBB62_12
; %bb.11:                               ;   in Loop: Header=BB62_4 Depth=1
	v_mov_b32_e32 v15, s15
	v_add_co_u32_e32 v20, vcc, s14, v8
	v_addc_co_u32_e32 v21, vcc, v15, v9, vcc
	global_load_ubyte v15, v[20:21], off
.LBB62_12:                              ;   in Loop: Header=BB62_4 Depth=1
	s_or_b64 exec, exec, s[24:25]
	s_and_b64 vcc, exec, s[20:21]
	s_cbranch_vccz .LBB62_16
; %bb.13:                               ;   in Loop: Header=BB62_4 Depth=1
	s_and_b64 vcc, exec, s[0:1]
	s_cbranch_vccnz .LBB62_21
; %bb.14:                               ;   in Loop: Header=BB62_4 Depth=1
	v_mov_b32_e32 v21, s28
	v_mov_b32_e32 v16, 1
	s_waitcnt vmcnt(0)
	v_mov_b32_e32 v20, v18
.LBB62_15:                              ;   Parent Loop BB62_4 Depth=1
                                        ; =>  This Inner Loop Header: Depth=2
	v_and_b32_e32 v22, 1, v21
	v_cmp_eq_u32_e32 vcc, 1, v22
	v_cndmask_b32_e32 v22, 1, v20, vcc
	v_mul_lo_u16_e32 v16, v22, v16
	v_lshrrev_b16_e32 v22, 7, v21
	v_and_b32_e32 v22, 1, v22
	v_add_u16_e32 v22, v21, v22
	v_add_u16_e32 v21, 1, v21
	v_ashrrev_i16_sdwa v22, v12, sext(v22) dst_sel:DWORD dst_unused:UNUSED_PAD src0_sel:DWORD src1_sel:BYTE_0
	v_cmp_gt_u16_sdwa s[24:25], v21, v13 src0_sel:BYTE_0 src1_sel:DWORD
	v_mul_lo_u16_e32 v20, v20, v20
	s_and_b64 vcc, exec, s[24:25]
	v_mov_b32_e32 v21, v22
	s_cbranch_vccnz .LBB62_15
	s_branch .LBB62_22
.LBB62_16:                              ;   in Loop: Header=BB62_4 Depth=1
                                        ; implicit-def: $vgpr16
	s_branch .LBB62_23
.LBB62_17:                              ;   in Loop: Header=BB62_4 Depth=1
	s_and_b64 vcc, exec, s[2:3]
	s_cbranch_vccnz .LBB62_30
.LBB62_18:                              ;   in Loop: Header=BB62_4 Depth=1
	s_and_b64 vcc, exec, s[0:1]
	s_cbranch_vccnz .LBB62_35
; %bb.19:                               ;   in Loop: Header=BB62_4 Depth=1
	v_mov_b32_e32 v21, s28
	s_waitcnt vmcnt(0)
	v_mov_b32_e32 v18, 1
	v_mov_b32_e32 v20, v19
.LBB62_20:                              ;   Parent Loop BB62_4 Depth=1
                                        ; =>  This Inner Loop Header: Depth=2
	v_and_b32_e32 v22, 1, v21
	v_cmp_eq_u32_e32 vcc, 1, v22
	v_cndmask_b32_e32 v22, 1, v20, vcc
	v_mul_lo_u16_e32 v18, v22, v18
	v_lshrrev_b16_e32 v22, 7, v21
	v_and_b32_e32 v22, 1, v22
	v_add_u16_e32 v22, v21, v22
	v_add_u16_e32 v21, 1, v21
	v_ashrrev_i16_sdwa v22, v12, sext(v22) dst_sel:DWORD dst_unused:UNUSED_PAD src0_sel:DWORD src1_sel:BYTE_0
	v_cmp_lt_u16_sdwa s[24:25], v21, v14 src0_sel:BYTE_0 src1_sel:DWORD
	v_mul_lo_u16_e32 v20, v20, v20
	s_and_b64 vcc, exec, s[24:25]
	v_mov_b32_e32 v21, v22
	s_cbranch_vccz .LBB62_20
	s_branch .LBB62_36
.LBB62_21:                              ;   in Loop: Header=BB62_4 Depth=1
	v_mov_b32_e32 v16, 1
.LBB62_22:                              ;   in Loop: Header=BB62_4 Depth=1
	s_cbranch_execnz .LBB62_17
.LBB62_23:                              ;   in Loop: Header=BB62_4 Depth=1
	s_waitcnt vmcnt(0)
	v_cmp_gt_i16_sdwa s[24:25], v18, s37 src0_sel:BYTE_0 src1_sel:DWORD
	s_and_saveexec_b64 s[26:27], s[24:25]
	s_xor_b64 s[24:25], exec, s[26:27]
; %bb.24:                               ;   in Loop: Header=BB62_4 Depth=1
                                        ; implicit-def: $vgpr18
; %bb.25:                               ;   in Loop: Header=BB62_4 Depth=1
	s_or_saveexec_b64 s[24:25], s[24:25]
	v_mov_b32_e32 v16, s35
	s_xor_b64 exec, exec, s[24:25]
	s_cbranch_execz .LBB62_29
; %bb.26:                               ;   in Loop: Header=BB62_4 Depth=1
	v_cmp_ne_u16_sdwa s[38:39], v18, v12 src0_sel:BYTE_0 src1_sel:DWORD
	v_mov_b32_e32 v16, 1
	s_and_saveexec_b64 s[26:27], s[38:39]
; %bb.27:                               ;   in Loop: Header=BB62_4 Depth=1
	v_mov_b32_e32 v16, 0
; %bb.28:                               ;   in Loop: Header=BB62_4 Depth=1
	s_or_b64 exec, exec, s[26:27]
.LBB62_29:                              ;   in Loop: Header=BB62_4 Depth=1
	s_or_b64 exec, exec, s[24:25]
	s_and_b64 vcc, exec, s[2:3]
	s_cbranch_vccz .LBB62_18
.LBB62_30:                              ;   in Loop: Header=BB62_4 Depth=1
                                        ; implicit-def: $vgpr18
	s_branch .LBB62_37
.LBB62_31:                              ;   in Loop: Header=BB62_4 Depth=1
	s_and_b64 vcc, exec, s[2:3]
	s_cbranch_vccnz .LBB62_44
.LBB62_32:                              ;   in Loop: Header=BB62_4 Depth=1
	s_and_b64 vcc, exec, s[0:1]
	s_cbranch_vccnz .LBB62_49
; %bb.33:                               ;   in Loop: Header=BB62_4 Depth=1
	v_mov_b32_e32 v21, s28
	s_waitcnt vmcnt(0)
	v_mov_b32_e32 v19, 1
	v_mov_b32_e32 v20, v17
.LBB62_34:                              ;   Parent Loop BB62_4 Depth=1
                                        ; =>  This Inner Loop Header: Depth=2
	v_and_b32_e32 v22, 1, v21
	v_cmp_eq_u32_e32 vcc, 1, v22
	v_cndmask_b32_e32 v22, 1, v20, vcc
	v_mul_lo_u16_e32 v19, v22, v19
	v_lshrrev_b16_e32 v22, 7, v21
	v_and_b32_e32 v22, 1, v22
	v_add_u16_e32 v22, v21, v22
	v_add_u16_e32 v21, 1, v21
	v_ashrrev_i16_sdwa v22, v12, sext(v22) dst_sel:DWORD dst_unused:UNUSED_PAD src0_sel:DWORD src1_sel:BYTE_0
	v_cmp_lt_u16_sdwa s[24:25], v21, v14 src0_sel:BYTE_0 src1_sel:DWORD
	v_mul_lo_u16_e32 v20, v20, v20
	s_and_b64 vcc, exec, s[24:25]
	v_mov_b32_e32 v21, v22
	s_cbranch_vccz .LBB62_34
	s_branch .LBB62_50
.LBB62_35:                              ;   in Loop: Header=BB62_4 Depth=1
	s_waitcnt vmcnt(0)
	v_mov_b32_e32 v18, 1
.LBB62_36:                              ;   in Loop: Header=BB62_4 Depth=1
	s_cbranch_execnz .LBB62_31
.LBB62_37:                              ;   in Loop: Header=BB62_4 Depth=1
	s_waitcnt vmcnt(0)
	v_cmp_gt_i16_sdwa s[24:25], v19, s37 src0_sel:BYTE_0 src1_sel:DWORD
	s_and_saveexec_b64 s[26:27], s[24:25]
	s_xor_b64 s[24:25], exec, s[26:27]
; %bb.38:                               ;   in Loop: Header=BB62_4 Depth=1
                                        ; implicit-def: $vgpr19
; %bb.39:                               ;   in Loop: Header=BB62_4 Depth=1
	s_or_saveexec_b64 s[24:25], s[24:25]
	v_mov_b32_e32 v18, s35
	s_xor_b64 exec, exec, s[24:25]
	s_cbranch_execz .LBB62_43
; %bb.40:                               ;   in Loop: Header=BB62_4 Depth=1
	v_cmp_ne_u16_sdwa s[38:39], v19, v12 src0_sel:BYTE_0 src1_sel:DWORD
	v_mov_b32_e32 v18, 1
	s_and_saveexec_b64 s[26:27], s[38:39]
; %bb.41:                               ;   in Loop: Header=BB62_4 Depth=1
	v_mov_b32_e32 v18, 0
; %bb.42:                               ;   in Loop: Header=BB62_4 Depth=1
	s_or_b64 exec, exec, s[26:27]
.LBB62_43:                              ;   in Loop: Header=BB62_4 Depth=1
	s_or_b64 exec, exec, s[24:25]
	s_and_b64 vcc, exec, s[2:3]
	s_cbranch_vccz .LBB62_32
.LBB62_44:                              ;   in Loop: Header=BB62_4 Depth=1
                                        ; implicit-def: $vgpr19
	s_branch .LBB62_51
.LBB62_45:                              ;   in Loop: Header=BB62_4 Depth=1
	s_and_b64 vcc, exec, s[2:3]
	s_cbranch_vccnz .LBB62_58
.LBB62_46:                              ;   in Loop: Header=BB62_4 Depth=1
	s_and_b64 vcc, exec, s[0:1]
	s_cbranch_vccnz .LBB62_59
; %bb.47:                               ;   in Loop: Header=BB62_4 Depth=1
	v_mov_b32_e32 v21, s28
	s_waitcnt vmcnt(0)
	v_mov_b32_e32 v17, 1
	v_mov_b32_e32 v20, v15
.LBB62_48:                              ;   Parent Loop BB62_4 Depth=1
                                        ; =>  This Inner Loop Header: Depth=2
	v_and_b32_e32 v22, 1, v21
	v_cmp_eq_u32_e32 vcc, 1, v22
	v_cndmask_b32_e32 v22, 1, v20, vcc
	v_mul_lo_u16_e32 v17, v22, v17
	v_lshrrev_b16_e32 v22, 7, v21
	v_and_b32_e32 v22, 1, v22
	v_add_u16_e32 v22, v21, v22
	v_add_u16_e32 v21, 1, v21
	v_ashrrev_i16_sdwa v22, v12, sext(v22) dst_sel:DWORD dst_unused:UNUSED_PAD src0_sel:DWORD src1_sel:BYTE_0
	v_cmp_lt_u16_sdwa s[24:25], v21, v14 src0_sel:BYTE_0 src1_sel:DWORD
	v_mul_lo_u16_e32 v20, v20, v20
	s_and_b64 vcc, exec, s[24:25]
	v_mov_b32_e32 v21, v22
	s_cbranch_vccz .LBB62_48
	s_branch .LBB62_60
.LBB62_49:                              ;   in Loop: Header=BB62_4 Depth=1
	s_waitcnt vmcnt(0)
	v_mov_b32_e32 v19, 1
.LBB62_50:                              ;   in Loop: Header=BB62_4 Depth=1
	s_cbranch_execnz .LBB62_45
.LBB62_51:                              ;   in Loop: Header=BB62_4 Depth=1
	s_waitcnt vmcnt(0)
	v_cmp_gt_i16_sdwa s[24:25], v17, s37 src0_sel:BYTE_0 src1_sel:DWORD
	s_and_saveexec_b64 s[26:27], s[24:25]
	s_xor_b64 s[24:25], exec, s[26:27]
; %bb.52:                               ;   in Loop: Header=BB62_4 Depth=1
                                        ; implicit-def: $vgpr17
; %bb.53:                               ;   in Loop: Header=BB62_4 Depth=1
	s_or_saveexec_b64 s[24:25], s[24:25]
	v_mov_b32_e32 v19, s35
	s_xor_b64 exec, exec, s[24:25]
	s_cbranch_execz .LBB62_57
; %bb.54:                               ;   in Loop: Header=BB62_4 Depth=1
	v_cmp_ne_u16_sdwa s[38:39], v17, v12 src0_sel:BYTE_0 src1_sel:DWORD
	v_mov_b32_e32 v19, 1
	s_and_saveexec_b64 s[26:27], s[38:39]
; %bb.55:                               ;   in Loop: Header=BB62_4 Depth=1
	v_mov_b32_e32 v19, 0
; %bb.56:                               ;   in Loop: Header=BB62_4 Depth=1
	s_or_b64 exec, exec, s[26:27]
.LBB62_57:                              ;   in Loop: Header=BB62_4 Depth=1
	s_or_b64 exec, exec, s[24:25]
	s_and_b64 vcc, exec, s[2:3]
	s_cbranch_vccz .LBB62_46
.LBB62_58:                              ;   in Loop: Header=BB62_4 Depth=1
                                        ; implicit-def: $vgpr17
	s_branch .LBB62_61
.LBB62_59:                              ;   in Loop: Header=BB62_4 Depth=1
	s_waitcnt vmcnt(0)
	v_mov_b32_e32 v17, 1
.LBB62_60:                              ;   in Loop: Header=BB62_4 Depth=1
	s_cbranch_execnz .LBB62_68
.LBB62_61:                              ;   in Loop: Header=BB62_4 Depth=1
	s_waitcnt vmcnt(0)
	v_cmp_gt_i16_sdwa s[24:25], v15, s37 src0_sel:BYTE_0 src1_sel:DWORD
	s_and_saveexec_b64 s[26:27], s[24:25]
	s_xor_b64 s[24:25], exec, s[26:27]
; %bb.62:                               ;   in Loop: Header=BB62_4 Depth=1
                                        ; implicit-def: $vgpr15
; %bb.63:                               ;   in Loop: Header=BB62_4 Depth=1
	s_or_saveexec_b64 s[24:25], s[24:25]
	v_mov_b32_e32 v17, s35
	s_xor_b64 exec, exec, s[24:25]
	s_cbranch_execz .LBB62_67
; %bb.64:                               ;   in Loop: Header=BB62_4 Depth=1
	v_cmp_ne_u16_sdwa s[38:39], v15, v12 src0_sel:BYTE_0 src1_sel:DWORD
	v_mov_b32_e32 v17, 1
	s_and_saveexec_b64 s[26:27], s[38:39]
; %bb.65:                               ;   in Loop: Header=BB62_4 Depth=1
	v_mov_b32_e32 v17, 0
; %bb.66:                               ;   in Loop: Header=BB62_4 Depth=1
	s_or_b64 exec, exec, s[26:27]
.LBB62_67:                              ;   in Loop: Header=BB62_4 Depth=1
	s_or_b64 exec, exec, s[24:25]
.LBB62_68:                              ;   in Loop: Header=BB62_4 Depth=1
	s_and_saveexec_b64 s[24:25], s[6:7]
	s_xor_b64 s[6:7], exec, s[24:25]
	s_cbranch_execnz .LBB62_72
; %bb.69:                               ;   in Loop: Header=BB62_4 Depth=1
	s_or_b64 exec, exec, s[6:7]
	s_and_saveexec_b64 s[6:7], s[8:9]
	s_cbranch_execnz .LBB62_73
.LBB62_70:                              ;   in Loop: Header=BB62_4 Depth=1
	s_or_b64 exec, exec, s[6:7]
	s_and_saveexec_b64 s[6:7], s[10:11]
	s_cbranch_execnz .LBB62_74
.LBB62_71:                              ;   in Loop: Header=BB62_4 Depth=1
	s_or_b64 exec, exec, s[6:7]
	s_and_saveexec_b64 s[6:7], s[12:13]
	s_cbranch_execz .LBB62_3
	s_branch .LBB62_75
.LBB62_72:                              ;   in Loop: Header=BB62_4 Depth=1
	s_waitcnt vmcnt(0)
	v_mov_b32_e32 v15, s30
	v_add_co_u32_e32 v2, vcc, s29, v2
	v_addc_co_u32_e32 v3, vcc, v15, v3, vcc
	global_store_byte v[2:3], v16, off
	s_or_b64 exec, exec, s[6:7]
	s_and_saveexec_b64 s[6:7], s[8:9]
	s_cbranch_execz .LBB62_70
.LBB62_73:                              ;   in Loop: Header=BB62_4 Depth=1
	v_mov_b32_e32 v3, s30
	v_add_co_u32_e32 v2, vcc, s29, v4
	v_addc_co_u32_e32 v3, vcc, v3, v5, vcc
	s_waitcnt vmcnt(0)
	global_store_byte v[2:3], v18, off
	s_or_b64 exec, exec, s[6:7]
	s_and_saveexec_b64 s[6:7], s[10:11]
	s_cbranch_execz .LBB62_71
.LBB62_74:                              ;   in Loop: Header=BB62_4 Depth=1
	v_mov_b32_e32 v3, s30
	v_add_co_u32_e32 v2, vcc, s29, v6
	v_addc_co_u32_e32 v3, vcc, v3, v7, vcc
	s_waitcnt vmcnt(0)
	global_store_byte v[2:3], v19, off
	s_or_b64 exec, exec, s[6:7]
	s_and_saveexec_b64 s[6:7], s[12:13]
	s_cbranch_execz .LBB62_3
.LBB62_75:                              ;   in Loop: Header=BB62_4 Depth=1
	v_mov_b32_e32 v3, s30
	v_add_co_u32_e32 v2, vcc, s29, v8
	v_addc_co_u32_e32 v3, vcc, v3, v9, vcc
	s_waitcnt vmcnt(0)
	global_store_byte v[2:3], v17, off
	s_branch .LBB62_3
.LBB62_76:
	s_mov_b64 s[0:1], 0
.LBB62_77:
	s_andn2_b64 vcc, exec, s[0:1]
	s_cbranch_vccnz .LBB62_135
; %bb.78:
	v_mov_b32_e32 v3, 0
	v_lshlrev_b32_e32 v2, 2, v0
	s_mov_b32 s18, 0
	v_cmp_gt_i64_e32 vcc, s[16:17], v[2:3]
	s_and_saveexec_b64 s[0:1], vcc
	s_cbranch_execz .LBB62_135
; %bb.79:
	s_sext_i32_i8 s0, s28
	v_and_b32_e64 v2, s28, 1
	s_cmp_gt_i32 s0, -1
	s_load_dword s2, s[4:5], 0xc5c
	v_cmp_eq_u16_e32 vcc, 0, v2
	s_cselect_b64 s[6:7], -1, 0
	s_and_b64 s[0:1], vcc, exec
	v_cmp_ne_u16_sdwa s[0:1], s28, v3 src0_sel:BYTE_0 src1_sel:DWORD
	v_cndmask_b32_e64 v2, 0, 1, s[0:1]
	v_cmp_ne_u32_e64 s[0:1], 1, v2
	v_cndmask_b32_e64 v2, 0, 1, s[6:7]
	v_mov_b32_e32 v1, v3
	s_cselect_b32 s19, 1, 0xff
	s_waitcnt lgkmcnt(0)
	s_and_b32 s20, s2, 0xffff
	s_mov_b64 s[8:9], 0
	v_mov_b32_e32 v4, s15
	s_movk_i32 s15, 0xfe
	v_cmp_ne_u32_e64 s[2:3], 1, v2
	s_mov_b64 s[10:11], 0xffff
	v_mov_b32_e32 v5, 1
	v_mov_b32_e32 v6, 2
	;; [unrolled: 1-line block ×4, first 2 shown]
	s_branch .LBB62_83
.LBB62_80:                              ;   in Loop: Header=BB62_83 Depth=1
	s_or_b64 exec, exec, s[12:13]
.LBB62_81:                              ;   in Loop: Header=BB62_83 Depth=1
	s_or_b64 exec, exec, s[4:5]
.LBB62_82:                              ;   in Loop: Header=BB62_83 Depth=1
	v_and_b32_e32 v12, 0xff, v12
	v_mov_b32_e32 v13, s30
	v_add_co_u32_e32 v2, vcc, s29, v2
	v_lshlrev_b32_e32 v12, 16, v12
	v_addc_co_u32_e32 v3, vcc, v13, v3, vcc
	v_lshl_or_b32 v10, v10, 24, v12
	v_lshlrev_b32_sdwa v11, v8, v11 dst_sel:DWORD dst_unused:UNUSED_PAD src0_sel:DWORD src1_sel:BYTE_0
	v_and_b32_e32 v9, 0xff, v9
	v_or3_b32 v9, v10, v11, v9
	v_mov_b32_e32 v10, s18
	v_add_co_u32_e32 v0, vcc, s20, v0
	v_addc_co_u32_e32 v1, vcc, v1, v10, vcc
	v_lshlrev_b64 v[10:11], 2, v[0:1]
	v_cmp_le_i64_e32 vcc, s[16:17], v[10:11]
	v_cmp_lt_u64_e64 s[4:5], s[10:11], v[10:11]
	s_or_b64 s[4:5], vcc, s[4:5]
	s_and_b64 s[4:5], exec, s[4:5]
	s_or_b64 s[8:9], s[4:5], s[8:9]
	global_store_dword v[2:3], v9, off
	s_andn2_b64 exec, exec, s[8:9]
	s_cbranch_execz .LBB62_135
.LBB62_83:                              ; =>This Loop Header: Depth=1
                                        ;     Child Loop BB62_86 Depth 2
                                        ;     Child Loop BB62_91 Depth 2
                                        ;     Child Loop BB62_103 Depth 2
                                        ;     Child Loop BB62_117 Depth 2
	v_lshlrev_b64 v[2:3], 2, v[0:1]
	v_add_co_u32_e32 v10, vcc, s14, v2
	v_addc_co_u32_e32 v11, vcc, v4, v3, vcc
	global_load_dword v10, v[10:11], off
	s_and_b64 vcc, exec, s[6:7]
	s_cbranch_vccz .LBB62_87
; %bb.84:                               ;   in Loop: Header=BB62_83 Depth=1
	s_and_b64 vcc, exec, s[0:1]
	s_cbranch_vccnz .LBB62_92
; %bb.85:                               ;   in Loop: Header=BB62_83 Depth=1
	v_mov_b32_e32 v12, s28
	v_mov_b32_e32 v9, 1
	s_waitcnt vmcnt(0)
	v_mov_b32_e32 v11, v10
.LBB62_86:                              ;   Parent Loop BB62_83 Depth=1
                                        ; =>  This Inner Loop Header: Depth=2
	v_and_b32_e32 v13, 1, v12
	v_cmp_eq_u32_e32 vcc, 1, v13
	v_cndmask_b32_e32 v13, 1, v11, vcc
	v_mul_lo_u16_e32 v9, v13, v9
	v_lshrrev_b16_e32 v13, 7, v12
	v_and_b32_e32 v13, 1, v13
	v_add_u16_e32 v13, v12, v13
	v_add_u16_e32 v12, 1, v12
	v_ashrrev_i16_sdwa v13, v5, sext(v13) dst_sel:DWORD dst_unused:UNUSED_PAD src0_sel:DWORD src1_sel:BYTE_0
	v_cmp_gt_u16_sdwa s[4:5], v12, v6 src0_sel:BYTE_0 src1_sel:DWORD
	v_mul_lo_u16_e32 v11, v11, v11
	s_and_b64 vcc, exec, s[4:5]
	v_mov_b32_e32 v12, v13
	s_cbranch_vccnz .LBB62_86
	s_branch .LBB62_93
.LBB62_87:                              ;   in Loop: Header=BB62_83 Depth=1
                                        ; implicit-def: $vgpr9
	s_branch .LBB62_94
.LBB62_88:                              ;   in Loop: Header=BB62_83 Depth=1
	s_and_b64 vcc, exec, s[2:3]
	s_waitcnt vmcnt(0)
	v_lshrrev_b32_e32 v12, 8, v10
	s_cbranch_vccnz .LBB62_99
.LBB62_89:                              ;   in Loop: Header=BB62_83 Depth=1
	s_and_b64 vcc, exec, s[0:1]
	s_cbranch_vccnz .LBB62_104
; %bb.90:                               ;   in Loop: Header=BB62_83 Depth=1
	v_mov_b32_e32 v14, s28
	v_mov_b32_e32 v11, 1
	v_mov_b32_e32 v13, v12
.LBB62_91:                              ;   Parent Loop BB62_83 Depth=1
                                        ; =>  This Inner Loop Header: Depth=2
	v_and_b32_e32 v15, 1, v14
	v_cmp_eq_u32_e32 vcc, 1, v15
	v_cndmask_b32_e32 v15, 1, v13, vcc
	v_mul_lo_u16_e32 v11, v15, v11
	v_lshrrev_b16_e32 v15, 7, v14
	v_and_b32_e32 v15, 1, v15
	v_add_u16_e32 v15, v14, v15
	v_add_u16_e32 v14, 1, v14
	v_ashrrev_i16_sdwa v15, v5, sext(v15) dst_sel:DWORD dst_unused:UNUSED_PAD src0_sel:DWORD src1_sel:BYTE_0
	v_cmp_lt_u16_sdwa s[4:5], v14, v7 src0_sel:BYTE_0 src1_sel:DWORD
	v_mul_lo_u16_e32 v13, v13, v13
	s_and_b64 vcc, exec, s[4:5]
	v_mov_b32_e32 v14, v15
	s_cbranch_vccz .LBB62_91
	s_branch .LBB62_105
.LBB62_92:                              ;   in Loop: Header=BB62_83 Depth=1
	v_mov_b32_e32 v9, 1
.LBB62_93:                              ;   in Loop: Header=BB62_83 Depth=1
	s_cbranch_execnz .LBB62_88
.LBB62_94:                              ;   in Loop: Header=BB62_83 Depth=1
	s_waitcnt vmcnt(0)
	v_cmp_gt_i16_sdwa s[4:5], v10, s15 src0_sel:BYTE_0 src1_sel:DWORD
	s_and_saveexec_b64 s[12:13], s[4:5]
	s_xor_b64 s[4:5], exec, s[12:13]
	s_or_saveexec_b64 s[4:5], s[4:5]
	v_mov_b32_e32 v9, s19
	s_xor_b64 exec, exec, s[4:5]
	s_cbranch_execz .LBB62_98
; %bb.95:                               ;   in Loop: Header=BB62_83 Depth=1
	v_cmp_ne_u16_sdwa s[22:23], v10, v5 src0_sel:BYTE_0 src1_sel:DWORD
	v_mov_b32_e32 v9, 1
	s_and_saveexec_b64 s[12:13], s[22:23]
; %bb.96:                               ;   in Loop: Header=BB62_83 Depth=1
	v_mov_b32_e32 v9, 0
; %bb.97:                               ;   in Loop: Header=BB62_83 Depth=1
	s_or_b64 exec, exec, s[12:13]
.LBB62_98:                              ;   in Loop: Header=BB62_83 Depth=1
	s_or_b64 exec, exec, s[4:5]
	s_and_b64 vcc, exec, s[2:3]
	v_lshrrev_b32_e32 v12, 8, v10
	s_cbranch_vccz .LBB62_89
.LBB62_99:                              ;   in Loop: Header=BB62_83 Depth=1
                                        ; implicit-def: $vgpr11
	s_branch .LBB62_106
.LBB62_100:                             ;   in Loop: Header=BB62_83 Depth=1
	s_and_b64 vcc, exec, s[2:3]
	v_lshrrev_b32_e32 v13, 16, v10
	s_cbranch_vccnz .LBB62_113
.LBB62_101:                             ;   in Loop: Header=BB62_83 Depth=1
	s_and_b64 vcc, exec, s[0:1]
	s_cbranch_vccnz .LBB62_118
; %bb.102:                              ;   in Loop: Header=BB62_83 Depth=1
	v_mov_b32_e32 v15, s28
	v_mov_b32_e32 v12, 1
	;; [unrolled: 1-line block ×3, first 2 shown]
.LBB62_103:                             ;   Parent Loop BB62_83 Depth=1
                                        ; =>  This Inner Loop Header: Depth=2
	v_and_b32_e32 v16, 1, v15
	v_cmp_eq_u32_e32 vcc, 1, v16
	v_cndmask_b32_e32 v16, 1, v14, vcc
	v_mul_lo_u16_e32 v12, v16, v12
	v_lshrrev_b16_e32 v16, 7, v15
	v_and_b32_e32 v16, 1, v16
	v_add_u16_e32 v16, v15, v16
	v_add_u16_e32 v15, 1, v15
	v_ashrrev_i16_sdwa v16, v5, sext(v16) dst_sel:DWORD dst_unused:UNUSED_PAD src0_sel:DWORD src1_sel:BYTE_0
	v_cmp_lt_u16_sdwa s[4:5], v15, v7 src0_sel:BYTE_0 src1_sel:DWORD
	v_mul_lo_u16_e32 v14, v14, v14
	s_and_b64 vcc, exec, s[4:5]
	v_mov_b32_e32 v15, v16
	s_cbranch_vccz .LBB62_103
	s_branch .LBB62_119
.LBB62_104:                             ;   in Loop: Header=BB62_83 Depth=1
	v_mov_b32_e32 v11, 1
.LBB62_105:                             ;   in Loop: Header=BB62_83 Depth=1
	s_cbranch_execnz .LBB62_100
.LBB62_106:                             ;   in Loop: Header=BB62_83 Depth=1
	v_cmp_gt_i16_sdwa s[4:5], v12, s15 src0_sel:BYTE_0 src1_sel:DWORD
	s_and_saveexec_b64 s[12:13], s[4:5]
	s_xor_b64 s[4:5], exec, s[12:13]
; %bb.107:                              ;   in Loop: Header=BB62_83 Depth=1
                                        ; implicit-def: $vgpr12
; %bb.108:                              ;   in Loop: Header=BB62_83 Depth=1
	s_or_saveexec_b64 s[4:5], s[4:5]
	v_mov_b32_e32 v11, s19
	s_xor_b64 exec, exec, s[4:5]
	s_cbranch_execz .LBB62_112
; %bb.109:                              ;   in Loop: Header=BB62_83 Depth=1
	v_cmp_ne_u16_sdwa s[22:23], v12, v5 src0_sel:BYTE_0 src1_sel:DWORD
	v_mov_b32_e32 v11, 1
	s_and_saveexec_b64 s[12:13], s[22:23]
; %bb.110:                              ;   in Loop: Header=BB62_83 Depth=1
	v_mov_b32_e32 v11, 0
; %bb.111:                              ;   in Loop: Header=BB62_83 Depth=1
	s_or_b64 exec, exec, s[12:13]
.LBB62_112:                             ;   in Loop: Header=BB62_83 Depth=1
	s_or_b64 exec, exec, s[4:5]
	s_and_b64 vcc, exec, s[2:3]
	v_lshrrev_b32_e32 v13, 16, v10
	s_cbranch_vccz .LBB62_101
.LBB62_113:                             ;   in Loop: Header=BB62_83 Depth=1
                                        ; implicit-def: $vgpr12
	s_branch .LBB62_120
.LBB62_114:                             ;   in Loop: Header=BB62_83 Depth=1
	s_and_b64 vcc, exec, s[2:3]
	v_lshrrev_b32_e32 v13, 24, v10
	s_cbranch_vccnz .LBB62_127
.LBB62_115:                             ;   in Loop: Header=BB62_83 Depth=1
	s_and_b64 vcc, exec, s[0:1]
	s_cbranch_vccnz .LBB62_128
; %bb.116:                              ;   in Loop: Header=BB62_83 Depth=1
	v_mov_b32_e32 v15, s28
	v_mov_b32_e32 v10, 1
	;; [unrolled: 1-line block ×3, first 2 shown]
.LBB62_117:                             ;   Parent Loop BB62_83 Depth=1
                                        ; =>  This Inner Loop Header: Depth=2
	v_and_b32_e32 v16, 1, v15
	v_cmp_eq_u32_e32 vcc, 1, v16
	v_cndmask_b32_e32 v16, 1, v14, vcc
	v_mul_lo_u16_e32 v10, v16, v10
	v_lshrrev_b16_e32 v16, 7, v15
	v_and_b32_e32 v16, 1, v16
	v_add_u16_e32 v16, v15, v16
	v_add_u16_e32 v15, 1, v15
	v_ashrrev_i16_sdwa v16, v5, sext(v16) dst_sel:DWORD dst_unused:UNUSED_PAD src0_sel:DWORD src1_sel:BYTE_0
	v_cmp_lt_u16_sdwa s[4:5], v15, v7 src0_sel:BYTE_0 src1_sel:DWORD
	v_mul_lo_u16_e32 v14, v14, v14
	s_and_b64 vcc, exec, s[4:5]
	v_mov_b32_e32 v15, v16
	s_cbranch_vccz .LBB62_117
	s_branch .LBB62_129
.LBB62_118:                             ;   in Loop: Header=BB62_83 Depth=1
	v_mov_b32_e32 v12, 1
.LBB62_119:                             ;   in Loop: Header=BB62_83 Depth=1
	s_cbranch_execnz .LBB62_114
.LBB62_120:                             ;   in Loop: Header=BB62_83 Depth=1
	v_cmp_gt_i16_sdwa s[4:5], v13, s15 src0_sel:BYTE_0 src1_sel:DWORD
	s_and_saveexec_b64 s[12:13], s[4:5]
	s_xor_b64 s[4:5], exec, s[12:13]
; %bb.121:                              ;   in Loop: Header=BB62_83 Depth=1
                                        ; implicit-def: $vgpr13
; %bb.122:                              ;   in Loop: Header=BB62_83 Depth=1
	s_or_saveexec_b64 s[4:5], s[4:5]
	v_mov_b32_e32 v12, s19
	s_xor_b64 exec, exec, s[4:5]
	s_cbranch_execz .LBB62_126
; %bb.123:                              ;   in Loop: Header=BB62_83 Depth=1
	v_cmp_ne_u16_sdwa s[22:23], v13, v5 src0_sel:BYTE_0 src1_sel:DWORD
	v_mov_b32_e32 v12, 1
	s_and_saveexec_b64 s[12:13], s[22:23]
; %bb.124:                              ;   in Loop: Header=BB62_83 Depth=1
	v_mov_b32_e32 v12, 0
; %bb.125:                              ;   in Loop: Header=BB62_83 Depth=1
	s_or_b64 exec, exec, s[12:13]
.LBB62_126:                             ;   in Loop: Header=BB62_83 Depth=1
	s_or_b64 exec, exec, s[4:5]
	s_and_b64 vcc, exec, s[2:3]
	v_lshrrev_b32_e32 v13, 24, v10
	s_cbranch_vccz .LBB62_115
.LBB62_127:                             ;   in Loop: Header=BB62_83 Depth=1
                                        ; implicit-def: $vgpr10
	s_branch .LBB62_130
.LBB62_128:                             ;   in Loop: Header=BB62_83 Depth=1
	v_mov_b32_e32 v10, 1
.LBB62_129:                             ;   in Loop: Header=BB62_83 Depth=1
	s_cbranch_execnz .LBB62_82
.LBB62_130:                             ;   in Loop: Header=BB62_83 Depth=1
	v_cmp_lt_i16_e32 vcc, s15, v13
	s_and_saveexec_b64 s[4:5], vcc
	s_xor_b64 s[4:5], exec, s[4:5]
; %bb.131:                              ;   in Loop: Header=BB62_83 Depth=1
                                        ; implicit-def: $vgpr13
; %bb.132:                              ;   in Loop: Header=BB62_83 Depth=1
	s_or_saveexec_b64 s[4:5], s[4:5]
	v_mov_b32_e32 v10, s19
	s_xor_b64 exec, exec, s[4:5]
	s_cbranch_execz .LBB62_81
; %bb.133:                              ;   in Loop: Header=BB62_83 Depth=1
	v_cmp_ne_u16_e32 vcc, 1, v13
	v_mov_b32_e32 v10, 1
	s_and_saveexec_b64 s[12:13], vcc
	s_cbranch_execz .LBB62_80
; %bb.134:                              ;   in Loop: Header=BB62_83 Depth=1
	v_mov_b32_e32 v10, 0
	s_branch .LBB62_80
.LBB62_135:
	s_endpgm
	.section	.rodata,"a",@progbits
	.p2align	6, 0x0
	.amdhsa_kernel _ZN2at6native12_GLOBAL__N_125multi_tensor_apply_kernelINS1_18TensorListMetadataILi2EEENS1_21BinaryOpScalarFunctorIaLi2ELi1ELi1EEEJNS1_13power_functorIaEEaEEEvT_T0_DpT1_
		.amdhsa_group_segment_fixed_size 0
		.amdhsa_private_segment_fixed_size 0
		.amdhsa_kernarg_size 3408
		.amdhsa_user_sgpr_count 6
		.amdhsa_user_sgpr_private_segment_buffer 1
		.amdhsa_user_sgpr_dispatch_ptr 0
		.amdhsa_user_sgpr_queue_ptr 0
		.amdhsa_user_sgpr_kernarg_segment_ptr 1
		.amdhsa_user_sgpr_dispatch_id 0
		.amdhsa_user_sgpr_flat_scratch_init 0
		.amdhsa_user_sgpr_kernarg_preload_length 0
		.amdhsa_user_sgpr_kernarg_preload_offset 0
		.amdhsa_user_sgpr_private_segment_size 0
		.amdhsa_uses_dynamic_stack 0
		.amdhsa_system_sgpr_private_segment_wavefront_offset 0
		.amdhsa_system_sgpr_workgroup_id_x 1
		.amdhsa_system_sgpr_workgroup_id_y 0
		.amdhsa_system_sgpr_workgroup_id_z 0
		.amdhsa_system_sgpr_workgroup_info 0
		.amdhsa_system_vgpr_workitem_id 0
		.amdhsa_next_free_vgpr 23
		.amdhsa_next_free_sgpr 40
		.amdhsa_accum_offset 24
		.amdhsa_reserve_vcc 1
		.amdhsa_reserve_flat_scratch 0
		.amdhsa_float_round_mode_32 0
		.amdhsa_float_round_mode_16_64 0
		.amdhsa_float_denorm_mode_32 3
		.amdhsa_float_denorm_mode_16_64 3
		.amdhsa_dx10_clamp 1
		.amdhsa_ieee_mode 1
		.amdhsa_fp16_overflow 0
		.amdhsa_tg_split 0
		.amdhsa_exception_fp_ieee_invalid_op 0
		.amdhsa_exception_fp_denorm_src 0
		.amdhsa_exception_fp_ieee_div_zero 0
		.amdhsa_exception_fp_ieee_overflow 0
		.amdhsa_exception_fp_ieee_underflow 0
		.amdhsa_exception_fp_ieee_inexact 0
		.amdhsa_exception_int_div_zero 0
	.end_amdhsa_kernel
	.section	.text._ZN2at6native12_GLOBAL__N_125multi_tensor_apply_kernelINS1_18TensorListMetadataILi2EEENS1_21BinaryOpScalarFunctorIaLi2ELi1ELi1EEEJNS1_13power_functorIaEEaEEEvT_T0_DpT1_,"axG",@progbits,_ZN2at6native12_GLOBAL__N_125multi_tensor_apply_kernelINS1_18TensorListMetadataILi2EEENS1_21BinaryOpScalarFunctorIaLi2ELi1ELi1EEEJNS1_13power_functorIaEEaEEEvT_T0_DpT1_,comdat
.Lfunc_end62:
	.size	_ZN2at6native12_GLOBAL__N_125multi_tensor_apply_kernelINS1_18TensorListMetadataILi2EEENS1_21BinaryOpScalarFunctorIaLi2ELi1ELi1EEEJNS1_13power_functorIaEEaEEEvT_T0_DpT1_, .Lfunc_end62-_ZN2at6native12_GLOBAL__N_125multi_tensor_apply_kernelINS1_18TensorListMetadataILi2EEENS1_21BinaryOpScalarFunctorIaLi2ELi1ELi1EEEJNS1_13power_functorIaEEaEEEvT_T0_DpT1_
                                        ; -- End function
	.section	.AMDGPU.csdata,"",@progbits
; Kernel info:
; codeLenInByte = 2608
; NumSgprs: 44
; NumVgprs: 23
; NumAgprs: 0
; TotalNumVgprs: 23
; ScratchSize: 0
; MemoryBound: 0
; FloatMode: 240
; IeeeMode: 1
; LDSByteSize: 0 bytes/workgroup (compile time only)
; SGPRBlocks: 5
; VGPRBlocks: 2
; NumSGPRsForWavesPerEU: 44
; NumVGPRsForWavesPerEU: 23
; AccumOffset: 24
; Occupancy: 8
; WaveLimiterHint : 0
; COMPUTE_PGM_RSRC2:SCRATCH_EN: 0
; COMPUTE_PGM_RSRC2:USER_SGPR: 6
; COMPUTE_PGM_RSRC2:TRAP_HANDLER: 0
; COMPUTE_PGM_RSRC2:TGID_X_EN: 1
; COMPUTE_PGM_RSRC2:TGID_Y_EN: 0
; COMPUTE_PGM_RSRC2:TGID_Z_EN: 0
; COMPUTE_PGM_RSRC2:TIDIG_COMP_CNT: 0
; COMPUTE_PGM_RSRC3_GFX90A:ACCUM_OFFSET: 5
; COMPUTE_PGM_RSRC3_GFX90A:TG_SPLIT: 0
	.section	.text._ZN2at6native12_GLOBAL__N_125multi_tensor_apply_kernelINS1_18TensorListMetadataILi2EEENS1_21BinaryOpScalarFunctorIiLi2ELi1ELi1EEEJNS1_13power_functorIiEEiEEEvT_T0_DpT1_,"axG",@progbits,_ZN2at6native12_GLOBAL__N_125multi_tensor_apply_kernelINS1_18TensorListMetadataILi2EEENS1_21BinaryOpScalarFunctorIiLi2ELi1ELi1EEEJNS1_13power_functorIiEEiEEEvT_T0_DpT1_,comdat
	.globl	_ZN2at6native12_GLOBAL__N_125multi_tensor_apply_kernelINS1_18TensorListMetadataILi2EEENS1_21BinaryOpScalarFunctorIiLi2ELi1ELi1EEEJNS1_13power_functorIiEEiEEEvT_T0_DpT1_ ; -- Begin function _ZN2at6native12_GLOBAL__N_125multi_tensor_apply_kernelINS1_18TensorListMetadataILi2EEENS1_21BinaryOpScalarFunctorIiLi2ELi1ELi1EEEJNS1_13power_functorIiEEiEEEvT_T0_DpT1_
	.p2align	8
	.type	_ZN2at6native12_GLOBAL__N_125multi_tensor_apply_kernelINS1_18TensorListMetadataILi2EEENS1_21BinaryOpScalarFunctorIiLi2ELi1ELi1EEEJNS1_13power_functorIiEEiEEEvT_T0_DpT1_,@function
_ZN2at6native12_GLOBAL__N_125multi_tensor_apply_kernelINS1_18TensorListMetadataILi2EEENS1_21BinaryOpScalarFunctorIiLi2ELi1ELi1EEEJNS1_13power_functorIiEEiEEEvT_T0_DpT1_: ; @_ZN2at6native12_GLOBAL__N_125multi_tensor_apply_kernelINS1_18TensorListMetadataILi2EEENS1_21BinaryOpScalarFunctorIiLi2ELi1ELi1EEEJNS1_13power_functorIiEEiEEEvT_T0_DpT1_
; %bb.0:
	v_mov_b32_e32 v1, s6
	global_load_ubyte v1, v1, s[4:5] offset:1536
	s_add_u32 s0, s4, s6
	s_mul_hi_u32 s1, s6, 3
	s_mul_i32 s6, s6, 3
	s_addc_u32 s2, s5, 0
	s_add_u32 s0, s0, s6
	s_addc_u32 s1, s2, s1
	s_load_dword s0, s[0:1], 0x740
	s_mov_b32 s3, 0
	s_mov_b32 s9, s3
	;; [unrolled: 1-line block ×3, first 2 shown]
	s_waitcnt lgkmcnt(0)
	s_ashr_i32 s1, s0, 31
	s_lshl_b64 s[16:17], s[0:1], 18
	s_waitcnt vmcnt(0)
	v_readfirstlane_b32 s2, v1
	s_lshl_b32 s2, s2, 3
	s_load_dwordx2 s[10:11], s[4:5], s2 offset:0x0
	s_load_dword s28, s[4:5], 0xc4c
	s_load_dwordx2 s[12:13], s[4:5], s2 offset:0x400
	s_load_dwordx2 s[14:15], s[4:5], s2 offset:0x200
	s_waitcnt lgkmcnt(0)
	s_add_u32 s29, s10, s16
	s_addc_u32 s33, s11, s17
	s_and_b32 s2, s29, 15
	s_add_u32 s30, s14, s16
	s_addc_u32 s31, s15, s17
	s_and_b32 s8, s12, 3
	s_and_b32 s6, s30, 15
	s_or_b64 s[2:3], s[2:3], s[8:9]
	s_or_b64 s[2:3], s[6:7], s[2:3]
	s_lshl_b64 s[0:1], s[0:1], 16
	s_sub_u32 s14, s12, s0
	s_subb_u32 s15, s13, s1
	s_cmp_eq_u64 s[2:3], 0
	s_mov_b64 s[0:1], -1
	s_cbranch_scc1 .LBB63_81
; %bb.1:
	v_cmp_lt_i64_e64 s[0:1], s[14:15], 1
	s_and_b64 vcc, exec, s[0:1]
	s_cbranch_vccnz .LBB63_80
; %bb.2:
	s_load_dword s0, s[4:5], 0xc5c
	v_mov_b32_e32 v2, 0x10000
	v_mov_b32_e32 v3, 0
	v_cmp_lt_u64_e32 vcc, s[14:15], v[2:3]
	s_mov_b32 s2, 0
	s_waitcnt lgkmcnt(0)
	s_and_b32 s34, s0, 0xffff
	s_and_b64 s[0:1], vcc, exec
	s_cselect_b32 s17, s15, 0
	s_cselect_b32 s16, s14, 0x10000
	s_lshl_b32 s35, s34, 1
	s_cmp_gt_i32 s28, -1
	s_cselect_b64 s[18:19], -1, 0
	s_cmp_lg_u32 s28, 0
	s_cselect_b64 s[0:1], -1, 0
	s_bitcmp0_b32 s28, 0
	v_cndmask_b32_e64 v2, 0, 1, s[0:1]
	v_cndmask_b32_e64 v3, 0, 1, s[18:19]
	s_mul_i32 s36, s34, 3
	s_cselect_b32 s37, 1, -1
	s_lshl_b32 s38, s34, 2
	s_mov_b64 s[20:21], 0
	v_mov_b32_e32 v1, s2
	v_mov_b32_e32 v10, s2
	;; [unrolled: 1-line block ×3, first 2 shown]
	v_cmp_ne_u32_e64 s[0:1], 1, v2
	v_cmp_ne_u32_e64 s[2:3], 1, v3
	s_branch .LBB63_4
.LBB63_3:                               ;   in Loop: Header=BB63_4 Depth=1
	s_or_b64 exec, exec, s[6:7]
	s_add_u32 s20, s20, s38
	s_addc_u32 s21, s21, 0
	v_pk_mov_b32 v[2:3], s[14:15], s[14:15] op_sel:[0,1]
	v_cmp_ge_i64_e32 vcc, s[20:21], v[2:3]
	v_mov_b32_e32 v2, 0xffff
	v_mov_b32_e32 v3, 0
	v_cmp_gt_u64_e64 s[6:7], s[20:21], v[2:3]
	s_or_b64 s[6:7], vcc, s[6:7]
	s_and_b64 vcc, exec, s[6:7]
	s_cbranch_vccnz .LBB63_80
.LBB63_4:                               ; =>This Loop Header: Depth=1
                                        ;     Child Loop BB63_15 Depth 2
                                        ;     Child Loop BB63_20 Depth 2
	;; [unrolled: 1-line block ×4, first 2 shown]
	v_mov_b32_e32 v2, s21
	v_add_co_u32_e32 v8, vcc, s20, v0
	v_addc_co_u32_e32 v9, vcc, 0, v2, vcc
	v_cmp_gt_u64_e64 s[6:7], s[16:17], v[8:9]
	v_lshlrev_b64 v[2:3], 2, v[8:9]
	s_waitcnt vmcnt(0)
	v_mov_b32_e32 v15, 0
	s_and_saveexec_b64 s[8:9], s[6:7]
	s_cbranch_execz .LBB63_6
; %bb.5:                                ;   in Loop: Header=BB63_4 Depth=1
	v_mov_b32_e32 v5, s33
	v_add_co_u32_e32 v4, vcc, s29, v2
	v_addc_co_u32_e32 v5, vcc, v5, v3, vcc
	global_load_dword v15, v[4:5], off
.LBB63_6:                               ;   in Loop: Header=BB63_4 Depth=1
	s_or_b64 exec, exec, s[8:9]
	v_add_co_u32_e32 v4, vcc, s34, v8
	v_addc_co_u32_e32 v5, vcc, v9, v1, vcc
	v_cmp_gt_u64_e64 s[8:9], s[16:17], v[4:5]
	v_lshlrev_b64 v[4:5], 2, v[4:5]
	v_mov_b32_e32 v16, 0
	s_and_saveexec_b64 s[10:11], s[8:9]
	s_cbranch_execz .LBB63_8
; %bb.7:                                ;   in Loop: Header=BB63_4 Depth=1
	v_mov_b32_e32 v7, s33
	v_add_co_u32_e32 v6, vcc, s29, v4
	v_addc_co_u32_e32 v7, vcc, v7, v5, vcc
	global_load_dword v16, v[6:7], off
.LBB63_8:                               ;   in Loop: Header=BB63_4 Depth=1
	s_or_b64 exec, exec, s[10:11]
	v_add_co_u32_e32 v6, vcc, s35, v8
	v_addc_co_u32_e32 v7, vcc, v9, v10, vcc
	v_cmp_gt_u64_e64 s[10:11], s[16:17], v[6:7]
	v_mov_b32_e32 v12, 0
	v_lshlrev_b64 v[6:7], 2, v[6:7]
	v_mov_b32_e32 v14, 0
	s_and_saveexec_b64 s[12:13], s[10:11]
	s_cbranch_execz .LBB63_10
; %bb.9:                                ;   in Loop: Header=BB63_4 Depth=1
	v_mov_b32_e32 v13, s33
	v_add_co_u32_e32 v18, vcc, s29, v6
	v_addc_co_u32_e32 v19, vcc, v13, v7, vcc
	global_load_dword v14, v[18:19], off
.LBB63_10:                              ;   in Loop: Header=BB63_4 Depth=1
	s_or_b64 exec, exec, s[12:13]
	v_add_co_u32_e32 v8, vcc, s36, v8
	v_addc_co_u32_e32 v9, vcc, v9, v11, vcc
	v_cmp_gt_u64_e64 s[12:13], s[16:17], v[8:9]
	v_lshlrev_b64 v[8:9], 2, v[8:9]
	s_and_saveexec_b64 s[22:23], s[12:13]
	s_cbranch_execz .LBB63_12
; %bb.11:                               ;   in Loop: Header=BB63_4 Depth=1
	v_mov_b32_e32 v13, s33
	v_add_co_u32_e32 v12, vcc, s29, v8
	v_addc_co_u32_e32 v13, vcc, v13, v9, vcc
	global_load_dword v12, v[12:13], off
.LBB63_12:                              ;   in Loop: Header=BB63_4 Depth=1
	s_or_b64 exec, exec, s[22:23]
	s_and_b64 vcc, exec, s[18:19]
	s_cbranch_vccz .LBB63_32
; %bb.13:                               ;   in Loop: Header=BB63_4 Depth=1
	s_and_b64 vcc, exec, s[0:1]
	v_mov_b32_e32 v13, 1
	s_cbranch_vccnz .LBB63_16
; %bb.14:                               ;   in Loop: Header=BB63_4 Depth=1
	v_mov_b32_e32 v13, 1
	s_mov_b32 s22, s28
	s_waitcnt vmcnt(0)
	v_mov_b32_e32 v17, v15
.LBB63_15:                              ;   Parent Loop BB63_4 Depth=1
                                        ; =>  This Inner Loop Header: Depth=2
	s_bitcmp1_b32 s22, 0
	s_cselect_b64 vcc, -1, 0
	v_cndmask_b32_e32 v18, 1, v17, vcc
	s_lshr_b32 s23, s22, 1
	v_mul_lo_u32 v13, v18, v13
	v_mul_lo_u32 v17, v17, v17
	s_cmp_gt_u32 s22, 1
	s_mov_b32 s22, s23
	s_cbranch_scc1 .LBB63_15
.LBB63_16:                              ;   in Loop: Header=BB63_4 Depth=1
	s_cbranch_execz .LBB63_33
; %bb.17:                               ;   in Loop: Header=BB63_4 Depth=1
	s_and_b64 vcc, exec, s[2:3]
	s_cbranch_vccnz .LBB63_39
.LBB63_18:                              ;   in Loop: Header=BB63_4 Depth=1
	s_and_b64 vcc, exec, s[0:1]
	s_waitcnt vmcnt(0)
	v_mov_b32_e32 v15, 1
	s_cbranch_vccnz .LBB63_21
; %bb.19:                               ;   in Loop: Header=BB63_4 Depth=1
	v_mov_b32_e32 v15, 1
	s_mov_b32 s22, s28
	v_mov_b32_e32 v17, v16
.LBB63_20:                              ;   Parent Loop BB63_4 Depth=1
                                        ; =>  This Inner Loop Header: Depth=2
	s_bitcmp1_b32 s22, 0
	s_cselect_b64 vcc, -1, 0
	v_cndmask_b32_e32 v18, 1, v17, vcc
	s_lshr_b32 s23, s22, 1
	v_mul_lo_u32 v15, v18, v15
	v_mul_lo_u32 v17, v17, v17
	s_cmp_lt_u32 s22, 2
	s_mov_b32 s22, s23
	s_cbranch_scc0 .LBB63_20
.LBB63_21:                              ;   in Loop: Header=BB63_4 Depth=1
	s_cbranch_execz .LBB63_40
; %bb.22:                               ;   in Loop: Header=BB63_4 Depth=1
	s_and_b64 vcc, exec, s[2:3]
	s_cbranch_vccnz .LBB63_46
.LBB63_23:                              ;   in Loop: Header=BB63_4 Depth=1
	s_and_b64 vcc, exec, s[0:1]
	s_waitcnt vmcnt(0)
	v_mov_b32_e32 v16, 1
	s_cbranch_vccnz .LBB63_26
; %bb.24:                               ;   in Loop: Header=BB63_4 Depth=1
	v_mov_b32_e32 v16, 1
	s_mov_b32 s22, s28
	v_mov_b32_e32 v17, v14
.LBB63_25:                              ;   Parent Loop BB63_4 Depth=1
                                        ; =>  This Inner Loop Header: Depth=2
	s_bitcmp1_b32 s22, 0
	s_cselect_b64 vcc, -1, 0
	v_cndmask_b32_e32 v18, 1, v17, vcc
	s_lshr_b32 s23, s22, 1
	v_mul_lo_u32 v16, v18, v16
	v_mul_lo_u32 v17, v17, v17
	s_cmp_lt_u32 s22, 2
	s_mov_b32 s22, s23
	s_cbranch_scc0 .LBB63_25
.LBB63_26:                              ;   in Loop: Header=BB63_4 Depth=1
	s_cbranch_execz .LBB63_47
; %bb.27:                               ;   in Loop: Header=BB63_4 Depth=1
	s_and_b64 vcc, exec, s[2:3]
	s_cbranch_vccnz .LBB63_53
.LBB63_28:                              ;   in Loop: Header=BB63_4 Depth=1
	s_and_b64 vcc, exec, s[0:1]
	s_waitcnt vmcnt(0)
	v_mov_b32_e32 v14, 1
	s_cbranch_vccnz .LBB63_31
; %bb.29:                               ;   in Loop: Header=BB63_4 Depth=1
	v_mov_b32_e32 v14, 1
	s_mov_b32 s22, s28
	v_mov_b32_e32 v17, v12
.LBB63_30:                              ;   Parent Loop BB63_4 Depth=1
                                        ; =>  This Inner Loop Header: Depth=2
	s_bitcmp1_b32 s22, 0
	s_cselect_b64 vcc, -1, 0
	v_cndmask_b32_e32 v18, 1, v17, vcc
	s_lshr_b32 s23, s22, 1
	v_mul_lo_u32 v14, v18, v14
	v_mul_lo_u32 v17, v17, v17
	s_cmp_lt_u32 s22, 2
	s_mov_b32 s22, s23
	s_cbranch_scc0 .LBB63_30
.LBB63_31:                              ;   in Loop: Header=BB63_4 Depth=1
	s_cbranch_execz .LBB63_54
	s_branch .LBB63_60
.LBB63_32:                              ;   in Loop: Header=BB63_4 Depth=1
                                        ; implicit-def: $vgpr13
.LBB63_33:                              ;   in Loop: Header=BB63_4 Depth=1
	s_waitcnt vmcnt(0)
	v_cmp_lt_i32_e32 vcc, 0, v15
	s_mov_b64 s[22:23], 0
	s_mov_b64 s[24:25], 0
	s_and_saveexec_b64 s[26:27], vcc
	s_xor_b64 s[26:27], exec, s[26:27]
	s_cbranch_execnz .LBB63_68
; %bb.34:                               ;   in Loop: Header=BB63_4 Depth=1
	s_andn2_saveexec_b64 s[26:27], s[26:27]
	s_cbranch_execnz .LBB63_69
.LBB63_35:                              ;   in Loop: Header=BB63_4 Depth=1
	s_or_b64 exec, exec, s[26:27]
	s_and_saveexec_b64 s[26:27], s[24:25]
	s_xor_b64 s[24:25], exec, s[26:27]
	s_cbranch_execnz .LBB63_70
.LBB63_36:                              ;   in Loop: Header=BB63_4 Depth=1
	s_or_b64 exec, exec, s[24:25]
	s_and_saveexec_b64 s[24:25], s[22:23]
.LBB63_37:                              ;   in Loop: Header=BB63_4 Depth=1
	v_mov_b32_e32 v15, s37
.LBB63_38:                              ;   in Loop: Header=BB63_4 Depth=1
	s_or_b64 exec, exec, s[24:25]
	v_mov_b32_e32 v13, v15
	s_and_b64 vcc, exec, s[2:3]
	s_cbranch_vccz .LBB63_18
.LBB63_39:                              ;   in Loop: Header=BB63_4 Depth=1
                                        ; implicit-def: $vgpr15
.LBB63_40:                              ;   in Loop: Header=BB63_4 Depth=1
	s_waitcnt vmcnt(0)
	v_cmp_lt_i32_e32 vcc, 0, v16
	s_mov_b64 s[22:23], 0
	s_mov_b64 s[24:25], 0
	s_and_saveexec_b64 s[26:27], vcc
	s_xor_b64 s[26:27], exec, s[26:27]
	s_cbranch_execnz .LBB63_71
; %bb.41:                               ;   in Loop: Header=BB63_4 Depth=1
	s_andn2_saveexec_b64 s[26:27], s[26:27]
	s_cbranch_execnz .LBB63_72
.LBB63_42:                              ;   in Loop: Header=BB63_4 Depth=1
	s_or_b64 exec, exec, s[26:27]
	s_and_saveexec_b64 s[26:27], s[24:25]
	s_xor_b64 s[24:25], exec, s[26:27]
	s_cbranch_execnz .LBB63_73
.LBB63_43:                              ;   in Loop: Header=BB63_4 Depth=1
	s_or_b64 exec, exec, s[24:25]
	s_and_saveexec_b64 s[24:25], s[22:23]
.LBB63_44:                              ;   in Loop: Header=BB63_4 Depth=1
	v_mov_b32_e32 v16, s37
.LBB63_45:                              ;   in Loop: Header=BB63_4 Depth=1
	s_or_b64 exec, exec, s[24:25]
	v_mov_b32_e32 v15, v16
	s_and_b64 vcc, exec, s[2:3]
	s_cbranch_vccz .LBB63_23
.LBB63_46:                              ;   in Loop: Header=BB63_4 Depth=1
                                        ; implicit-def: $vgpr16
.LBB63_47:                              ;   in Loop: Header=BB63_4 Depth=1
	s_waitcnt vmcnt(0)
	v_cmp_lt_i32_e32 vcc, 0, v14
	s_mov_b64 s[22:23], 0
	s_mov_b64 s[24:25], 0
	s_and_saveexec_b64 s[26:27], vcc
	s_xor_b64 s[26:27], exec, s[26:27]
	s_cbranch_execnz .LBB63_74
; %bb.48:                               ;   in Loop: Header=BB63_4 Depth=1
	s_andn2_saveexec_b64 s[26:27], s[26:27]
	s_cbranch_execnz .LBB63_75
.LBB63_49:                              ;   in Loop: Header=BB63_4 Depth=1
	s_or_b64 exec, exec, s[26:27]
	s_and_saveexec_b64 s[26:27], s[24:25]
	s_xor_b64 s[24:25], exec, s[26:27]
	s_cbranch_execnz .LBB63_76
.LBB63_50:                              ;   in Loop: Header=BB63_4 Depth=1
	s_or_b64 exec, exec, s[24:25]
	s_and_saveexec_b64 s[24:25], s[22:23]
.LBB63_51:                              ;   in Loop: Header=BB63_4 Depth=1
	v_mov_b32_e32 v14, s37
.LBB63_52:                              ;   in Loop: Header=BB63_4 Depth=1
	s_or_b64 exec, exec, s[24:25]
	v_mov_b32_e32 v16, v14
	s_and_b64 vcc, exec, s[2:3]
	s_cbranch_vccz .LBB63_28
.LBB63_53:                              ;   in Loop: Header=BB63_4 Depth=1
                                        ; implicit-def: $vgpr14
.LBB63_54:                              ;   in Loop: Header=BB63_4 Depth=1
	s_waitcnt vmcnt(0)
	v_cmp_lt_i32_e32 vcc, 0, v12
	s_mov_b64 s[22:23], 0
	s_mov_b64 s[24:25], 0
	s_and_saveexec_b64 s[26:27], vcc
	s_xor_b64 s[26:27], exec, s[26:27]
	s_cbranch_execnz .LBB63_77
; %bb.55:                               ;   in Loop: Header=BB63_4 Depth=1
	s_andn2_saveexec_b64 s[26:27], s[26:27]
	s_cbranch_execnz .LBB63_78
.LBB63_56:                              ;   in Loop: Header=BB63_4 Depth=1
	s_or_b64 exec, exec, s[26:27]
	s_and_saveexec_b64 s[26:27], s[24:25]
	s_xor_b64 s[24:25], exec, s[26:27]
	s_cbranch_execnz .LBB63_79
.LBB63_57:                              ;   in Loop: Header=BB63_4 Depth=1
	s_or_b64 exec, exec, s[24:25]
	s_and_saveexec_b64 s[24:25], s[22:23]
.LBB63_58:                              ;   in Loop: Header=BB63_4 Depth=1
	v_mov_b32_e32 v12, s37
.LBB63_59:                              ;   in Loop: Header=BB63_4 Depth=1
	s_or_b64 exec, exec, s[24:25]
	v_mov_b32_e32 v14, v12
.LBB63_60:                              ;   in Loop: Header=BB63_4 Depth=1
	s_and_saveexec_b64 s[22:23], s[6:7]
	s_xor_b64 s[6:7], exec, s[22:23]
	s_cbranch_execnz .LBB63_64
; %bb.61:                               ;   in Loop: Header=BB63_4 Depth=1
	s_or_b64 exec, exec, s[6:7]
	s_and_saveexec_b64 s[6:7], s[8:9]
	s_cbranch_execnz .LBB63_65
.LBB63_62:                              ;   in Loop: Header=BB63_4 Depth=1
	s_or_b64 exec, exec, s[6:7]
	s_and_saveexec_b64 s[6:7], s[10:11]
	s_cbranch_execnz .LBB63_66
.LBB63_63:                              ;   in Loop: Header=BB63_4 Depth=1
	s_or_b64 exec, exec, s[6:7]
	s_and_saveexec_b64 s[6:7], s[12:13]
	s_cbranch_execz .LBB63_3
	s_branch .LBB63_67
.LBB63_64:                              ;   in Loop: Header=BB63_4 Depth=1
	s_waitcnt vmcnt(0)
	v_mov_b32_e32 v12, s31
	v_add_co_u32_e32 v2, vcc, s30, v2
	v_addc_co_u32_e32 v3, vcc, v12, v3, vcc
	global_store_dword v[2:3], v13, off
	s_or_b64 exec, exec, s[6:7]
	s_and_saveexec_b64 s[6:7], s[8:9]
	s_cbranch_execz .LBB63_62
.LBB63_65:                              ;   in Loop: Header=BB63_4 Depth=1
	v_mov_b32_e32 v3, s31
	v_add_co_u32_e32 v2, vcc, s30, v4
	v_addc_co_u32_e32 v3, vcc, v3, v5, vcc
	s_waitcnt vmcnt(0)
	global_store_dword v[2:3], v15, off
	s_or_b64 exec, exec, s[6:7]
	s_and_saveexec_b64 s[6:7], s[10:11]
	s_cbranch_execz .LBB63_63
.LBB63_66:                              ;   in Loop: Header=BB63_4 Depth=1
	v_mov_b32_e32 v3, s31
	v_add_co_u32_e32 v2, vcc, s30, v6
	v_addc_co_u32_e32 v3, vcc, v3, v7, vcc
	s_waitcnt vmcnt(0)
	global_store_dword v[2:3], v16, off
	s_or_b64 exec, exec, s[6:7]
	s_and_saveexec_b64 s[6:7], s[12:13]
	s_cbranch_execz .LBB63_3
.LBB63_67:                              ;   in Loop: Header=BB63_4 Depth=1
	v_mov_b32_e32 v3, s31
	v_add_co_u32_e32 v2, vcc, s30, v8
	v_addc_co_u32_e32 v3, vcc, v3, v9, vcc
	s_waitcnt vmcnt(0)
	global_store_dword v[2:3], v14, off
	s_branch .LBB63_3
.LBB63_68:                              ;   in Loop: Header=BB63_4 Depth=1
	v_cmp_ne_u32_e32 vcc, 1, v15
	s_and_b64 s[24:25], vcc, exec
	s_andn2_saveexec_b64 s[26:27], s[26:27]
	s_cbranch_execz .LBB63_35
.LBB63_69:                              ;   in Loop: Header=BB63_4 Depth=1
	v_cmp_ne_u32_e32 vcc, -1, v15
	s_andn2_b64 s[24:25], s[24:25], exec
	s_and_b64 s[40:41], vcc, exec
	s_mov_b64 s[22:23], exec
	s_or_b64 s[24:25], s[24:25], s[40:41]
                                        ; implicit-def: $vgpr15
	s_or_b64 exec, exec, s[26:27]
	s_and_saveexec_b64 s[26:27], s[24:25]
	s_xor_b64 s[24:25], exec, s[26:27]
	s_cbranch_execz .LBB63_36
.LBB63_70:                              ;   in Loop: Header=BB63_4 Depth=1
	v_mov_b32_e32 v15, 0
	s_andn2_b64 s[22:23], s[22:23], exec
	s_or_b64 exec, exec, s[24:25]
	s_and_saveexec_b64 s[24:25], s[22:23]
	s_cbranch_execnz .LBB63_37
	s_branch .LBB63_38
.LBB63_71:                              ;   in Loop: Header=BB63_4 Depth=1
	v_cmp_ne_u32_e32 vcc, 1, v16
	s_and_b64 s[24:25], vcc, exec
	s_andn2_saveexec_b64 s[26:27], s[26:27]
	s_cbranch_execz .LBB63_42
.LBB63_72:                              ;   in Loop: Header=BB63_4 Depth=1
	v_cmp_ne_u32_e32 vcc, -1, v16
	s_andn2_b64 s[24:25], s[24:25], exec
	s_and_b64 s[40:41], vcc, exec
	s_mov_b64 s[22:23], exec
	s_or_b64 s[24:25], s[24:25], s[40:41]
                                        ; implicit-def: $vgpr16
	s_or_b64 exec, exec, s[26:27]
	s_and_saveexec_b64 s[26:27], s[24:25]
	s_xor_b64 s[24:25], exec, s[26:27]
	s_cbranch_execz .LBB63_43
.LBB63_73:                              ;   in Loop: Header=BB63_4 Depth=1
	v_mov_b32_e32 v16, 0
	s_andn2_b64 s[22:23], s[22:23], exec
	s_or_b64 exec, exec, s[24:25]
	s_and_saveexec_b64 s[24:25], s[22:23]
	s_cbranch_execnz .LBB63_44
	s_branch .LBB63_45
.LBB63_74:                              ;   in Loop: Header=BB63_4 Depth=1
	v_cmp_ne_u32_e32 vcc, 1, v14
	s_and_b64 s[24:25], vcc, exec
	s_andn2_saveexec_b64 s[26:27], s[26:27]
	s_cbranch_execz .LBB63_49
.LBB63_75:                              ;   in Loop: Header=BB63_4 Depth=1
	v_cmp_ne_u32_e32 vcc, -1, v14
	s_andn2_b64 s[24:25], s[24:25], exec
	s_and_b64 s[40:41], vcc, exec
	s_mov_b64 s[22:23], exec
	s_or_b64 s[24:25], s[24:25], s[40:41]
                                        ; implicit-def: $vgpr14
	s_or_b64 exec, exec, s[26:27]
	s_and_saveexec_b64 s[26:27], s[24:25]
	s_xor_b64 s[24:25], exec, s[26:27]
	s_cbranch_execz .LBB63_50
.LBB63_76:                              ;   in Loop: Header=BB63_4 Depth=1
	v_mov_b32_e32 v14, 0
	s_andn2_b64 s[22:23], s[22:23], exec
	s_or_b64 exec, exec, s[24:25]
	s_and_saveexec_b64 s[24:25], s[22:23]
	s_cbranch_execnz .LBB63_51
	s_branch .LBB63_52
.LBB63_77:                              ;   in Loop: Header=BB63_4 Depth=1
	v_cmp_ne_u32_e32 vcc, 1, v12
	s_and_b64 s[24:25], vcc, exec
	s_andn2_saveexec_b64 s[26:27], s[26:27]
	s_cbranch_execz .LBB63_56
.LBB63_78:                              ;   in Loop: Header=BB63_4 Depth=1
	v_cmp_ne_u32_e32 vcc, -1, v12
	s_andn2_b64 s[24:25], s[24:25], exec
	s_and_b64 s[40:41], vcc, exec
	s_mov_b64 s[22:23], exec
	s_or_b64 s[24:25], s[24:25], s[40:41]
                                        ; implicit-def: $vgpr12
	s_or_b64 exec, exec, s[26:27]
	s_and_saveexec_b64 s[26:27], s[24:25]
	s_xor_b64 s[24:25], exec, s[26:27]
	s_cbranch_execz .LBB63_57
.LBB63_79:                              ;   in Loop: Header=BB63_4 Depth=1
	v_mov_b32_e32 v12, 0
	s_andn2_b64 s[22:23], s[22:23], exec
	s_or_b64 exec, exec, s[24:25]
	s_and_saveexec_b64 s[24:25], s[22:23]
	s_cbranch_execnz .LBB63_58
	s_branch .LBB63_59
.LBB63_80:
	s_mov_b64 s[0:1], 0
.LBB63_81:
	s_andn2_b64 vcc, exec, s[0:1]
	s_cbranch_vccnz .LBB63_145
; %bb.82:
	v_mov_b32_e32 v3, 0
	v_lshlrev_b32_e32 v2, 2, v0
	s_mov_b32 s18, 0
	v_cmp_gt_i64_e32 vcc, s[14:15], v[2:3]
	s_and_saveexec_b64 s[0:1], vcc
	s_cbranch_execz .LBB63_145
; %bb.83:
	s_load_dword s2, s[4:5], 0xc5c
	s_cmp_gt_i32 s28, -1
	s_cselect_b64 s[6:7], -1, 0
	s_cmp_lg_u32 s28, 0
	s_cselect_b64 s[0:1], -1, 0
	v_mov_b32_e32 v1, v3
	s_bitcmp0_b32 s28, 0
	v_cndmask_b32_e64 v2, 0, 1, s[0:1]
	v_cndmask_b32_e64 v3, 0, 1, s[6:7]
	s_cselect_b32 s19, 1, -1
	s_waitcnt lgkmcnt(0)
	s_and_b32 s20, s2, 0xffff
	s_mov_b64 s[8:9], 0
	s_waitcnt vmcnt(0)
	v_mov_b32_e32 v12, s33
	v_cmp_ne_u32_e64 s[0:1], 1, v3
	s_mov_b64 s[10:11], 0xffff
	v_cmp_ne_u32_e64 s[2:3], 1, v2
	s_branch .LBB63_86
.LBB63_84:                              ;   in Loop: Header=BB63_86 Depth=1
	s_or_b64 exec, exec, s[12:13]
	v_mov_b32_e32 v9, v5
.LBB63_85:                              ;   in Loop: Header=BB63_86 Depth=1
	s_waitcnt vmcnt(0)
	v_mov_b32_e32 v3, s31
	v_add_co_u32_e32 v2, vcc, s30, v10
	v_addc_co_u32_e32 v3, vcc, v3, v11, vcc
	v_mov_b32_e32 v4, s18
	v_add_co_u32_e32 v0, vcc, s20, v0
	v_addc_co_u32_e32 v1, vcc, v1, v4, vcc
	v_lshlrev_b64 v[4:5], 2, v[0:1]
	v_cmp_le_i64_e32 vcc, s[14:15], v[4:5]
	v_cmp_lt_u64_e64 s[4:5], s[10:11], v[4:5]
	s_or_b64 s[4:5], vcc, s[4:5]
	s_and_b64 s[4:5], exec, s[4:5]
	s_or_b64 s[8:9], s[4:5], s[8:9]
	global_store_dwordx4 v[2:3], v[6:9], off
	s_andn2_b64 exec, exec, s[8:9]
	s_cbranch_execz .LBB63_145
.LBB63_86:                              ; =>This Loop Header: Depth=1
                                        ;     Child Loop BB63_89 Depth 2
                                        ;     Child Loop BB63_94 Depth 2
	;; [unrolled: 1-line block ×4, first 2 shown]
	v_lshlrev_b64 v[10:11], 4, v[0:1]
	v_add_co_u32_e32 v2, vcc, s29, v10
	v_addc_co_u32_e32 v3, vcc, v12, v11, vcc
	global_load_dwordx4 v[2:5], v[2:3], off
	s_and_b64 vcc, exec, s[6:7]
	s_cbranch_vccz .LBB63_106
; %bb.87:                               ;   in Loop: Header=BB63_86 Depth=1
	s_and_b64 vcc, exec, s[2:3]
	v_mov_b32_e32 v6, 1
	s_cbranch_vccnz .LBB63_90
; %bb.88:                               ;   in Loop: Header=BB63_86 Depth=1
	v_mov_b32_e32 v6, 1
	s_mov_b32 s4, s28
	s_waitcnt vmcnt(0)
	v_mov_b32_e32 v7, v2
.LBB63_89:                              ;   Parent Loop BB63_86 Depth=1
                                        ; =>  This Inner Loop Header: Depth=2
	s_bitcmp1_b32 s4, 0
	s_cselect_b64 vcc, -1, 0
	v_cndmask_b32_e32 v8, 1, v7, vcc
	s_lshr_b32 s5, s4, 1
	v_mul_lo_u32 v6, v8, v6
	v_mul_lo_u32 v7, v7, v7
	s_cmp_gt_u32 s4, 1
	s_mov_b32 s4, s5
	s_cbranch_scc1 .LBB63_89
.LBB63_90:                              ;   in Loop: Header=BB63_86 Depth=1
	s_cbranch_execz .LBB63_107
; %bb.91:                               ;   in Loop: Header=BB63_86 Depth=1
	s_and_b64 vcc, exec, s[0:1]
	s_cbranch_vccnz .LBB63_113
.LBB63_92:                              ;   in Loop: Header=BB63_86 Depth=1
	s_and_b64 vcc, exec, s[2:3]
	v_mov_b32_e32 v7, 1
	s_cbranch_vccnz .LBB63_95
; %bb.93:                               ;   in Loop: Header=BB63_86 Depth=1
	v_mov_b32_e32 v7, 1
	s_mov_b32 s4, s28
	s_waitcnt vmcnt(0)
	v_mov_b32_e32 v2, v3
.LBB63_94:                              ;   Parent Loop BB63_86 Depth=1
                                        ; =>  This Inner Loop Header: Depth=2
	s_bitcmp1_b32 s4, 0
	s_cselect_b64 vcc, -1, 0
	v_cndmask_b32_e32 v8, 1, v2, vcc
	s_lshr_b32 s5, s4, 1
	v_mul_lo_u32 v7, v8, v7
	v_mul_lo_u32 v2, v2, v2
	s_cmp_lt_u32 s4, 2
	s_mov_b32 s4, s5
	s_cbranch_scc0 .LBB63_94
.LBB63_95:                              ;   in Loop: Header=BB63_86 Depth=1
	s_cbranch_execz .LBB63_114
; %bb.96:                               ;   in Loop: Header=BB63_86 Depth=1
	s_and_b64 vcc, exec, s[0:1]
	s_cbranch_vccnz .LBB63_120
.LBB63_97:                              ;   in Loop: Header=BB63_86 Depth=1
	s_and_b64 vcc, exec, s[2:3]
	v_mov_b32_e32 v8, 1
	s_cbranch_vccnz .LBB63_100
; %bb.98:                               ;   in Loop: Header=BB63_86 Depth=1
	v_mov_b32_e32 v8, 1
	s_mov_b32 s4, s28
	s_waitcnt vmcnt(0)
	v_mov_b32_e32 v2, v4
.LBB63_99:                              ;   Parent Loop BB63_86 Depth=1
                                        ; =>  This Inner Loop Header: Depth=2
	s_bitcmp1_b32 s4, 0
	s_cselect_b64 vcc, -1, 0
	v_cndmask_b32_e32 v3, 1, v2, vcc
	s_lshr_b32 s5, s4, 1
	v_mul_lo_u32 v8, v3, v8
	v_mul_lo_u32 v2, v2, v2
	s_cmp_lt_u32 s4, 2
	s_mov_b32 s4, s5
	s_cbranch_scc0 .LBB63_99
.LBB63_100:                             ;   in Loop: Header=BB63_86 Depth=1
	s_cbranch_execz .LBB63_121
; %bb.101:                              ;   in Loop: Header=BB63_86 Depth=1
	s_and_b64 vcc, exec, s[0:1]
	s_cbranch_vccnz .LBB63_127
.LBB63_102:                             ;   in Loop: Header=BB63_86 Depth=1
	s_and_b64 vcc, exec, s[2:3]
	v_mov_b32_e32 v9, 1
	s_cbranch_vccnz .LBB63_105
; %bb.103:                              ;   in Loop: Header=BB63_86 Depth=1
	v_mov_b32_e32 v9, 1
	s_mov_b32 s4, s28
	s_waitcnt vmcnt(0)
	v_mov_b32_e32 v2, v5
.LBB63_104:                             ;   Parent Loop BB63_86 Depth=1
                                        ; =>  This Inner Loop Header: Depth=2
	s_bitcmp1_b32 s4, 0
	s_cselect_b64 vcc, -1, 0
	v_cndmask_b32_e32 v3, 1, v2, vcc
	s_lshr_b32 s5, s4, 1
	v_mul_lo_u32 v9, v3, v9
	v_mul_lo_u32 v2, v2, v2
	s_cmp_lt_u32 s4, 2
	s_mov_b32 s4, s5
	s_cbranch_scc0 .LBB63_104
.LBB63_105:                             ;   in Loop: Header=BB63_86 Depth=1
	s_cbranch_execnz .LBB63_85
	s_branch .LBB63_128
.LBB63_106:                             ;   in Loop: Header=BB63_86 Depth=1
                                        ; implicit-def: $vgpr6
.LBB63_107:                             ;   in Loop: Header=BB63_86 Depth=1
	s_waitcnt vmcnt(0)
	v_cmp_lt_i32_e32 vcc, 0, v2
	s_mov_b64 s[4:5], 0
	s_mov_b64 s[12:13], 0
	s_and_saveexec_b64 s[16:17], vcc
	s_xor_b64 s[16:17], exec, s[16:17]
	s_cbranch_execnz .LBB63_132
; %bb.108:                              ;   in Loop: Header=BB63_86 Depth=1
	s_andn2_saveexec_b64 s[16:17], s[16:17]
	s_cbranch_execnz .LBB63_133
.LBB63_109:                             ;   in Loop: Header=BB63_86 Depth=1
	s_or_b64 exec, exec, s[16:17]
	s_and_saveexec_b64 s[16:17], s[12:13]
	s_xor_b64 s[12:13], exec, s[16:17]
	s_cbranch_execnz .LBB63_134
.LBB63_110:                             ;   in Loop: Header=BB63_86 Depth=1
	s_or_b64 exec, exec, s[12:13]
	s_and_saveexec_b64 s[12:13], s[4:5]
.LBB63_111:                             ;   in Loop: Header=BB63_86 Depth=1
	v_mov_b32_e32 v2, s19
.LBB63_112:                             ;   in Loop: Header=BB63_86 Depth=1
	s_or_b64 exec, exec, s[12:13]
	v_mov_b32_e32 v6, v2
	s_and_b64 vcc, exec, s[0:1]
	s_cbranch_vccz .LBB63_92
.LBB63_113:                             ;   in Loop: Header=BB63_86 Depth=1
.LBB63_114:                             ;   in Loop: Header=BB63_86 Depth=1
	s_waitcnt vmcnt(0)
	v_cmp_lt_i32_e32 vcc, 0, v3
	s_mov_b64 s[4:5], 0
	s_mov_b64 s[12:13], 0
	s_and_saveexec_b64 s[16:17], vcc
	s_xor_b64 s[16:17], exec, s[16:17]
	s_cbranch_execnz .LBB63_135
; %bb.115:                              ;   in Loop: Header=BB63_86 Depth=1
	s_andn2_saveexec_b64 s[16:17], s[16:17]
	s_cbranch_execnz .LBB63_136
.LBB63_116:                             ;   in Loop: Header=BB63_86 Depth=1
	s_or_b64 exec, exec, s[16:17]
	s_and_saveexec_b64 s[16:17], s[12:13]
	s_xor_b64 s[12:13], exec, s[16:17]
	s_cbranch_execnz .LBB63_137
.LBB63_117:                             ;   in Loop: Header=BB63_86 Depth=1
	s_or_b64 exec, exec, s[12:13]
	s_and_saveexec_b64 s[12:13], s[4:5]
.LBB63_118:                             ;   in Loop: Header=BB63_86 Depth=1
	v_mov_b32_e32 v3, s19
.LBB63_119:                             ;   in Loop: Header=BB63_86 Depth=1
	s_or_b64 exec, exec, s[12:13]
	v_mov_b32_e32 v7, v3
	s_and_b64 vcc, exec, s[0:1]
	s_cbranch_vccz .LBB63_97
.LBB63_120:                             ;   in Loop: Header=BB63_86 Depth=1
.LBB63_121:                             ;   in Loop: Header=BB63_86 Depth=1
	s_waitcnt vmcnt(0)
	v_cmp_lt_i32_e32 vcc, 0, v4
	s_mov_b64 s[4:5], 0
	s_mov_b64 s[12:13], 0
	s_and_saveexec_b64 s[16:17], vcc
	s_xor_b64 s[16:17], exec, s[16:17]
	s_cbranch_execnz .LBB63_138
; %bb.122:                              ;   in Loop: Header=BB63_86 Depth=1
	s_andn2_saveexec_b64 s[16:17], s[16:17]
	s_cbranch_execnz .LBB63_139
.LBB63_123:                             ;   in Loop: Header=BB63_86 Depth=1
	s_or_b64 exec, exec, s[16:17]
	s_and_saveexec_b64 s[16:17], s[12:13]
	s_xor_b64 s[12:13], exec, s[16:17]
	s_cbranch_execnz .LBB63_140
.LBB63_124:                             ;   in Loop: Header=BB63_86 Depth=1
	s_or_b64 exec, exec, s[12:13]
	s_and_saveexec_b64 s[12:13], s[4:5]
.LBB63_125:                             ;   in Loop: Header=BB63_86 Depth=1
	v_mov_b32_e32 v4, s19
.LBB63_126:                             ;   in Loop: Header=BB63_86 Depth=1
	s_or_b64 exec, exec, s[12:13]
	v_mov_b32_e32 v8, v4
	s_and_b64 vcc, exec, s[0:1]
	s_cbranch_vccz .LBB63_102
.LBB63_127:                             ;   in Loop: Header=BB63_86 Depth=1
.LBB63_128:                             ;   in Loop: Header=BB63_86 Depth=1
	s_waitcnt vmcnt(0)
	v_cmp_lt_i32_e32 vcc, 0, v5
	s_mov_b64 s[4:5], 0
	s_mov_b64 s[12:13], 0
	s_and_saveexec_b64 s[16:17], vcc
	s_xor_b64 s[16:17], exec, s[16:17]
	s_cbranch_execnz .LBB63_141
; %bb.129:                              ;   in Loop: Header=BB63_86 Depth=1
	s_andn2_saveexec_b64 s[16:17], s[16:17]
	s_cbranch_execnz .LBB63_142
.LBB63_130:                             ;   in Loop: Header=BB63_86 Depth=1
	s_or_b64 exec, exec, s[16:17]
	s_and_saveexec_b64 s[16:17], s[12:13]
	s_xor_b64 s[12:13], exec, s[16:17]
	s_cbranch_execnz .LBB63_143
.LBB63_131:                             ;   in Loop: Header=BB63_86 Depth=1
	s_or_b64 exec, exec, s[12:13]
	s_and_saveexec_b64 s[12:13], s[4:5]
	s_cbranch_execz .LBB63_84
	s_branch .LBB63_144
.LBB63_132:                             ;   in Loop: Header=BB63_86 Depth=1
	v_cmp_ne_u32_e32 vcc, 1, v2
	s_and_b64 s[12:13], vcc, exec
	s_andn2_saveexec_b64 s[16:17], s[16:17]
	s_cbranch_execz .LBB63_109
.LBB63_133:                             ;   in Loop: Header=BB63_86 Depth=1
	v_cmp_ne_u32_e32 vcc, -1, v2
	s_andn2_b64 s[12:13], s[12:13], exec
	s_and_b64 s[22:23], vcc, exec
	s_mov_b64 s[4:5], exec
	s_or_b64 s[12:13], s[12:13], s[22:23]
	s_or_b64 exec, exec, s[16:17]
	s_and_saveexec_b64 s[16:17], s[12:13]
	s_xor_b64 s[12:13], exec, s[16:17]
	s_cbranch_execz .LBB63_110
.LBB63_134:                             ;   in Loop: Header=BB63_86 Depth=1
	v_mov_b32_e32 v2, 0
	s_andn2_b64 s[4:5], s[4:5], exec
	s_or_b64 exec, exec, s[12:13]
	s_and_saveexec_b64 s[12:13], s[4:5]
	s_cbranch_execnz .LBB63_111
	s_branch .LBB63_112
.LBB63_135:                             ;   in Loop: Header=BB63_86 Depth=1
	v_cmp_ne_u32_e32 vcc, 1, v3
	s_and_b64 s[12:13], vcc, exec
	s_andn2_saveexec_b64 s[16:17], s[16:17]
	s_cbranch_execz .LBB63_116
.LBB63_136:                             ;   in Loop: Header=BB63_86 Depth=1
	v_cmp_ne_u32_e32 vcc, -1, v3
	s_andn2_b64 s[12:13], s[12:13], exec
	s_and_b64 s[22:23], vcc, exec
	s_mov_b64 s[4:5], exec
	s_or_b64 s[12:13], s[12:13], s[22:23]
	s_or_b64 exec, exec, s[16:17]
	s_and_saveexec_b64 s[16:17], s[12:13]
	s_xor_b64 s[12:13], exec, s[16:17]
	s_cbranch_execz .LBB63_117
.LBB63_137:                             ;   in Loop: Header=BB63_86 Depth=1
	v_mov_b32_e32 v3, 0
	s_andn2_b64 s[4:5], s[4:5], exec
	s_or_b64 exec, exec, s[12:13]
	s_and_saveexec_b64 s[12:13], s[4:5]
	s_cbranch_execnz .LBB63_118
	s_branch .LBB63_119
.LBB63_138:                             ;   in Loop: Header=BB63_86 Depth=1
	v_cmp_ne_u32_e32 vcc, 1, v4
	s_and_b64 s[12:13], vcc, exec
	s_andn2_saveexec_b64 s[16:17], s[16:17]
	s_cbranch_execz .LBB63_123
.LBB63_139:                             ;   in Loop: Header=BB63_86 Depth=1
	v_cmp_ne_u32_e32 vcc, -1, v4
	s_andn2_b64 s[12:13], s[12:13], exec
	s_and_b64 s[22:23], vcc, exec
	s_mov_b64 s[4:5], exec
	s_or_b64 s[12:13], s[12:13], s[22:23]
	s_or_b64 exec, exec, s[16:17]
	s_and_saveexec_b64 s[16:17], s[12:13]
	s_xor_b64 s[12:13], exec, s[16:17]
	s_cbranch_execz .LBB63_124
.LBB63_140:                             ;   in Loop: Header=BB63_86 Depth=1
	v_mov_b32_e32 v4, 0
	s_andn2_b64 s[4:5], s[4:5], exec
	s_or_b64 exec, exec, s[12:13]
	s_and_saveexec_b64 s[12:13], s[4:5]
	s_cbranch_execnz .LBB63_125
	s_branch .LBB63_126
.LBB63_141:                             ;   in Loop: Header=BB63_86 Depth=1
	v_cmp_ne_u32_e32 vcc, 1, v5
	s_and_b64 s[12:13], vcc, exec
	s_andn2_saveexec_b64 s[16:17], s[16:17]
	s_cbranch_execz .LBB63_130
.LBB63_142:                             ;   in Loop: Header=BB63_86 Depth=1
	v_cmp_ne_u32_e32 vcc, -1, v5
	s_andn2_b64 s[12:13], s[12:13], exec
	s_and_b64 s[22:23], vcc, exec
	s_mov_b64 s[4:5], exec
	s_or_b64 s[12:13], s[12:13], s[22:23]
                                        ; implicit-def: $vgpr5
	s_or_b64 exec, exec, s[16:17]
	s_and_saveexec_b64 s[16:17], s[12:13]
	s_xor_b64 s[12:13], exec, s[16:17]
	s_cbranch_execz .LBB63_131
.LBB63_143:                             ;   in Loop: Header=BB63_86 Depth=1
	v_mov_b32_e32 v5, 0
	s_andn2_b64 s[4:5], s[4:5], exec
	s_or_b64 exec, exec, s[12:13]
	s_and_saveexec_b64 s[12:13], s[4:5]
	s_cbranch_execz .LBB63_84
.LBB63_144:                             ;   in Loop: Header=BB63_86 Depth=1
	v_mov_b32_e32 v5, s19
	s_branch .LBB63_84
.LBB63_145:
	s_endpgm
	.section	.rodata,"a",@progbits
	.p2align	6, 0x0
	.amdhsa_kernel _ZN2at6native12_GLOBAL__N_125multi_tensor_apply_kernelINS1_18TensorListMetadataILi2EEENS1_21BinaryOpScalarFunctorIiLi2ELi1ELi1EEEJNS1_13power_functorIiEEiEEEvT_T0_DpT1_
		.amdhsa_group_segment_fixed_size 0
		.amdhsa_private_segment_fixed_size 0
		.amdhsa_kernarg_size 3408
		.amdhsa_user_sgpr_count 6
		.amdhsa_user_sgpr_private_segment_buffer 1
		.amdhsa_user_sgpr_dispatch_ptr 0
		.amdhsa_user_sgpr_queue_ptr 0
		.amdhsa_user_sgpr_kernarg_segment_ptr 1
		.amdhsa_user_sgpr_dispatch_id 0
		.amdhsa_user_sgpr_flat_scratch_init 0
		.amdhsa_user_sgpr_kernarg_preload_length 0
		.amdhsa_user_sgpr_kernarg_preload_offset 0
		.amdhsa_user_sgpr_private_segment_size 0
		.amdhsa_uses_dynamic_stack 0
		.amdhsa_system_sgpr_private_segment_wavefront_offset 0
		.amdhsa_system_sgpr_workgroup_id_x 1
		.amdhsa_system_sgpr_workgroup_id_y 0
		.amdhsa_system_sgpr_workgroup_id_z 0
		.amdhsa_system_sgpr_workgroup_info 0
		.amdhsa_system_vgpr_workitem_id 0
		.amdhsa_next_free_vgpr 20
		.amdhsa_next_free_sgpr 42
		.amdhsa_accum_offset 20
		.amdhsa_reserve_vcc 1
		.amdhsa_reserve_flat_scratch 0
		.amdhsa_float_round_mode_32 0
		.amdhsa_float_round_mode_16_64 0
		.amdhsa_float_denorm_mode_32 3
		.amdhsa_float_denorm_mode_16_64 3
		.amdhsa_dx10_clamp 1
		.amdhsa_ieee_mode 1
		.amdhsa_fp16_overflow 0
		.amdhsa_tg_split 0
		.amdhsa_exception_fp_ieee_invalid_op 0
		.amdhsa_exception_fp_denorm_src 0
		.amdhsa_exception_fp_ieee_div_zero 0
		.amdhsa_exception_fp_ieee_overflow 0
		.amdhsa_exception_fp_ieee_underflow 0
		.amdhsa_exception_fp_ieee_inexact 0
		.amdhsa_exception_int_div_zero 0
	.end_amdhsa_kernel
	.section	.text._ZN2at6native12_GLOBAL__N_125multi_tensor_apply_kernelINS1_18TensorListMetadataILi2EEENS1_21BinaryOpScalarFunctorIiLi2ELi1ELi1EEEJNS1_13power_functorIiEEiEEEvT_T0_DpT1_,"axG",@progbits,_ZN2at6native12_GLOBAL__N_125multi_tensor_apply_kernelINS1_18TensorListMetadataILi2EEENS1_21BinaryOpScalarFunctorIiLi2ELi1ELi1EEEJNS1_13power_functorIiEEiEEEvT_T0_DpT1_,comdat
.Lfunc_end63:
	.size	_ZN2at6native12_GLOBAL__N_125multi_tensor_apply_kernelINS1_18TensorListMetadataILi2EEENS1_21BinaryOpScalarFunctorIiLi2ELi1ELi1EEEJNS1_13power_functorIiEEiEEEvT_T0_DpT1_, .Lfunc_end63-_ZN2at6native12_GLOBAL__N_125multi_tensor_apply_kernelINS1_18TensorListMetadataILi2EEENS1_21BinaryOpScalarFunctorIiLi2ELi1ELi1EEEJNS1_13power_functorIiEEiEEEvT_T0_DpT1_
                                        ; -- End function
	.section	.AMDGPU.csdata,"",@progbits
; Kernel info:
; codeLenInByte = 2992
; NumSgprs: 46
; NumVgprs: 20
; NumAgprs: 0
; TotalNumVgprs: 20
; ScratchSize: 0
; MemoryBound: 1
; FloatMode: 240
; IeeeMode: 1
; LDSByteSize: 0 bytes/workgroup (compile time only)
; SGPRBlocks: 5
; VGPRBlocks: 2
; NumSGPRsForWavesPerEU: 46
; NumVGPRsForWavesPerEU: 20
; AccumOffset: 20
; Occupancy: 8
; WaveLimiterHint : 0
; COMPUTE_PGM_RSRC2:SCRATCH_EN: 0
; COMPUTE_PGM_RSRC2:USER_SGPR: 6
; COMPUTE_PGM_RSRC2:TRAP_HANDLER: 0
; COMPUTE_PGM_RSRC2:TGID_X_EN: 1
; COMPUTE_PGM_RSRC2:TGID_Y_EN: 0
; COMPUTE_PGM_RSRC2:TGID_Z_EN: 0
; COMPUTE_PGM_RSRC2:TIDIG_COMP_CNT: 0
; COMPUTE_PGM_RSRC3_GFX90A:ACCUM_OFFSET: 4
; COMPUTE_PGM_RSRC3_GFX90A:TG_SPLIT: 0
	.section	.text._ZN2at6native12_GLOBAL__N_125multi_tensor_apply_kernelINS1_18TensorListMetadataILi2EEENS1_21BinaryOpScalarFunctorIlLi2ELi1ELi1EEEJNS1_13power_functorIlEElEEEvT_T0_DpT1_,"axG",@progbits,_ZN2at6native12_GLOBAL__N_125multi_tensor_apply_kernelINS1_18TensorListMetadataILi2EEENS1_21BinaryOpScalarFunctorIlLi2ELi1ELi1EEEJNS1_13power_functorIlEElEEEvT_T0_DpT1_,comdat
	.globl	_ZN2at6native12_GLOBAL__N_125multi_tensor_apply_kernelINS1_18TensorListMetadataILi2EEENS1_21BinaryOpScalarFunctorIlLi2ELi1ELi1EEEJNS1_13power_functorIlEElEEEvT_T0_DpT1_ ; -- Begin function _ZN2at6native12_GLOBAL__N_125multi_tensor_apply_kernelINS1_18TensorListMetadataILi2EEENS1_21BinaryOpScalarFunctorIlLi2ELi1ELi1EEEJNS1_13power_functorIlEElEEEvT_T0_DpT1_
	.p2align	8
	.type	_ZN2at6native12_GLOBAL__N_125multi_tensor_apply_kernelINS1_18TensorListMetadataILi2EEENS1_21BinaryOpScalarFunctorIlLi2ELi1ELi1EEEJNS1_13power_functorIlEElEEEvT_T0_DpT1_,@function
_ZN2at6native12_GLOBAL__N_125multi_tensor_apply_kernelINS1_18TensorListMetadataILi2EEENS1_21BinaryOpScalarFunctorIlLi2ELi1ELi1EEEJNS1_13power_functorIlEElEEEvT_T0_DpT1_: ; @_ZN2at6native12_GLOBAL__N_125multi_tensor_apply_kernelINS1_18TensorListMetadataILi2EEENS1_21BinaryOpScalarFunctorIlLi2ELi1ELi1EEEJNS1_13power_functorIlEElEEEvT_T0_DpT1_
; %bb.0:
	v_mov_b32_e32 v1, s6
	global_load_ubyte v1, v1, s[4:5] offset:1536
	s_add_u32 s0, s4, s6
	s_mul_hi_u32 s1, s6, 3
	s_mul_i32 s6, s6, 3
	s_addc_u32 s2, s5, 0
	s_add_u32 s0, s0, s6
	s_addc_u32 s1, s2, s1
	s_load_dword s0, s[0:1], 0x740
	s_mov_b32 s3, 0
	s_mov_b32 s9, s3
	s_mov_b32 s7, s3
	s_waitcnt lgkmcnt(0)
	s_ashr_i32 s1, s0, 31
	s_lshl_b64 s[18:19], s[0:1], 19
	s_waitcnt vmcnt(0)
	v_readfirstlane_b32 s2, v1
	s_lshl_b32 s2, s2, 3
	s_load_dwordx2 s[10:11], s[4:5], s2 offset:0x0
	s_load_dwordx2 s[16:17], s[4:5], 0xc50
	s_load_dwordx2 s[12:13], s[4:5], s2 offset:0x400
	s_load_dwordx2 s[14:15], s[4:5], s2 offset:0x200
	s_waitcnt lgkmcnt(0)
	s_add_u32 s33, s10, s18
	s_addc_u32 s36, s11, s19
	s_and_b32 s2, s33, 31
	s_add_u32 s34, s14, s18
	s_addc_u32 s35, s15, s19
	s_and_b32 s8, s12, 3
	s_and_b32 s6, s34, 31
	s_or_b64 s[2:3], s[2:3], s[8:9]
	s_or_b64 s[2:3], s[6:7], s[2:3]
	s_lshl_b64 s[0:1], s[0:1], 16
	s_sub_u32 s18, s12, s0
	s_subb_u32 s19, s13, s1
	s_cmp_eq_u64 s[2:3], 0
	s_mov_b64 s[0:1], -1
	s_cbranch_scc1 .LBB64_81
; %bb.1:
	v_cmp_lt_i64_e64 s[0:1], s[18:19], 1
	s_and_b64 vcc, exec, s[0:1]
	s_cbranch_vccnz .LBB64_80
; %bb.2:
	s_load_dword s0, s[4:5], 0xc64
	v_mov_b32_e32 v2, 0x10000
	v_mov_b32_e32 v3, 0
	v_cmp_lt_u64_e32 vcc, s[18:19], v[2:3]
	s_mov_b32 s6, 0
	s_waitcnt lgkmcnt(0)
	s_and_b32 s37, s0, 0xffff
	s_and_b64 s[0:1], vcc, exec
	s_cselect_b32 s21, s19, 0
	s_cselect_b32 s20, s18, 0x10000
	s_lshl_b32 s38, s37, 1
	s_cmp_lg_u64 s[16:17], 0
	s_cselect_b64 s[0:1], -1, 0
	s_and_b32 s2, s16, 1
	s_mov_b32 s3, s6
	s_cmp_eq_u64 s[2:3], 0
	v_cndmask_b32_e64 v2, 0, 1, s[0:1]
	s_mul_i32 s39, s37, 3
	v_cmp_gt_i64_e64 s[22:23], s[16:17], -1
	s_mov_b64 s[24:25], 0
	s_cselect_b32 s27, 0, -1
	s_cselect_b32 s26, 1, -1
	s_lshl_b32 s40, s37, 2
	v_mov_b32_e32 v1, s6
	v_mov_b32_e32 v22, s6
	;; [unrolled: 1-line block ×3, first 2 shown]
	v_cmp_ne_u32_e64 s[0:1], 1, v2
	s_branch .LBB64_4
.LBB64_3:                               ;   in Loop: Header=BB64_4 Depth=1
	s_or_b64 exec, exec, s[2:3]
	s_add_u32 s24, s24, s40
	s_addc_u32 s25, s25, 0
	v_pk_mov_b32 v[2:3], s[18:19], s[18:19] op_sel:[0,1]
	v_cmp_ge_i64_e32 vcc, s[24:25], v[2:3]
	v_mov_b32_e32 v2, 0xffff
	v_mov_b32_e32 v3, 0
	v_cmp_gt_u64_e64 s[2:3], s[24:25], v[2:3]
	s_or_b64 s[2:3], vcc, s[2:3]
	s_and_b64 vcc, exec, s[2:3]
	s_cbranch_vccnz .LBB64_80
.LBB64_4:                               ; =>This Loop Header: Depth=1
                                        ;     Child Loop BB64_15 Depth 2
                                        ;     Child Loop BB64_20 Depth 2
	;; [unrolled: 1-line block ×4, first 2 shown]
	v_mov_b32_e32 v2, s25
	v_add_co_u32_e32 v8, vcc, s24, v0
	v_addc_co_u32_e32 v9, vcc, 0, v2, vcc
	v_pk_mov_b32 v[18:19], 0, 0
	v_cmp_gt_u64_e64 s[2:3], s[20:21], v[8:9]
	v_lshlrev_b64 v[2:3], 3, v[8:9]
	v_pk_mov_b32 v[16:17], v[18:19], v[18:19] op_sel:[0,1]
	s_and_saveexec_b64 s[6:7], s[2:3]
	s_cbranch_execz .LBB64_6
; %bb.5:                                ;   in Loop: Header=BB64_4 Depth=1
	v_mov_b32_e32 v5, s36
	v_add_co_u32_e32 v4, vcc, s33, v2
	v_addc_co_u32_e32 v5, vcc, v5, v3, vcc
	global_load_dwordx2 v[16:17], v[4:5], off
.LBB64_6:                               ;   in Loop: Header=BB64_4 Depth=1
	s_or_b64 exec, exec, s[6:7]
	v_add_co_u32_e32 v4, vcc, s37, v8
	v_addc_co_u32_e32 v5, vcc, v9, v1, vcc
	v_cmp_gt_u64_e64 s[6:7], s[20:21], v[4:5]
	v_lshlrev_b64 v[4:5], 3, v[4:5]
	s_and_saveexec_b64 s[8:9], s[6:7]
	s_cbranch_execz .LBB64_8
; %bb.7:                                ;   in Loop: Header=BB64_4 Depth=1
	v_mov_b32_e32 v7, s36
	v_add_co_u32_e32 v6, vcc, s33, v4
	v_addc_co_u32_e32 v7, vcc, v7, v5, vcc
	global_load_dwordx2 v[18:19], v[6:7], off
.LBB64_8:                               ;   in Loop: Header=BB64_4 Depth=1
	s_or_b64 exec, exec, s[8:9]
	v_add_co_u32_e32 v6, vcc, s38, v8
	v_addc_co_u32_e32 v7, vcc, v9, v22, vcc
	v_pk_mov_b32 v[10:11], 0, 0
	v_cmp_gt_u64_e64 s[8:9], s[20:21], v[6:7]
	v_lshlrev_b64 v[6:7], 3, v[6:7]
	v_pk_mov_b32 v[14:15], v[10:11], v[10:11] op_sel:[0,1]
	s_and_saveexec_b64 s[10:11], s[8:9]
	s_cbranch_execz .LBB64_10
; %bb.9:                                ;   in Loop: Header=BB64_4 Depth=1
	v_mov_b32_e32 v13, s36
	v_add_co_u32_e32 v12, vcc, s33, v6
	v_addc_co_u32_e32 v13, vcc, v13, v7, vcc
	global_load_dwordx2 v[14:15], v[12:13], off
.LBB64_10:                              ;   in Loop: Header=BB64_4 Depth=1
	s_or_b64 exec, exec, s[10:11]
	v_add_co_u32_e32 v8, vcc, s39, v8
	v_addc_co_u32_e32 v9, vcc, v9, v23, vcc
	v_cmp_gt_u64_e64 s[10:11], s[20:21], v[8:9]
	v_lshlrev_b64 v[8:9], 3, v[8:9]
	s_and_saveexec_b64 s[12:13], s[10:11]
	s_cbranch_execz .LBB64_12
; %bb.11:                               ;   in Loop: Header=BB64_4 Depth=1
	v_mov_b32_e32 v11, s36
	v_add_co_u32_e32 v10, vcc, s33, v8
	v_addc_co_u32_e32 v11, vcc, v11, v9, vcc
	global_load_dwordx2 v[10:11], v[10:11], off
.LBB64_12:                              ;   in Loop: Header=BB64_4 Depth=1
	s_or_b64 exec, exec, s[12:13]
	s_and_b64 vcc, exec, s[22:23]
	s_cbranch_vccz .LBB64_32
; %bb.13:                               ;   in Loop: Header=BB64_4 Depth=1
	v_mov_b32_e32 v12, 1
	v_mov_b32_e32 v13, 0
	s_and_b64 vcc, exec, s[0:1]
	s_cbranch_vccnz .LBB64_16
; %bb.14:                               ;   in Loop: Header=BB64_4 Depth=1
	s_mov_b64 s[14:15], s[16:17]
	s_waitcnt vmcnt(0)
	v_pk_mov_b32 v[20:21], v[16:17], v[16:17] op_sel:[0,1]
.LBB64_15:                              ;   Parent Loop BB64_4 Depth=1
                                        ; =>  This Inner Loop Header: Depth=2
	s_bitcmp1_b32 s14, 0
	s_cselect_b64 vcc, -1, 0
	v_cmp_gt_u64_e64 s[12:13], s[14:15], 1
	v_cndmask_b32_e32 v25, 1, v20, vcc
	v_cndmask_b32_e32 v26, 0, v21, vcc
	v_mul_lo_u32 v24, v20, v21
	s_and_b64 s[12:13], exec, s[12:13]
	v_mul_lo_u32 v27, v25, v13
	v_mad_u64_u32 v[20:21], s[28:29], v20, v20, 0
	v_mul_lo_u32 v26, v26, v12
	v_mad_u64_u32 v[12:13], s[28:29], v25, v12, 0
	s_lshr_b64 s[14:15], s[14:15], 1
	v_add3_u32 v21, v21, v24, v24
	v_add3_u32 v13, v13, v27, v26
	s_mov_b64 vcc, s[12:13]
	s_cbranch_vccnz .LBB64_15
.LBB64_16:                              ;   in Loop: Header=BB64_4 Depth=1
	s_cbranch_execz .LBB64_33
; %bb.17:                               ;   in Loop: Header=BB64_4 Depth=1
	s_waitcnt vmcnt(0)
	v_cndmask_b32_e64 v16, 0, 1, s[22:23]
	v_cmp_ne_u32_e64 s[12:13], 1, v16
	s_andn2_b64 vcc, exec, s[22:23]
	s_cbranch_vccnz .LBB64_39
.LBB64_18:                              ;   in Loop: Header=BB64_4 Depth=1
	v_mov_b32_e32 v16, 1
	v_mov_b32_e32 v17, 0
	s_and_b64 vcc, exec, s[0:1]
	s_cbranch_vccnz .LBB64_21
; %bb.19:                               ;   in Loop: Header=BB64_4 Depth=1
	s_mov_b64 s[28:29], s[16:17]
	v_pk_mov_b32 v[20:21], v[18:19], v[18:19] op_sel:[0,1]
.LBB64_20:                              ;   Parent Loop BB64_4 Depth=1
                                        ; =>  This Inner Loop Header: Depth=2
	s_bitcmp1_b32 s28, 0
	s_cselect_b64 vcc, -1, 0
	v_cmp_lt_u64_e64 s[14:15], s[28:29], 2
	v_cndmask_b32_e32 v25, 1, v20, vcc
	v_cndmask_b32_e32 v26, 0, v21, vcc
	v_mul_lo_u32 v24, v20, v21
	s_and_b64 s[14:15], exec, s[14:15]
	v_mul_lo_u32 v27, v25, v17
	v_mad_u64_u32 v[20:21], s[30:31], v20, v20, 0
	v_mul_lo_u32 v26, v26, v16
	v_mad_u64_u32 v[16:17], s[30:31], v25, v16, 0
	s_lshr_b64 s[28:29], s[28:29], 1
	v_add3_u32 v21, v21, v24, v24
	v_add3_u32 v17, v17, v27, v26
	s_mov_b64 vcc, s[14:15]
	s_cbranch_vccz .LBB64_20
.LBB64_21:                              ;   in Loop: Header=BB64_4 Depth=1
	s_cbranch_execz .LBB64_40
; %bb.22:                               ;   in Loop: Header=BB64_4 Depth=1
	s_and_b64 vcc, exec, s[12:13]
	s_cbranch_vccnz .LBB64_46
.LBB64_23:                              ;   in Loop: Header=BB64_4 Depth=1
	v_mov_b32_e32 v18, 1
	v_mov_b32_e32 v19, 0
	s_and_b64 vcc, exec, s[0:1]
	s_cbranch_vccnz .LBB64_26
; %bb.24:                               ;   in Loop: Header=BB64_4 Depth=1
	s_mov_b64 s[28:29], s[16:17]
	v_pk_mov_b32 v[20:21], v[14:15], v[14:15] op_sel:[0,1]
.LBB64_25:                              ;   Parent Loop BB64_4 Depth=1
                                        ; =>  This Inner Loop Header: Depth=2
	s_bitcmp1_b32 s28, 0
	s_cselect_b64 vcc, -1, 0
	v_cmp_lt_u64_e64 s[14:15], s[28:29], 2
	v_cndmask_b32_e32 v25, 1, v20, vcc
	v_cndmask_b32_e32 v26, 0, v21, vcc
	v_mul_lo_u32 v24, v20, v21
	s_and_b64 s[14:15], exec, s[14:15]
	v_mul_lo_u32 v27, v25, v19
	v_mad_u64_u32 v[20:21], s[30:31], v20, v20, 0
	v_mul_lo_u32 v26, v26, v18
	v_mad_u64_u32 v[18:19], s[30:31], v25, v18, 0
	s_lshr_b64 s[28:29], s[28:29], 1
	v_add3_u32 v21, v21, v24, v24
	v_add3_u32 v19, v19, v27, v26
	s_mov_b64 vcc, s[14:15]
	s_cbranch_vccz .LBB64_25
.LBB64_26:                              ;   in Loop: Header=BB64_4 Depth=1
	s_cbranch_execz .LBB64_47
; %bb.27:                               ;   in Loop: Header=BB64_4 Depth=1
	s_and_b64 vcc, exec, s[12:13]
	s_cbranch_vccnz .LBB64_53
.LBB64_28:                              ;   in Loop: Header=BB64_4 Depth=1
	v_mov_b32_e32 v14, 1
	v_mov_b32_e32 v15, 0
	s_and_b64 vcc, exec, s[0:1]
	s_cbranch_vccnz .LBB64_31
; %bb.29:                               ;   in Loop: Header=BB64_4 Depth=1
	s_mov_b64 s[14:15], s[16:17]
	v_pk_mov_b32 v[20:21], v[10:11], v[10:11] op_sel:[0,1]
.LBB64_30:                              ;   Parent Loop BB64_4 Depth=1
                                        ; =>  This Inner Loop Header: Depth=2
	s_bitcmp1_b32 s14, 0
	s_cselect_b64 vcc, -1, 0
	v_cmp_lt_u64_e64 s[12:13], s[14:15], 2
	v_cndmask_b32_e32 v25, 1, v20, vcc
	v_cndmask_b32_e32 v26, 0, v21, vcc
	v_mul_lo_u32 v24, v20, v21
	s_and_b64 s[12:13], exec, s[12:13]
	v_mul_lo_u32 v27, v25, v15
	v_mad_u64_u32 v[20:21], s[28:29], v20, v20, 0
	v_mul_lo_u32 v26, v26, v14
	v_mad_u64_u32 v[14:15], s[28:29], v25, v14, 0
	s_lshr_b64 s[14:15], s[14:15], 1
	v_add3_u32 v21, v21, v24, v24
	v_add3_u32 v15, v15, v27, v26
	s_mov_b64 vcc, s[12:13]
	s_cbranch_vccz .LBB64_30
.LBB64_31:                              ;   in Loop: Header=BB64_4 Depth=1
	s_cbranch_execz .LBB64_54
	s_branch .LBB64_60
.LBB64_32:                              ;   in Loop: Header=BB64_4 Depth=1
                                        ; implicit-def: $vgpr12_vgpr13
.LBB64_33:                              ;   in Loop: Header=BB64_4 Depth=1
	s_waitcnt vmcnt(0)
	v_cmp_lt_i64_e32 vcc, 0, v[16:17]
	s_mov_b64 s[12:13], 0
	s_mov_b64 s[14:15], 0
	s_and_saveexec_b64 s[28:29], vcc
	s_xor_b64 s[28:29], exec, s[28:29]
	s_cbranch_execnz .LBB64_68
; %bb.34:                               ;   in Loop: Header=BB64_4 Depth=1
	s_andn2_saveexec_b64 s[28:29], s[28:29]
	s_cbranch_execnz .LBB64_69
.LBB64_35:                              ;   in Loop: Header=BB64_4 Depth=1
	s_or_b64 exec, exec, s[28:29]
	s_and_saveexec_b64 s[28:29], s[14:15]
	s_xor_b64 s[14:15], exec, s[28:29]
	s_cbranch_execnz .LBB64_70
.LBB64_36:                              ;   in Loop: Header=BB64_4 Depth=1
	s_or_b64 exec, exec, s[14:15]
	s_and_saveexec_b64 s[14:15], s[12:13]
.LBB64_37:                              ;   in Loop: Header=BB64_4 Depth=1
	v_pk_mov_b32 v[16:17], s[26:27], s[26:27] op_sel:[0,1]
.LBB64_38:                              ;   in Loop: Header=BB64_4 Depth=1
	s_or_b64 exec, exec, s[14:15]
	v_pk_mov_b32 v[12:13], v[16:17], v[16:17] op_sel:[0,1]
	v_cndmask_b32_e64 v16, 0, 1, s[22:23]
	v_cmp_ne_u32_e64 s[12:13], 1, v16
	s_andn2_b64 vcc, exec, s[22:23]
	s_cbranch_vccz .LBB64_18
.LBB64_39:                              ;   in Loop: Header=BB64_4 Depth=1
                                        ; implicit-def: $vgpr16_vgpr17
.LBB64_40:                              ;   in Loop: Header=BB64_4 Depth=1
	v_cmp_lt_i64_e32 vcc, 0, v[18:19]
	s_mov_b64 s[14:15], 0
	s_mov_b64 s[28:29], 0
	s_and_saveexec_b64 s[30:31], vcc
	s_xor_b64 s[30:31], exec, s[30:31]
	s_cbranch_execnz .LBB64_71
; %bb.41:                               ;   in Loop: Header=BB64_4 Depth=1
	s_andn2_saveexec_b64 s[30:31], s[30:31]
	s_cbranch_execnz .LBB64_72
.LBB64_42:                              ;   in Loop: Header=BB64_4 Depth=1
	s_or_b64 exec, exec, s[30:31]
	s_and_saveexec_b64 s[30:31], s[28:29]
	s_xor_b64 s[28:29], exec, s[30:31]
	s_cbranch_execnz .LBB64_73
.LBB64_43:                              ;   in Loop: Header=BB64_4 Depth=1
	s_or_b64 exec, exec, s[28:29]
	s_and_saveexec_b64 s[28:29], s[14:15]
.LBB64_44:                              ;   in Loop: Header=BB64_4 Depth=1
	v_pk_mov_b32 v[18:19], s[26:27], s[26:27] op_sel:[0,1]
.LBB64_45:                              ;   in Loop: Header=BB64_4 Depth=1
	s_or_b64 exec, exec, s[28:29]
	v_pk_mov_b32 v[16:17], v[18:19], v[18:19] op_sel:[0,1]
	s_and_b64 vcc, exec, s[12:13]
	s_cbranch_vccz .LBB64_23
.LBB64_46:                              ;   in Loop: Header=BB64_4 Depth=1
                                        ; implicit-def: $vgpr18_vgpr19
.LBB64_47:                              ;   in Loop: Header=BB64_4 Depth=1
	v_cmp_lt_i64_e32 vcc, 0, v[14:15]
	s_mov_b64 s[14:15], 0
	s_mov_b64 s[28:29], 0
	s_and_saveexec_b64 s[30:31], vcc
	s_xor_b64 s[30:31], exec, s[30:31]
	s_cbranch_execnz .LBB64_74
; %bb.48:                               ;   in Loop: Header=BB64_4 Depth=1
	s_andn2_saveexec_b64 s[30:31], s[30:31]
	s_cbranch_execnz .LBB64_75
.LBB64_49:                              ;   in Loop: Header=BB64_4 Depth=1
	s_or_b64 exec, exec, s[30:31]
	s_and_saveexec_b64 s[30:31], s[28:29]
	s_xor_b64 s[28:29], exec, s[30:31]
	s_cbranch_execnz .LBB64_76
.LBB64_50:                              ;   in Loop: Header=BB64_4 Depth=1
	s_or_b64 exec, exec, s[28:29]
	s_and_saveexec_b64 s[28:29], s[14:15]
.LBB64_51:                              ;   in Loop: Header=BB64_4 Depth=1
	v_pk_mov_b32 v[14:15], s[26:27], s[26:27] op_sel:[0,1]
.LBB64_52:                              ;   in Loop: Header=BB64_4 Depth=1
	s_or_b64 exec, exec, s[28:29]
	v_pk_mov_b32 v[18:19], v[14:15], v[14:15] op_sel:[0,1]
	s_and_b64 vcc, exec, s[12:13]
	s_cbranch_vccz .LBB64_28
.LBB64_53:                              ;   in Loop: Header=BB64_4 Depth=1
                                        ; implicit-def: $vgpr14_vgpr15
.LBB64_54:                              ;   in Loop: Header=BB64_4 Depth=1
	v_cmp_lt_i64_e32 vcc, 0, v[10:11]
	s_mov_b64 s[12:13], 0
	s_mov_b64 s[14:15], 0
	s_and_saveexec_b64 s[28:29], vcc
	s_xor_b64 s[28:29], exec, s[28:29]
	s_cbranch_execnz .LBB64_77
; %bb.55:                               ;   in Loop: Header=BB64_4 Depth=1
	s_andn2_saveexec_b64 s[28:29], s[28:29]
	s_cbranch_execnz .LBB64_78
.LBB64_56:                              ;   in Loop: Header=BB64_4 Depth=1
	s_or_b64 exec, exec, s[28:29]
	s_and_saveexec_b64 s[28:29], s[14:15]
	s_xor_b64 s[14:15], exec, s[28:29]
	s_cbranch_execnz .LBB64_79
.LBB64_57:                              ;   in Loop: Header=BB64_4 Depth=1
	s_or_b64 exec, exec, s[14:15]
	s_and_saveexec_b64 s[14:15], s[12:13]
.LBB64_58:                              ;   in Loop: Header=BB64_4 Depth=1
	v_pk_mov_b32 v[10:11], s[26:27], s[26:27] op_sel:[0,1]
.LBB64_59:                              ;   in Loop: Header=BB64_4 Depth=1
	s_or_b64 exec, exec, s[14:15]
	v_pk_mov_b32 v[14:15], v[10:11], v[10:11] op_sel:[0,1]
.LBB64_60:                              ;   in Loop: Header=BB64_4 Depth=1
	s_and_saveexec_b64 s[12:13], s[2:3]
	s_xor_b64 s[2:3], exec, s[12:13]
	s_cbranch_execnz .LBB64_64
; %bb.61:                               ;   in Loop: Header=BB64_4 Depth=1
	s_or_b64 exec, exec, s[2:3]
	s_and_saveexec_b64 s[2:3], s[6:7]
	s_cbranch_execnz .LBB64_65
.LBB64_62:                              ;   in Loop: Header=BB64_4 Depth=1
	s_or_b64 exec, exec, s[2:3]
	s_and_saveexec_b64 s[2:3], s[8:9]
	s_cbranch_execnz .LBB64_66
.LBB64_63:                              ;   in Loop: Header=BB64_4 Depth=1
	s_or_b64 exec, exec, s[2:3]
	s_and_saveexec_b64 s[2:3], s[10:11]
	s_cbranch_execz .LBB64_3
	s_branch .LBB64_67
.LBB64_64:                              ;   in Loop: Header=BB64_4 Depth=1
	v_mov_b32_e32 v10, s35
	v_add_co_u32_e32 v2, vcc, s34, v2
	v_addc_co_u32_e32 v3, vcc, v10, v3, vcc
	global_store_dwordx2 v[2:3], v[12:13], off
	s_or_b64 exec, exec, s[2:3]
	s_and_saveexec_b64 s[2:3], s[6:7]
	s_cbranch_execz .LBB64_62
.LBB64_65:                              ;   in Loop: Header=BB64_4 Depth=1
	v_mov_b32_e32 v3, s35
	v_add_co_u32_e32 v2, vcc, s34, v4
	v_addc_co_u32_e32 v3, vcc, v3, v5, vcc
	global_store_dwordx2 v[2:3], v[16:17], off
	s_or_b64 exec, exec, s[2:3]
	s_and_saveexec_b64 s[2:3], s[8:9]
	s_cbranch_execz .LBB64_63
.LBB64_66:                              ;   in Loop: Header=BB64_4 Depth=1
	v_mov_b32_e32 v3, s35
	v_add_co_u32_e32 v2, vcc, s34, v6
	v_addc_co_u32_e32 v3, vcc, v3, v7, vcc
	global_store_dwordx2 v[2:3], v[18:19], off
	s_or_b64 exec, exec, s[2:3]
	s_and_saveexec_b64 s[2:3], s[10:11]
	s_cbranch_execz .LBB64_3
.LBB64_67:                              ;   in Loop: Header=BB64_4 Depth=1
	v_mov_b32_e32 v3, s35
	v_add_co_u32_e32 v2, vcc, s34, v8
	v_addc_co_u32_e32 v3, vcc, v3, v9, vcc
	global_store_dwordx2 v[2:3], v[14:15], off
	s_branch .LBB64_3
.LBB64_68:                              ;   in Loop: Header=BB64_4 Depth=1
	v_cmp_ne_u64_e32 vcc, 1, v[16:17]
	s_and_b64 s[14:15], vcc, exec
	s_andn2_saveexec_b64 s[28:29], s[28:29]
	s_cbranch_execz .LBB64_35
.LBB64_69:                              ;   in Loop: Header=BB64_4 Depth=1
	v_cmp_ne_u64_e32 vcc, -1, v[16:17]
	s_andn2_b64 s[14:15], s[14:15], exec
	s_and_b64 s[30:31], vcc, exec
	s_mov_b64 s[12:13], exec
	s_or_b64 s[14:15], s[14:15], s[30:31]
                                        ; implicit-def: $vgpr16_vgpr17
	s_or_b64 exec, exec, s[28:29]
	s_and_saveexec_b64 s[28:29], s[14:15]
	s_xor_b64 s[14:15], exec, s[28:29]
	s_cbranch_execz .LBB64_36
.LBB64_70:                              ;   in Loop: Header=BB64_4 Depth=1
	v_pk_mov_b32 v[16:17], 0, 0
	s_andn2_b64 s[12:13], s[12:13], exec
	s_or_b64 exec, exec, s[14:15]
	s_and_saveexec_b64 s[14:15], s[12:13]
	s_cbranch_execnz .LBB64_37
	s_branch .LBB64_38
.LBB64_71:                              ;   in Loop: Header=BB64_4 Depth=1
	v_cmp_ne_u64_e32 vcc, 1, v[18:19]
	s_and_b64 s[28:29], vcc, exec
	s_andn2_saveexec_b64 s[30:31], s[30:31]
	s_cbranch_execz .LBB64_42
.LBB64_72:                              ;   in Loop: Header=BB64_4 Depth=1
	v_cmp_ne_u64_e32 vcc, -1, v[18:19]
	s_andn2_b64 s[28:29], s[28:29], exec
	s_and_b64 s[42:43], vcc, exec
	s_mov_b64 s[14:15], exec
	s_or_b64 s[28:29], s[28:29], s[42:43]
                                        ; implicit-def: $vgpr18_vgpr19
	s_or_b64 exec, exec, s[30:31]
	s_and_saveexec_b64 s[30:31], s[28:29]
	s_xor_b64 s[28:29], exec, s[30:31]
	s_cbranch_execz .LBB64_43
.LBB64_73:                              ;   in Loop: Header=BB64_4 Depth=1
	v_pk_mov_b32 v[18:19], 0, 0
	s_andn2_b64 s[14:15], s[14:15], exec
	s_or_b64 exec, exec, s[28:29]
	s_and_saveexec_b64 s[28:29], s[14:15]
	s_cbranch_execnz .LBB64_44
	s_branch .LBB64_45
.LBB64_74:                              ;   in Loop: Header=BB64_4 Depth=1
	v_cmp_ne_u64_e32 vcc, 1, v[14:15]
	s_and_b64 s[28:29], vcc, exec
	s_andn2_saveexec_b64 s[30:31], s[30:31]
	s_cbranch_execz .LBB64_49
.LBB64_75:                              ;   in Loop: Header=BB64_4 Depth=1
	v_cmp_ne_u64_e32 vcc, -1, v[14:15]
	s_andn2_b64 s[28:29], s[28:29], exec
	s_and_b64 s[42:43], vcc, exec
	s_mov_b64 s[14:15], exec
	s_or_b64 s[28:29], s[28:29], s[42:43]
                                        ; implicit-def: $vgpr14_vgpr15
	s_or_b64 exec, exec, s[30:31]
	s_and_saveexec_b64 s[30:31], s[28:29]
	s_xor_b64 s[28:29], exec, s[30:31]
	s_cbranch_execz .LBB64_50
.LBB64_76:                              ;   in Loop: Header=BB64_4 Depth=1
	v_pk_mov_b32 v[14:15], 0, 0
	s_andn2_b64 s[14:15], s[14:15], exec
	s_or_b64 exec, exec, s[28:29]
	s_and_saveexec_b64 s[28:29], s[14:15]
	s_cbranch_execnz .LBB64_51
	s_branch .LBB64_52
.LBB64_77:                              ;   in Loop: Header=BB64_4 Depth=1
	v_cmp_ne_u64_e32 vcc, 1, v[10:11]
	s_and_b64 s[14:15], vcc, exec
	s_andn2_saveexec_b64 s[28:29], s[28:29]
	s_cbranch_execz .LBB64_56
.LBB64_78:                              ;   in Loop: Header=BB64_4 Depth=1
	v_cmp_ne_u64_e32 vcc, -1, v[10:11]
	s_andn2_b64 s[14:15], s[14:15], exec
	s_and_b64 s[30:31], vcc, exec
	s_mov_b64 s[12:13], exec
	s_or_b64 s[14:15], s[14:15], s[30:31]
                                        ; implicit-def: $vgpr10_vgpr11
	s_or_b64 exec, exec, s[28:29]
	s_and_saveexec_b64 s[28:29], s[14:15]
	s_xor_b64 s[14:15], exec, s[28:29]
	s_cbranch_execz .LBB64_57
.LBB64_79:                              ;   in Loop: Header=BB64_4 Depth=1
	v_pk_mov_b32 v[10:11], 0, 0
	s_andn2_b64 s[12:13], s[12:13], exec
	s_or_b64 exec, exec, s[14:15]
	s_and_saveexec_b64 s[14:15], s[12:13]
	s_cbranch_execnz .LBB64_58
	s_branch .LBB64_59
.LBB64_80:
	s_mov_b64 s[0:1], 0
.LBB64_81:
	s_andn2_b64 vcc, exec, s[0:1]
	s_cbranch_vccnz .LBB64_145
; %bb.82:
	v_mov_b32_e32 v3, 0
	v_lshlrev_b32_e32 v2, 2, v0
	s_mov_b32 s7, 0
	v_cmp_gt_i64_e32 vcc, s[18:19], v[2:3]
	s_and_saveexec_b64 s[0:1], vcc
	s_cbranch_execz .LBB64_145
; %bb.83:
	s_load_dword s2, s[4:5], 0xc64
	s_cmp_lg_u64 s[16:17], 0
	s_cselect_b64 s[0:1], -1, 0
	s_and_b32 s6, s16, 1
	s_cmp_eq_u64 s[6:7], 0
	v_cndmask_b32_e64 v2, 0, 1, s[0:1]
	v_mov_b32_e32 v1, v3
	v_cmp_gt_i64_e64 s[8:9], s[16:17], -1
	s_mov_b64 s[10:11], 0
	s_cselect_b32 s13, 0, -1
	s_cselect_b32 s12, 1, -1
	s_waitcnt lgkmcnt(0)
	s_and_b32 s6, s2, 0xffff
	v_mov_b32_e32 v16, s36
	v_cmp_ne_u32_e64 s[0:1], 1, v2
	s_mov_b64 s[14:15], 0xffff
	s_branch .LBB64_86
.LBB64_84:                              ;   in Loop: Header=BB64_86 Depth=1
	s_or_b64 exec, exec, s[4:5]
	v_pk_mov_b32 v[12:13], v[4:5], v[4:5] op_sel:[0,1]
.LBB64_85:                              ;   in Loop: Header=BB64_86 Depth=1
	v_mov_b32_e32 v3, s35
	v_add_co_u32_e32 v2, vcc, s34, v14
	v_addc_co_u32_e32 v3, vcc, v3, v15, vcc
	v_mov_b32_e32 v4, s7
	v_add_co_u32_e32 v0, vcc, s6, v0
	v_addc_co_u32_e32 v1, vcc, v1, v4, vcc
	v_lshlrev_b64 v[4:5], 2, v[0:1]
	v_cmp_le_i64_e32 vcc, s[18:19], v[4:5]
	v_cmp_lt_u64_e64 s[2:3], s[14:15], v[4:5]
	s_or_b64 s[2:3], vcc, s[2:3]
	s_and_b64 s[2:3], exec, s[2:3]
	s_or_b64 s[10:11], s[2:3], s[10:11]
	global_store_dwordx4 v[2:3], v[6:9], off
	global_store_dwordx4 v[2:3], v[10:13], off offset:16
	s_andn2_b64 exec, exec, s[10:11]
	s_cbranch_execz .LBB64_145
.LBB64_86:                              ; =>This Loop Header: Depth=1
                                        ;     Child Loop BB64_105 Depth 2
                                        ;     Child Loop BB64_91 Depth 2
	;; [unrolled: 1-line block ×4, first 2 shown]
	v_lshlrev_b64 v[14:15], 5, v[0:1]
	v_add_co_u32_e32 v6, vcc, s33, v14
	v_addc_co_u32_e32 v7, vcc, v16, v15, vcc
	global_load_dwordx4 v[2:5], v[6:7], off offset:16
	global_load_dwordx4 v[8:11], v[6:7], off
	s_and_b64 vcc, exec, s[8:9]
	s_mov_b64 s[2:3], -1
                                        ; implicit-def: $vgpr6_vgpr7
	s_cbranch_vccnz .LBB64_103
; %bb.87:                               ;   in Loop: Header=BB64_86 Depth=1
	s_andn2_b64 vcc, exec, s[2:3]
	s_cbranch_vccz .LBB64_107
.LBB64_88:                              ;   in Loop: Header=BB64_86 Depth=1
	s_waitcnt vmcnt(0)
	v_cndmask_b32_e64 v8, 0, 1, s[8:9]
	v_cmp_ne_u32_e64 s[2:3], 1, v8
	s_andn2_b64 vcc, exec, s[8:9]
	s_cbranch_vccnz .LBB64_113
.LBB64_89:                              ;   in Loop: Header=BB64_86 Depth=1
	v_mov_b32_e32 v8, 1
	v_mov_b32_e32 v9, 0
	s_and_b64 vcc, exec, s[0:1]
	s_cbranch_vccnz .LBB64_92
; %bb.90:                               ;   in Loop: Header=BB64_86 Depth=1
	s_mov_b64 s[20:21], s[16:17]
	v_pk_mov_b32 v[12:13], v[10:11], v[10:11] op_sel:[0,1]
.LBB64_91:                              ;   Parent Loop BB64_86 Depth=1
                                        ; =>  This Inner Loop Header: Depth=2
	s_bitcmp1_b32 s20, 0
	s_cselect_b64 vcc, -1, 0
	v_cmp_lt_u64_e64 s[4:5], s[20:21], 2
	v_cndmask_b32_e32 v18, 1, v12, vcc
	v_cndmask_b32_e32 v19, 0, v13, vcc
	v_mul_lo_u32 v17, v12, v13
	s_and_b64 s[4:5], exec, s[4:5]
	v_mul_lo_u32 v20, v18, v9
	v_mad_u64_u32 v[12:13], s[22:23], v12, v12, 0
	v_mul_lo_u32 v19, v19, v8
	v_mad_u64_u32 v[8:9], s[22:23], v18, v8, 0
	s_lshr_b64 s[20:21], s[20:21], 1
	v_add3_u32 v13, v13, v17, v17
	v_add3_u32 v9, v9, v20, v19
	s_mov_b64 vcc, s[4:5]
	s_cbranch_vccz .LBB64_91
.LBB64_92:                              ;   in Loop: Header=BB64_86 Depth=1
	s_cbranch_execz .LBB64_114
; %bb.93:                               ;   in Loop: Header=BB64_86 Depth=1
	s_and_b64 vcc, exec, s[2:3]
	s_cbranch_vccnz .LBB64_120
.LBB64_94:                              ;   in Loop: Header=BB64_86 Depth=1
	v_mov_b32_e32 v10, 1
	v_mov_b32_e32 v11, 0
	s_and_b64 vcc, exec, s[0:1]
	s_cbranch_vccnz .LBB64_97
; %bb.95:                               ;   in Loop: Header=BB64_86 Depth=1
	s_mov_b64 s[20:21], s[16:17]
	v_pk_mov_b32 v[12:13], v[2:3], v[2:3] op_sel:[0,1]
.LBB64_96:                              ;   Parent Loop BB64_86 Depth=1
                                        ; =>  This Inner Loop Header: Depth=2
	s_bitcmp1_b32 s20, 0
	s_cselect_b64 vcc, -1, 0
	v_cmp_lt_u64_e64 s[4:5], s[20:21], 2
	v_cndmask_b32_e32 v18, 1, v12, vcc
	v_cndmask_b32_e32 v19, 0, v13, vcc
	v_mul_lo_u32 v17, v12, v13
	s_and_b64 s[4:5], exec, s[4:5]
	v_mul_lo_u32 v20, v18, v11
	v_mad_u64_u32 v[12:13], s[22:23], v12, v12, 0
	v_mul_lo_u32 v19, v19, v10
	v_mad_u64_u32 v[10:11], s[22:23], v18, v10, 0
	s_lshr_b64 s[20:21], s[20:21], 1
	v_add3_u32 v13, v13, v17, v17
	v_add3_u32 v11, v11, v20, v19
	s_mov_b64 vcc, s[4:5]
	s_cbranch_vccz .LBB64_96
.LBB64_97:                              ;   in Loop: Header=BB64_86 Depth=1
	s_cbranch_execz .LBB64_121
; %bb.98:                               ;   in Loop: Header=BB64_86 Depth=1
	s_and_b64 vcc, exec, s[2:3]
	s_cbranch_vccnz .LBB64_127
.LBB64_99:                              ;   in Loop: Header=BB64_86 Depth=1
	v_mov_b32_e32 v12, 1
	v_mov_b32_e32 v13, 0
	s_and_b64 vcc, exec, s[0:1]
	s_cbranch_vccnz .LBB64_102
; %bb.100:                              ;   in Loop: Header=BB64_86 Depth=1
	s_mov_b64 s[4:5], s[16:17]
	v_pk_mov_b32 v[2:3], v[4:5], v[4:5] op_sel:[0,1]
.LBB64_101:                             ;   Parent Loop BB64_86 Depth=1
                                        ; =>  This Inner Loop Header: Depth=2
	s_bitcmp1_b32 s4, 0
	s_cselect_b64 vcc, -1, 0
	v_cmp_lt_u64_e64 s[2:3], s[4:5], 2
	v_cndmask_b32_e32 v18, 1, v2, vcc
	v_cndmask_b32_e32 v19, 0, v3, vcc
	v_mul_lo_u32 v17, v2, v3
	s_and_b64 s[2:3], exec, s[2:3]
	v_mul_lo_u32 v20, v18, v13
	v_mad_u64_u32 v[2:3], s[20:21], v2, v2, 0
	v_mul_lo_u32 v19, v19, v12
	v_mad_u64_u32 v[12:13], s[20:21], v18, v12, 0
	s_lshr_b64 s[4:5], s[4:5], 1
	v_add3_u32 v3, v3, v17, v17
	v_add3_u32 v13, v13, v20, v19
	s_mov_b64 vcc, s[2:3]
	s_cbranch_vccz .LBB64_101
.LBB64_102:                             ;   in Loop: Header=BB64_86 Depth=1
	s_cbranch_execnz .LBB64_85
	s_branch .LBB64_128
.LBB64_103:                             ;   in Loop: Header=BB64_86 Depth=1
	v_mov_b32_e32 v6, 1
	v_mov_b32_e32 v7, 0
	s_and_b64 vcc, exec, s[0:1]
	s_cbranch_vccnz .LBB64_106
; %bb.104:                              ;   in Loop: Header=BB64_86 Depth=1
	s_mov_b64 s[4:5], s[16:17]
	s_waitcnt vmcnt(0)
	v_pk_mov_b32 v[12:13], v[8:9], v[8:9] op_sel:[0,1]
.LBB64_105:                             ;   Parent Loop BB64_86 Depth=1
                                        ; =>  This Inner Loop Header: Depth=2
	s_bitcmp1_b32 s4, 0
	s_cselect_b64 vcc, -1, 0
	v_cmp_gt_u64_e64 s[2:3], s[4:5], 1
	v_cndmask_b32_e32 v18, 1, v12, vcc
	v_cndmask_b32_e32 v19, 0, v13, vcc
	v_mul_lo_u32 v17, v12, v13
	s_and_b64 s[2:3], exec, s[2:3]
	v_mul_lo_u32 v20, v18, v7
	v_mad_u64_u32 v[12:13], s[20:21], v12, v12, 0
	v_mul_lo_u32 v19, v19, v6
	v_mad_u64_u32 v[6:7], s[20:21], v18, v6, 0
	s_lshr_b64 s[4:5], s[4:5], 1
	v_add3_u32 v13, v13, v17, v17
	v_add3_u32 v7, v7, v20, v19
	s_mov_b64 vcc, s[2:3]
	s_cbranch_vccnz .LBB64_105
.LBB64_106:                             ;   in Loop: Header=BB64_86 Depth=1
	s_cbranch_execnz .LBB64_88
.LBB64_107:                             ;   in Loop: Header=BB64_86 Depth=1
	s_waitcnt vmcnt(0)
	v_cmp_lt_i64_e32 vcc, 0, v[8:9]
	s_mov_b64 s[2:3], 0
	s_mov_b64 s[4:5], 0
	s_and_saveexec_b64 s[20:21], vcc
	s_xor_b64 s[20:21], exec, s[20:21]
	s_cbranch_execnz .LBB64_132
; %bb.108:                              ;   in Loop: Header=BB64_86 Depth=1
	s_andn2_saveexec_b64 s[20:21], s[20:21]
	s_cbranch_execnz .LBB64_133
.LBB64_109:                             ;   in Loop: Header=BB64_86 Depth=1
	s_or_b64 exec, exec, s[20:21]
	s_and_saveexec_b64 s[20:21], s[4:5]
	s_xor_b64 s[4:5], exec, s[20:21]
	s_cbranch_execnz .LBB64_134
.LBB64_110:                             ;   in Loop: Header=BB64_86 Depth=1
	s_or_b64 exec, exec, s[4:5]
	s_and_saveexec_b64 s[4:5], s[2:3]
.LBB64_111:                             ;   in Loop: Header=BB64_86 Depth=1
	v_pk_mov_b32 v[8:9], s[12:13], s[12:13] op_sel:[0,1]
.LBB64_112:                             ;   in Loop: Header=BB64_86 Depth=1
	s_or_b64 exec, exec, s[4:5]
	v_pk_mov_b32 v[6:7], v[8:9], v[8:9] op_sel:[0,1]
	v_cndmask_b32_e64 v8, 0, 1, s[8:9]
	v_cmp_ne_u32_e64 s[2:3], 1, v8
	s_andn2_b64 vcc, exec, s[8:9]
	s_cbranch_vccz .LBB64_89
.LBB64_113:                             ;   in Loop: Header=BB64_86 Depth=1
.LBB64_114:                             ;   in Loop: Header=BB64_86 Depth=1
	v_cmp_lt_i64_e32 vcc, 0, v[10:11]
	s_mov_b64 s[4:5], 0
	s_mov_b64 s[20:21], 0
	s_and_saveexec_b64 s[22:23], vcc
	s_xor_b64 s[22:23], exec, s[22:23]
	s_cbranch_execnz .LBB64_135
; %bb.115:                              ;   in Loop: Header=BB64_86 Depth=1
	s_andn2_saveexec_b64 s[22:23], s[22:23]
	s_cbranch_execnz .LBB64_136
.LBB64_116:                             ;   in Loop: Header=BB64_86 Depth=1
	s_or_b64 exec, exec, s[22:23]
	s_and_saveexec_b64 s[22:23], s[20:21]
	s_xor_b64 s[20:21], exec, s[22:23]
	s_cbranch_execnz .LBB64_137
.LBB64_117:                             ;   in Loop: Header=BB64_86 Depth=1
	s_or_b64 exec, exec, s[20:21]
	s_and_saveexec_b64 s[20:21], s[4:5]
.LBB64_118:                             ;   in Loop: Header=BB64_86 Depth=1
	v_pk_mov_b32 v[10:11], s[12:13], s[12:13] op_sel:[0,1]
.LBB64_119:                             ;   in Loop: Header=BB64_86 Depth=1
	s_or_b64 exec, exec, s[20:21]
	v_pk_mov_b32 v[8:9], v[10:11], v[10:11] op_sel:[0,1]
	s_and_b64 vcc, exec, s[2:3]
	s_cbranch_vccz .LBB64_94
.LBB64_120:                             ;   in Loop: Header=BB64_86 Depth=1
                                        ; implicit-def: $vgpr10_vgpr11
.LBB64_121:                             ;   in Loop: Header=BB64_86 Depth=1
	v_cmp_lt_i64_e32 vcc, 0, v[2:3]
	s_mov_b64 s[4:5], 0
	s_mov_b64 s[20:21], 0
	s_and_saveexec_b64 s[22:23], vcc
	s_xor_b64 s[22:23], exec, s[22:23]
	s_cbranch_execnz .LBB64_138
; %bb.122:                              ;   in Loop: Header=BB64_86 Depth=1
	s_andn2_saveexec_b64 s[22:23], s[22:23]
	s_cbranch_execnz .LBB64_139
.LBB64_123:                             ;   in Loop: Header=BB64_86 Depth=1
	s_or_b64 exec, exec, s[22:23]
	s_and_saveexec_b64 s[22:23], s[20:21]
	s_xor_b64 s[20:21], exec, s[22:23]
	s_cbranch_execnz .LBB64_140
.LBB64_124:                             ;   in Loop: Header=BB64_86 Depth=1
	s_or_b64 exec, exec, s[20:21]
	s_and_saveexec_b64 s[20:21], s[4:5]
.LBB64_125:                             ;   in Loop: Header=BB64_86 Depth=1
	v_pk_mov_b32 v[2:3], s[12:13], s[12:13] op_sel:[0,1]
.LBB64_126:                             ;   in Loop: Header=BB64_86 Depth=1
	s_or_b64 exec, exec, s[20:21]
	v_pk_mov_b32 v[10:11], v[2:3], v[2:3] op_sel:[0,1]
	s_and_b64 vcc, exec, s[2:3]
	s_cbranch_vccz .LBB64_99
.LBB64_127:                             ;   in Loop: Header=BB64_86 Depth=1
.LBB64_128:                             ;   in Loop: Header=BB64_86 Depth=1
	v_cmp_lt_i64_e32 vcc, 0, v[4:5]
	s_mov_b64 s[2:3], 0
	s_mov_b64 s[4:5], 0
	s_and_saveexec_b64 s[20:21], vcc
	s_xor_b64 s[20:21], exec, s[20:21]
	s_cbranch_execnz .LBB64_141
; %bb.129:                              ;   in Loop: Header=BB64_86 Depth=1
	s_andn2_saveexec_b64 s[20:21], s[20:21]
	s_cbranch_execnz .LBB64_142
.LBB64_130:                             ;   in Loop: Header=BB64_86 Depth=1
	s_or_b64 exec, exec, s[20:21]
	s_and_saveexec_b64 s[20:21], s[4:5]
	s_xor_b64 s[4:5], exec, s[20:21]
	s_cbranch_execnz .LBB64_143
.LBB64_131:                             ;   in Loop: Header=BB64_86 Depth=1
	s_or_b64 exec, exec, s[4:5]
	s_and_saveexec_b64 s[4:5], s[2:3]
	s_cbranch_execz .LBB64_84
	s_branch .LBB64_144
.LBB64_132:                             ;   in Loop: Header=BB64_86 Depth=1
	v_cmp_ne_u64_e32 vcc, 1, v[8:9]
	s_and_b64 s[4:5], vcc, exec
	s_andn2_saveexec_b64 s[20:21], s[20:21]
	s_cbranch_execz .LBB64_109
.LBB64_133:                             ;   in Loop: Header=BB64_86 Depth=1
	v_cmp_ne_u64_e32 vcc, -1, v[8:9]
	s_andn2_b64 s[4:5], s[4:5], exec
	s_and_b64 s[22:23], vcc, exec
	s_mov_b64 s[2:3], exec
	s_or_b64 s[4:5], s[4:5], s[22:23]
	s_or_b64 exec, exec, s[20:21]
	s_and_saveexec_b64 s[20:21], s[4:5]
	s_xor_b64 s[4:5], exec, s[20:21]
	s_cbranch_execz .LBB64_110
.LBB64_134:                             ;   in Loop: Header=BB64_86 Depth=1
	v_pk_mov_b32 v[8:9], 0, 0
	s_andn2_b64 s[2:3], s[2:3], exec
	s_or_b64 exec, exec, s[4:5]
	s_and_saveexec_b64 s[4:5], s[2:3]
	s_cbranch_execnz .LBB64_111
	s_branch .LBB64_112
.LBB64_135:                             ;   in Loop: Header=BB64_86 Depth=1
	v_cmp_ne_u64_e32 vcc, 1, v[10:11]
	s_and_b64 s[20:21], vcc, exec
	s_andn2_saveexec_b64 s[22:23], s[22:23]
	s_cbranch_execz .LBB64_116
.LBB64_136:                             ;   in Loop: Header=BB64_86 Depth=1
	v_cmp_ne_u64_e32 vcc, -1, v[10:11]
	s_andn2_b64 s[20:21], s[20:21], exec
	s_and_b64 s[24:25], vcc, exec
	s_mov_b64 s[4:5], exec
	s_or_b64 s[20:21], s[20:21], s[24:25]
                                        ; implicit-def: $vgpr10_vgpr11
	s_or_b64 exec, exec, s[22:23]
	s_and_saveexec_b64 s[22:23], s[20:21]
	s_xor_b64 s[20:21], exec, s[22:23]
	s_cbranch_execz .LBB64_117
.LBB64_137:                             ;   in Loop: Header=BB64_86 Depth=1
	v_pk_mov_b32 v[10:11], 0, 0
	s_andn2_b64 s[4:5], s[4:5], exec
	s_or_b64 exec, exec, s[20:21]
	s_and_saveexec_b64 s[20:21], s[4:5]
	s_cbranch_execnz .LBB64_118
	s_branch .LBB64_119
.LBB64_138:                             ;   in Loop: Header=BB64_86 Depth=1
	v_cmp_ne_u64_e32 vcc, 1, v[2:3]
	s_and_b64 s[20:21], vcc, exec
	s_andn2_saveexec_b64 s[22:23], s[22:23]
	s_cbranch_execz .LBB64_123
.LBB64_139:                             ;   in Loop: Header=BB64_86 Depth=1
	v_cmp_ne_u64_e32 vcc, -1, v[2:3]
	s_andn2_b64 s[20:21], s[20:21], exec
	s_and_b64 s[24:25], vcc, exec
	s_mov_b64 s[4:5], exec
	s_or_b64 s[20:21], s[20:21], s[24:25]
	s_or_b64 exec, exec, s[22:23]
	s_and_saveexec_b64 s[22:23], s[20:21]
	s_xor_b64 s[20:21], exec, s[22:23]
	s_cbranch_execz .LBB64_124
.LBB64_140:                             ;   in Loop: Header=BB64_86 Depth=1
	v_pk_mov_b32 v[2:3], 0, 0
	s_andn2_b64 s[4:5], s[4:5], exec
	s_or_b64 exec, exec, s[20:21]
	s_and_saveexec_b64 s[20:21], s[4:5]
	s_cbranch_execnz .LBB64_125
	s_branch .LBB64_126
.LBB64_141:                             ;   in Loop: Header=BB64_86 Depth=1
	v_cmp_ne_u64_e32 vcc, 1, v[4:5]
	s_and_b64 s[4:5], vcc, exec
	s_andn2_saveexec_b64 s[20:21], s[20:21]
	s_cbranch_execz .LBB64_130
.LBB64_142:                             ;   in Loop: Header=BB64_86 Depth=1
	v_cmp_ne_u64_e32 vcc, -1, v[4:5]
	s_andn2_b64 s[4:5], s[4:5], exec
	s_and_b64 s[22:23], vcc, exec
	s_mov_b64 s[2:3], exec
	s_or_b64 s[4:5], s[4:5], s[22:23]
                                        ; implicit-def: $vgpr4_vgpr5
	s_or_b64 exec, exec, s[20:21]
	s_and_saveexec_b64 s[20:21], s[4:5]
	s_xor_b64 s[4:5], exec, s[20:21]
	s_cbranch_execz .LBB64_131
.LBB64_143:                             ;   in Loop: Header=BB64_86 Depth=1
	v_pk_mov_b32 v[4:5], 0, 0
	s_andn2_b64 s[2:3], s[2:3], exec
	s_or_b64 exec, exec, s[4:5]
	s_and_saveexec_b64 s[4:5], s[2:3]
	s_cbranch_execz .LBB64_84
.LBB64_144:                             ;   in Loop: Header=BB64_86 Depth=1
	v_pk_mov_b32 v[4:5], s[12:13], s[12:13] op_sel:[0,1]
	s_branch .LBB64_84
.LBB64_145:
	s_endpgm
	.section	.rodata,"a",@progbits
	.p2align	6, 0x0
	.amdhsa_kernel _ZN2at6native12_GLOBAL__N_125multi_tensor_apply_kernelINS1_18TensorListMetadataILi2EEENS1_21BinaryOpScalarFunctorIlLi2ELi1ELi1EEEJNS1_13power_functorIlEElEEEvT_T0_DpT1_
		.amdhsa_group_segment_fixed_size 0
		.amdhsa_private_segment_fixed_size 0
		.amdhsa_kernarg_size 3416
		.amdhsa_user_sgpr_count 6
		.amdhsa_user_sgpr_private_segment_buffer 1
		.amdhsa_user_sgpr_dispatch_ptr 0
		.amdhsa_user_sgpr_queue_ptr 0
		.amdhsa_user_sgpr_kernarg_segment_ptr 1
		.amdhsa_user_sgpr_dispatch_id 0
		.amdhsa_user_sgpr_flat_scratch_init 0
		.amdhsa_user_sgpr_kernarg_preload_length 0
		.amdhsa_user_sgpr_kernarg_preload_offset 0
		.amdhsa_user_sgpr_private_segment_size 0
		.amdhsa_uses_dynamic_stack 0
		.amdhsa_system_sgpr_private_segment_wavefront_offset 0
		.amdhsa_system_sgpr_workgroup_id_x 1
		.amdhsa_system_sgpr_workgroup_id_y 0
		.amdhsa_system_sgpr_workgroup_id_z 0
		.amdhsa_system_sgpr_workgroup_info 0
		.amdhsa_system_vgpr_workitem_id 0
		.amdhsa_next_free_vgpr 28
		.amdhsa_next_free_sgpr 44
		.amdhsa_accum_offset 28
		.amdhsa_reserve_vcc 1
		.amdhsa_reserve_flat_scratch 0
		.amdhsa_float_round_mode_32 0
		.amdhsa_float_round_mode_16_64 0
		.amdhsa_float_denorm_mode_32 3
		.amdhsa_float_denorm_mode_16_64 3
		.amdhsa_dx10_clamp 1
		.amdhsa_ieee_mode 1
		.amdhsa_fp16_overflow 0
		.amdhsa_tg_split 0
		.amdhsa_exception_fp_ieee_invalid_op 0
		.amdhsa_exception_fp_denorm_src 0
		.amdhsa_exception_fp_ieee_div_zero 0
		.amdhsa_exception_fp_ieee_overflow 0
		.amdhsa_exception_fp_ieee_underflow 0
		.amdhsa_exception_fp_ieee_inexact 0
		.amdhsa_exception_int_div_zero 0
	.end_amdhsa_kernel
	.section	.text._ZN2at6native12_GLOBAL__N_125multi_tensor_apply_kernelINS1_18TensorListMetadataILi2EEENS1_21BinaryOpScalarFunctorIlLi2ELi1ELi1EEEJNS1_13power_functorIlEElEEEvT_T0_DpT1_,"axG",@progbits,_ZN2at6native12_GLOBAL__N_125multi_tensor_apply_kernelINS1_18TensorListMetadataILi2EEENS1_21BinaryOpScalarFunctorIlLi2ELi1ELi1EEEJNS1_13power_functorIlEElEEEvT_T0_DpT1_,comdat
.Lfunc_end64:
	.size	_ZN2at6native12_GLOBAL__N_125multi_tensor_apply_kernelINS1_18TensorListMetadataILi2EEENS1_21BinaryOpScalarFunctorIlLi2ELi1ELi1EEEJNS1_13power_functorIlEElEEEvT_T0_DpT1_, .Lfunc_end64-_ZN2at6native12_GLOBAL__N_125multi_tensor_apply_kernelINS1_18TensorListMetadataILi2EEENS1_21BinaryOpScalarFunctorIlLi2ELi1ELi1EEEJNS1_13power_functorIlEElEEEvT_T0_DpT1_
                                        ; -- End function
	.section	.AMDGPU.csdata,"",@progbits
; Kernel info:
; codeLenInByte = 3564
; NumSgprs: 48
; NumVgprs: 28
; NumAgprs: 0
; TotalNumVgprs: 28
; ScratchSize: 0
; MemoryBound: 1
; FloatMode: 240
; IeeeMode: 1
; LDSByteSize: 0 bytes/workgroup (compile time only)
; SGPRBlocks: 5
; VGPRBlocks: 3
; NumSGPRsForWavesPerEU: 48
; NumVGPRsForWavesPerEU: 28
; AccumOffset: 28
; Occupancy: 8
; WaveLimiterHint : 0
; COMPUTE_PGM_RSRC2:SCRATCH_EN: 0
; COMPUTE_PGM_RSRC2:USER_SGPR: 6
; COMPUTE_PGM_RSRC2:TRAP_HANDLER: 0
; COMPUTE_PGM_RSRC2:TGID_X_EN: 1
; COMPUTE_PGM_RSRC2:TGID_Y_EN: 0
; COMPUTE_PGM_RSRC2:TGID_Z_EN: 0
; COMPUTE_PGM_RSRC2:TIDIG_COMP_CNT: 0
; COMPUTE_PGM_RSRC3_GFX90A:ACCUM_OFFSET: 6
; COMPUTE_PGM_RSRC3_GFX90A:TG_SPLIT: 0
	.section	.text._ZN2at6native12_GLOBAL__N_125multi_tensor_apply_kernelINS1_18TensorListMetadataILi2EEENS1_21BinaryOpScalarFunctorIsLi2ELi1ELi1EEEJNS1_13power_functorIsEEsEEEvT_T0_DpT1_,"axG",@progbits,_ZN2at6native12_GLOBAL__N_125multi_tensor_apply_kernelINS1_18TensorListMetadataILi2EEENS1_21BinaryOpScalarFunctorIsLi2ELi1ELi1EEEJNS1_13power_functorIsEEsEEEvT_T0_DpT1_,comdat
	.globl	_ZN2at6native12_GLOBAL__N_125multi_tensor_apply_kernelINS1_18TensorListMetadataILi2EEENS1_21BinaryOpScalarFunctorIsLi2ELi1ELi1EEEJNS1_13power_functorIsEEsEEEvT_T0_DpT1_ ; -- Begin function _ZN2at6native12_GLOBAL__N_125multi_tensor_apply_kernelINS1_18TensorListMetadataILi2EEENS1_21BinaryOpScalarFunctorIsLi2ELi1ELi1EEEJNS1_13power_functorIsEEsEEEvT_T0_DpT1_
	.p2align	8
	.type	_ZN2at6native12_GLOBAL__N_125multi_tensor_apply_kernelINS1_18TensorListMetadataILi2EEENS1_21BinaryOpScalarFunctorIsLi2ELi1ELi1EEEJNS1_13power_functorIsEEsEEEvT_T0_DpT1_,@function
_ZN2at6native12_GLOBAL__N_125multi_tensor_apply_kernelINS1_18TensorListMetadataILi2EEENS1_21BinaryOpScalarFunctorIsLi2ELi1ELi1EEEJNS1_13power_functorIsEEsEEEvT_T0_DpT1_: ; @_ZN2at6native12_GLOBAL__N_125multi_tensor_apply_kernelINS1_18TensorListMetadataILi2EEENS1_21BinaryOpScalarFunctorIsLi2ELi1ELi1EEEJNS1_13power_functorIsEEsEEEvT_T0_DpT1_
; %bb.0:
	v_mov_b32_e32 v1, s6
	global_load_ubyte v1, v1, s[4:5] offset:1536
	s_load_dword s0, s[4:5], 0xc48
	s_mul_hi_u32 s2, s6, 3
	s_mul_i32 s8, s6, 3
	s_mov_b32 s1, 0
	s_mov_b32 s7, s1
	s_waitcnt lgkmcnt(0)
	s_lshr_b32 s28, s0, 16
	s_add_u32 s0, s4, s6
	s_addc_u32 s6, s5, 0
	s_add_u32 s8, s0, s8
	s_addc_u32 s9, s6, s2
	s_load_dword s8, s[8:9], 0x740
	s_mov_b32 s3, s1
	s_waitcnt lgkmcnt(0)
	s_ashr_i32 s9, s8, 31
	s_lshl_b64 s[16:17], s[8:9], 17
	s_waitcnt vmcnt(0)
	v_readfirstlane_b32 s0, v1
	s_lshl_b32 s0, s0, 3
	s_load_dwordx2 s[10:11], s[4:5], s0 offset:0x0
	s_load_dwordx2 s[12:13], s[4:5], s0 offset:0x400
	;; [unrolled: 1-line block ×3, first 2 shown]
	s_waitcnt lgkmcnt(0)
	s_add_u32 s29, s10, s16
	s_addc_u32 s33, s11, s17
	s_and_b32 s0, s29, 7
	s_add_u32 s30, s14, s16
	s_addc_u32 s31, s15, s17
	s_and_b32 s6, s12, 3
	s_and_b32 s2, s30, 7
	s_or_b64 s[0:1], s[0:1], s[6:7]
	s_or_b64 s[0:1], s[2:3], s[0:1]
	s_lshl_b64 s[2:3], s[8:9], 16
	s_sub_u32 s14, s12, s2
	s_subb_u32 s15, s13, s3
	s_cmp_eq_u64 s[0:1], 0
	s_mov_b64 s[0:1], -1
	s_cbranch_scc1 .LBB65_85
; %bb.1:
	v_cmp_lt_i64_e64 s[0:1], s[14:15], 1
	s_and_b64 vcc, exec, s[0:1]
	s_cbranch_vccnz .LBB65_84
; %bb.2:
	s_load_dword s0, s[4:5], 0xc5c
	v_mov_b32_e32 v2, 0x10000
	v_mov_b32_e32 v3, 0
	v_cmp_lt_u64_e32 vcc, s[14:15], v[2:3]
	v_and_b32_e64 v1, s28, 1
	s_waitcnt lgkmcnt(0)
	s_and_b32 s34, s0, 0xffff
	s_and_b64 s[0:1], vcc, exec
	s_cselect_b32 s17, s15, 0
	s_cselect_b32 s16, s14, 0x10000
	s_lshl_b32 s35, s34, 1
	s_sext_i32_i16 s0, s28
	s_cmp_gt_i32 s0, -1
	v_cmp_eq_u16_e32 vcc, 0, v1
	s_cselect_b64 s[18:19], -1, 0
	s_and_b64 s[0:1], vcc, exec
	v_cmp_ne_u16_e64 s[0:1], s28, 0
	v_cndmask_b32_e64 v2, 0, 1, s[0:1]
	s_mov_b32 s2, 0
	v_cmp_ne_u32_e64 s[0:1], 1, v2
	v_cndmask_b32_e64 v2, 0, 1, s[18:19]
	s_mul_i32 s36, s34, 3
	s_cselect_b32 s37, 1, 0xffff
	s_lshl_b32 s38, s34, 2
	s_mov_b64 s[20:21], 0
	v_mov_b32_e32 v1, s2
	v_mov_b32_e32 v10, s2
	v_mov_b32_e32 v11, s2
	v_cmp_ne_u32_e64 s[2:3], 1, v2
	s_branch .LBB65_4
.LBB65_3:                               ;   in Loop: Header=BB65_4 Depth=1
	s_or_b64 exec, exec, s[6:7]
	s_add_u32 s20, s20, s38
	s_addc_u32 s21, s21, 0
	v_pk_mov_b32 v[2:3], s[14:15], s[14:15] op_sel:[0,1]
	v_cmp_ge_i64_e32 vcc, s[20:21], v[2:3]
	v_mov_b32_e32 v2, 0xffff
	v_mov_b32_e32 v3, 0
	v_cmp_gt_u64_e64 s[6:7], s[20:21], v[2:3]
	s_or_b64 s[6:7], vcc, s[6:7]
	s_and_b64 vcc, exec, s[6:7]
	s_cbranch_vccnz .LBB65_84
.LBB65_4:                               ; =>This Loop Header: Depth=1
                                        ;     Child Loop BB65_15 Depth 2
                                        ;     Child Loop BB65_20 Depth 2
	;; [unrolled: 1-line block ×4, first 2 shown]
	v_mov_b32_e32 v2, s21
	v_add_co_u32_e32 v8, vcc, s20, v0
	v_addc_co_u32_e32 v9, vcc, 0, v2, vcc
	v_cmp_gt_u64_e64 s[6:7], s[16:17], v[8:9]
	v_lshlrev_b64 v[2:3], 1, v[8:9]
	s_waitcnt vmcnt(0)
	v_mov_b32_e32 v15, 0
	s_and_saveexec_b64 s[8:9], s[6:7]
	s_cbranch_execz .LBB65_6
; %bb.5:                                ;   in Loop: Header=BB65_4 Depth=1
	v_mov_b32_e32 v5, s33
	v_add_co_u32_e32 v4, vcc, s29, v2
	v_addc_co_u32_e32 v5, vcc, v5, v3, vcc
	global_load_ushort v15, v[4:5], off
.LBB65_6:                               ;   in Loop: Header=BB65_4 Depth=1
	s_or_b64 exec, exec, s[8:9]
	v_add_co_u32_e32 v4, vcc, s34, v8
	v_addc_co_u32_e32 v5, vcc, v9, v1, vcc
	v_cmp_gt_u64_e64 s[8:9], s[16:17], v[4:5]
	v_lshlrev_b64 v[4:5], 1, v[4:5]
	v_mov_b32_e32 v16, 0
	s_and_saveexec_b64 s[10:11], s[8:9]
	s_cbranch_execz .LBB65_8
; %bb.7:                                ;   in Loop: Header=BB65_4 Depth=1
	v_mov_b32_e32 v7, s33
	v_add_co_u32_e32 v6, vcc, s29, v4
	v_addc_co_u32_e32 v7, vcc, v7, v5, vcc
	global_load_ushort v16, v[6:7], off
.LBB65_8:                               ;   in Loop: Header=BB65_4 Depth=1
	s_or_b64 exec, exec, s[10:11]
	v_add_co_u32_e32 v6, vcc, s35, v8
	v_addc_co_u32_e32 v7, vcc, v9, v10, vcc
	v_cmp_gt_u64_e64 s[10:11], s[16:17], v[6:7]
	v_mov_b32_e32 v12, 0
	v_lshlrev_b64 v[6:7], 1, v[6:7]
	v_mov_b32_e32 v14, 0
	s_and_saveexec_b64 s[12:13], s[10:11]
	s_cbranch_execz .LBB65_10
; %bb.9:                                ;   in Loop: Header=BB65_4 Depth=1
	v_mov_b32_e32 v13, s33
	v_add_co_u32_e32 v18, vcc, s29, v6
	v_addc_co_u32_e32 v19, vcc, v13, v7, vcc
	global_load_ushort v14, v[18:19], off
.LBB65_10:                              ;   in Loop: Header=BB65_4 Depth=1
	s_or_b64 exec, exec, s[12:13]
	v_add_co_u32_e32 v8, vcc, s36, v8
	v_addc_co_u32_e32 v9, vcc, v9, v11, vcc
	v_cmp_gt_u64_e64 s[12:13], s[16:17], v[8:9]
	v_lshlrev_b64 v[8:9], 1, v[8:9]
	s_and_saveexec_b64 s[22:23], s[12:13]
	s_cbranch_execz .LBB65_12
; %bb.11:                               ;   in Loop: Header=BB65_4 Depth=1
	v_mov_b32_e32 v13, s33
	v_add_co_u32_e32 v12, vcc, s29, v8
	v_addc_co_u32_e32 v13, vcc, v13, v9, vcc
	global_load_ushort v12, v[12:13], off
.LBB65_12:                              ;   in Loop: Header=BB65_4 Depth=1
	s_or_b64 exec, exec, s[22:23]
	s_and_b64 vcc, exec, s[18:19]
	s_cbranch_vccz .LBB65_16
; %bb.13:                               ;   in Loop: Header=BB65_4 Depth=1
	s_and_b64 vcc, exec, s[0:1]
	s_cbranch_vccnz .LBB65_21
; %bb.14:                               ;   in Loop: Header=BB65_4 Depth=1
	v_mov_b32_e32 v18, s28
	v_mov_b32_e32 v13, 1
	s_waitcnt vmcnt(0)
	v_mov_b32_e32 v17, v15
.LBB65_15:                              ;   Parent Loop BB65_4 Depth=1
                                        ; =>  This Inner Loop Header: Depth=2
	v_and_b32_e32 v19, 1, v18
	v_cmp_eq_u32_e32 vcc, 1, v19
	v_cndmask_b32_e32 v19, 1, v17, vcc
	v_mul_lo_u16_e32 v13, v19, v13
	v_lshrrev_b16_e32 v19, 15, v18
	v_add_u16_e32 v19, v18, v19
	v_add_u16_e32 v18, 1, v18
	v_ashrrev_i16_e32 v19, 1, v19
	v_cmp_lt_u16_e32 vcc, 2, v18
	v_mul_lo_u16_e32 v17, v17, v17
	v_mov_b32_e32 v18, v19
	s_cbranch_vccnz .LBB65_15
	s_branch .LBB65_22
.LBB65_16:                              ;   in Loop: Header=BB65_4 Depth=1
                                        ; implicit-def: $vgpr13
	s_branch .LBB65_23
.LBB65_17:                              ;   in Loop: Header=BB65_4 Depth=1
	s_and_b64 vcc, exec, s[2:3]
	s_cbranch_vccnz .LBB65_29
.LBB65_18:                              ;   in Loop: Header=BB65_4 Depth=1
	s_and_b64 vcc, exec, s[0:1]
	s_cbranch_vccnz .LBB65_37
; %bb.19:                               ;   in Loop: Header=BB65_4 Depth=1
	v_mov_b32_e32 v18, s28
	s_waitcnt vmcnt(0)
	v_mov_b32_e32 v15, 1
	v_mov_b32_e32 v17, v16
.LBB65_20:                              ;   Parent Loop BB65_4 Depth=1
                                        ; =>  This Inner Loop Header: Depth=2
	v_and_b32_e32 v19, 1, v18
	v_cmp_eq_u32_e32 vcc, 1, v19
	v_cndmask_b32_e32 v19, 1, v17, vcc
	v_mul_lo_u16_e32 v15, v19, v15
	v_lshrrev_b16_e32 v19, 15, v18
	v_add_u16_e32 v19, v18, v19
	v_add_u16_e32 v18, 1, v18
	v_ashrrev_i16_e32 v19, 1, v19
	v_cmp_gt_u16_e32 vcc, 3, v18
	v_mul_lo_u16_e32 v17, v17, v17
	v_mov_b32_e32 v18, v19
	s_cbranch_vccz .LBB65_20
	s_branch .LBB65_38
.LBB65_21:                              ;   in Loop: Header=BB65_4 Depth=1
	v_mov_b32_e32 v13, 1
.LBB65_22:                              ;   in Loop: Header=BB65_4 Depth=1
	s_cbranch_execnz .LBB65_17
.LBB65_23:                              ;   in Loop: Header=BB65_4 Depth=1
	s_waitcnt vmcnt(0)
	v_cmp_lt_i16_e32 vcc, 0, v15
	s_mov_b64 s[22:23], 0
	s_mov_b64 s[24:25], 0
	s_and_saveexec_b64 s[26:27], vcc
	s_xor_b64 s[26:27], exec, s[26:27]
	s_cbranch_execnz .LBB65_34
; %bb.24:                               ;   in Loop: Header=BB65_4 Depth=1
	s_andn2_saveexec_b64 s[26:27], s[26:27]
	s_cbranch_execnz .LBB65_35
.LBB65_25:                              ;   in Loop: Header=BB65_4 Depth=1
	s_or_b64 exec, exec, s[26:27]
	s_and_saveexec_b64 s[26:27], s[24:25]
	s_xor_b64 s[24:25], exec, s[26:27]
	s_cbranch_execnz .LBB65_36
.LBB65_26:                              ;   in Loop: Header=BB65_4 Depth=1
	s_or_b64 exec, exec, s[24:25]
	s_and_saveexec_b64 s[24:25], s[22:23]
.LBB65_27:                              ;   in Loop: Header=BB65_4 Depth=1
	v_mov_b32_e32 v15, s37
.LBB65_28:                              ;   in Loop: Header=BB65_4 Depth=1
	s_or_b64 exec, exec, s[24:25]
	v_mov_b32_e32 v13, v15
	s_and_b64 vcc, exec, s[2:3]
	s_cbranch_vccz .LBB65_18
.LBB65_29:                              ;   in Loop: Header=BB65_4 Depth=1
                                        ; implicit-def: $vgpr15
	s_branch .LBB65_39
.LBB65_30:                              ;   in Loop: Header=BB65_4 Depth=1
	s_and_b64 vcc, exec, s[2:3]
	s_cbranch_vccnz .LBB65_45
.LBB65_31:                              ;   in Loop: Header=BB65_4 Depth=1
	s_and_b64 vcc, exec, s[0:1]
	s_cbranch_vccnz .LBB65_53
; %bb.32:                               ;   in Loop: Header=BB65_4 Depth=1
	v_mov_b32_e32 v18, s28
	s_waitcnt vmcnt(0)
	v_mov_b32_e32 v16, 1
	v_mov_b32_e32 v17, v14
.LBB65_33:                              ;   Parent Loop BB65_4 Depth=1
                                        ; =>  This Inner Loop Header: Depth=2
	v_and_b32_e32 v19, 1, v18
	v_cmp_eq_u32_e32 vcc, 1, v19
	v_cndmask_b32_e32 v19, 1, v17, vcc
	v_mul_lo_u16_e32 v16, v19, v16
	v_lshrrev_b16_e32 v19, 15, v18
	v_add_u16_e32 v19, v18, v19
	v_add_u16_e32 v18, 1, v18
	v_ashrrev_i16_e32 v19, 1, v19
	v_cmp_gt_u16_e32 vcc, 3, v18
	v_mul_lo_u16_e32 v17, v17, v17
	v_mov_b32_e32 v18, v19
	s_cbranch_vccz .LBB65_33
	s_branch .LBB65_54
.LBB65_34:                              ;   in Loop: Header=BB65_4 Depth=1
	v_cmp_ne_u16_e32 vcc, 1, v15
	s_and_b64 s[24:25], vcc, exec
	s_andn2_saveexec_b64 s[26:27], s[26:27]
	s_cbranch_execz .LBB65_25
.LBB65_35:                              ;   in Loop: Header=BB65_4 Depth=1
	v_cmp_ne_u16_e32 vcc, -1, v15
	s_andn2_b64 s[24:25], s[24:25], exec
	s_and_b64 s[40:41], vcc, exec
	s_mov_b64 s[22:23], exec
	s_or_b64 s[24:25], s[24:25], s[40:41]
                                        ; implicit-def: $vgpr15
	s_or_b64 exec, exec, s[26:27]
	s_and_saveexec_b64 s[26:27], s[24:25]
	s_xor_b64 s[24:25], exec, s[26:27]
	s_cbranch_execz .LBB65_26
.LBB65_36:                              ;   in Loop: Header=BB65_4 Depth=1
	v_mov_b32_e32 v15, 0
	s_andn2_b64 s[22:23], s[22:23], exec
	s_or_b64 exec, exec, s[24:25]
	s_and_saveexec_b64 s[24:25], s[22:23]
	s_cbranch_execnz .LBB65_27
	s_branch .LBB65_28
.LBB65_37:                              ;   in Loop: Header=BB65_4 Depth=1
	s_waitcnt vmcnt(0)
	v_mov_b32_e32 v15, 1
.LBB65_38:                              ;   in Loop: Header=BB65_4 Depth=1
	s_cbranch_execnz .LBB65_30
.LBB65_39:                              ;   in Loop: Header=BB65_4 Depth=1
	s_waitcnt vmcnt(0)
	v_cmp_lt_i16_e32 vcc, 0, v16
	s_mov_b64 s[22:23], 0
	s_mov_b64 s[24:25], 0
	s_and_saveexec_b64 s[26:27], vcc
	s_xor_b64 s[26:27], exec, s[26:27]
	s_cbranch_execnz .LBB65_50
; %bb.40:                               ;   in Loop: Header=BB65_4 Depth=1
	s_andn2_saveexec_b64 s[26:27], s[26:27]
	s_cbranch_execnz .LBB65_51
.LBB65_41:                              ;   in Loop: Header=BB65_4 Depth=1
	s_or_b64 exec, exec, s[26:27]
	s_and_saveexec_b64 s[26:27], s[24:25]
	s_xor_b64 s[24:25], exec, s[26:27]
	s_cbranch_execnz .LBB65_52
.LBB65_42:                              ;   in Loop: Header=BB65_4 Depth=1
	s_or_b64 exec, exec, s[24:25]
	s_and_saveexec_b64 s[24:25], s[22:23]
.LBB65_43:                              ;   in Loop: Header=BB65_4 Depth=1
	v_mov_b32_e32 v16, s37
.LBB65_44:                              ;   in Loop: Header=BB65_4 Depth=1
	s_or_b64 exec, exec, s[24:25]
	v_mov_b32_e32 v15, v16
	s_and_b64 vcc, exec, s[2:3]
	s_cbranch_vccz .LBB65_31
.LBB65_45:                              ;   in Loop: Header=BB65_4 Depth=1
                                        ; implicit-def: $vgpr16
	s_branch .LBB65_55
.LBB65_46:                              ;   in Loop: Header=BB65_4 Depth=1
	s_and_b64 vcc, exec, s[2:3]
	s_cbranch_vccnz .LBB65_61
.LBB65_47:                              ;   in Loop: Header=BB65_4 Depth=1
	s_and_b64 vcc, exec, s[0:1]
	s_cbranch_vccnz .LBB65_65
; %bb.48:                               ;   in Loop: Header=BB65_4 Depth=1
	v_mov_b32_e32 v18, s28
	s_waitcnt vmcnt(0)
	v_mov_b32_e32 v14, 1
	v_mov_b32_e32 v17, v12
.LBB65_49:                              ;   Parent Loop BB65_4 Depth=1
                                        ; =>  This Inner Loop Header: Depth=2
	v_and_b32_e32 v19, 1, v18
	v_cmp_eq_u32_e32 vcc, 1, v19
	v_cndmask_b32_e32 v19, 1, v17, vcc
	v_mul_lo_u16_e32 v14, v19, v14
	v_lshrrev_b16_e32 v19, 15, v18
	v_add_u16_e32 v19, v18, v19
	v_add_u16_e32 v18, 1, v18
	v_ashrrev_i16_e32 v19, 1, v19
	v_cmp_gt_u16_e32 vcc, 3, v18
	v_mul_lo_u16_e32 v17, v17, v17
	v_mov_b32_e32 v18, v19
	s_cbranch_vccz .LBB65_49
	s_branch .LBB65_66
.LBB65_50:                              ;   in Loop: Header=BB65_4 Depth=1
	v_cmp_ne_u16_e32 vcc, 1, v16
	s_and_b64 s[24:25], vcc, exec
	s_andn2_saveexec_b64 s[26:27], s[26:27]
	s_cbranch_execz .LBB65_41
.LBB65_51:                              ;   in Loop: Header=BB65_4 Depth=1
	v_cmp_ne_u16_e32 vcc, -1, v16
	s_andn2_b64 s[24:25], s[24:25], exec
	s_and_b64 s[40:41], vcc, exec
	s_mov_b64 s[22:23], exec
	s_or_b64 s[24:25], s[24:25], s[40:41]
                                        ; implicit-def: $vgpr16
	s_or_b64 exec, exec, s[26:27]
	s_and_saveexec_b64 s[26:27], s[24:25]
	s_xor_b64 s[24:25], exec, s[26:27]
	s_cbranch_execz .LBB65_42
.LBB65_52:                              ;   in Loop: Header=BB65_4 Depth=1
	v_mov_b32_e32 v16, 0
	s_andn2_b64 s[22:23], s[22:23], exec
	s_or_b64 exec, exec, s[24:25]
	s_and_saveexec_b64 s[24:25], s[22:23]
	s_cbranch_execnz .LBB65_43
	s_branch .LBB65_44
.LBB65_53:                              ;   in Loop: Header=BB65_4 Depth=1
	s_waitcnt vmcnt(0)
	v_mov_b32_e32 v16, 1
.LBB65_54:                              ;   in Loop: Header=BB65_4 Depth=1
	s_cbranch_execnz .LBB65_46
.LBB65_55:                              ;   in Loop: Header=BB65_4 Depth=1
	s_waitcnt vmcnt(0)
	v_cmp_lt_i16_e32 vcc, 0, v14
	s_mov_b64 s[22:23], 0
	s_mov_b64 s[24:25], 0
	s_and_saveexec_b64 s[26:27], vcc
	s_xor_b64 s[26:27], exec, s[26:27]
	s_cbranch_execnz .LBB65_62
; %bb.56:                               ;   in Loop: Header=BB65_4 Depth=1
	s_andn2_saveexec_b64 s[26:27], s[26:27]
	s_cbranch_execnz .LBB65_63
.LBB65_57:                              ;   in Loop: Header=BB65_4 Depth=1
	s_or_b64 exec, exec, s[26:27]
	s_and_saveexec_b64 s[26:27], s[24:25]
	s_xor_b64 s[24:25], exec, s[26:27]
	s_cbranch_execnz .LBB65_64
.LBB65_58:                              ;   in Loop: Header=BB65_4 Depth=1
	s_or_b64 exec, exec, s[24:25]
	s_and_saveexec_b64 s[24:25], s[22:23]
.LBB65_59:                              ;   in Loop: Header=BB65_4 Depth=1
	v_mov_b32_e32 v14, s37
.LBB65_60:                              ;   in Loop: Header=BB65_4 Depth=1
	s_or_b64 exec, exec, s[24:25]
	v_mov_b32_e32 v16, v14
	s_and_b64 vcc, exec, s[2:3]
	s_cbranch_vccz .LBB65_47
.LBB65_61:                              ;   in Loop: Header=BB65_4 Depth=1
                                        ; implicit-def: $vgpr14
	s_branch .LBB65_67
.LBB65_62:                              ;   in Loop: Header=BB65_4 Depth=1
	v_cmp_ne_u16_e32 vcc, 1, v14
	s_and_b64 s[24:25], vcc, exec
	s_andn2_saveexec_b64 s[26:27], s[26:27]
	s_cbranch_execz .LBB65_57
.LBB65_63:                              ;   in Loop: Header=BB65_4 Depth=1
	v_cmp_ne_u16_e32 vcc, -1, v14
	s_andn2_b64 s[24:25], s[24:25], exec
	s_and_b64 s[40:41], vcc, exec
	s_mov_b64 s[22:23], exec
	s_or_b64 s[24:25], s[24:25], s[40:41]
                                        ; implicit-def: $vgpr14
	s_or_b64 exec, exec, s[26:27]
	s_and_saveexec_b64 s[26:27], s[24:25]
	s_xor_b64 s[24:25], exec, s[26:27]
	s_cbranch_execz .LBB65_58
.LBB65_64:                              ;   in Loop: Header=BB65_4 Depth=1
	v_mov_b32_e32 v14, 0
	s_andn2_b64 s[22:23], s[22:23], exec
	s_or_b64 exec, exec, s[24:25]
	s_and_saveexec_b64 s[24:25], s[22:23]
	s_cbranch_execnz .LBB65_59
	s_branch .LBB65_60
.LBB65_65:                              ;   in Loop: Header=BB65_4 Depth=1
	s_waitcnt vmcnt(0)
	v_mov_b32_e32 v14, 1
.LBB65_66:                              ;   in Loop: Header=BB65_4 Depth=1
	s_cbranch_execnz .LBB65_73
.LBB65_67:                              ;   in Loop: Header=BB65_4 Depth=1
	s_waitcnt vmcnt(0)
	v_cmp_lt_i16_e32 vcc, 0, v12
	s_mov_b64 s[22:23], 0
	s_mov_b64 s[24:25], 0
	s_and_saveexec_b64 s[26:27], vcc
	s_xor_b64 s[26:27], exec, s[26:27]
	s_cbranch_execnz .LBB65_81
; %bb.68:                               ;   in Loop: Header=BB65_4 Depth=1
	s_andn2_saveexec_b64 s[26:27], s[26:27]
	s_cbranch_execnz .LBB65_82
.LBB65_69:                              ;   in Loop: Header=BB65_4 Depth=1
	s_or_b64 exec, exec, s[26:27]
	s_and_saveexec_b64 s[26:27], s[24:25]
	s_xor_b64 s[24:25], exec, s[26:27]
	s_cbranch_execnz .LBB65_83
.LBB65_70:                              ;   in Loop: Header=BB65_4 Depth=1
	s_or_b64 exec, exec, s[24:25]
	s_and_saveexec_b64 s[24:25], s[22:23]
.LBB65_71:                              ;   in Loop: Header=BB65_4 Depth=1
	v_mov_b32_e32 v12, s37
.LBB65_72:                              ;   in Loop: Header=BB65_4 Depth=1
	s_or_b64 exec, exec, s[24:25]
	v_mov_b32_e32 v14, v12
.LBB65_73:                              ;   in Loop: Header=BB65_4 Depth=1
	s_and_saveexec_b64 s[22:23], s[6:7]
	s_xor_b64 s[6:7], exec, s[22:23]
	s_cbranch_execnz .LBB65_77
; %bb.74:                               ;   in Loop: Header=BB65_4 Depth=1
	s_or_b64 exec, exec, s[6:7]
	s_and_saveexec_b64 s[6:7], s[8:9]
	s_cbranch_execnz .LBB65_78
.LBB65_75:                              ;   in Loop: Header=BB65_4 Depth=1
	s_or_b64 exec, exec, s[6:7]
	s_and_saveexec_b64 s[6:7], s[10:11]
	s_cbranch_execnz .LBB65_79
.LBB65_76:                              ;   in Loop: Header=BB65_4 Depth=1
	s_or_b64 exec, exec, s[6:7]
	s_and_saveexec_b64 s[6:7], s[12:13]
	s_cbranch_execz .LBB65_3
	s_branch .LBB65_80
.LBB65_77:                              ;   in Loop: Header=BB65_4 Depth=1
	s_waitcnt vmcnt(0)
	v_mov_b32_e32 v12, s31
	v_add_co_u32_e32 v2, vcc, s30, v2
	v_addc_co_u32_e32 v3, vcc, v12, v3, vcc
	global_store_short v[2:3], v13, off
	s_or_b64 exec, exec, s[6:7]
	s_and_saveexec_b64 s[6:7], s[8:9]
	s_cbranch_execz .LBB65_75
.LBB65_78:                              ;   in Loop: Header=BB65_4 Depth=1
	v_mov_b32_e32 v3, s31
	v_add_co_u32_e32 v2, vcc, s30, v4
	v_addc_co_u32_e32 v3, vcc, v3, v5, vcc
	s_waitcnt vmcnt(0)
	global_store_short v[2:3], v15, off
	s_or_b64 exec, exec, s[6:7]
	s_and_saveexec_b64 s[6:7], s[10:11]
	s_cbranch_execz .LBB65_76
.LBB65_79:                              ;   in Loop: Header=BB65_4 Depth=1
	v_mov_b32_e32 v3, s31
	v_add_co_u32_e32 v2, vcc, s30, v6
	v_addc_co_u32_e32 v3, vcc, v3, v7, vcc
	s_waitcnt vmcnt(0)
	global_store_short v[2:3], v16, off
	s_or_b64 exec, exec, s[6:7]
	s_and_saveexec_b64 s[6:7], s[12:13]
	s_cbranch_execz .LBB65_3
.LBB65_80:                              ;   in Loop: Header=BB65_4 Depth=1
	v_mov_b32_e32 v3, s31
	v_add_co_u32_e32 v2, vcc, s30, v8
	v_addc_co_u32_e32 v3, vcc, v3, v9, vcc
	s_waitcnt vmcnt(0)
	global_store_short v[2:3], v14, off
	s_branch .LBB65_3
.LBB65_81:                              ;   in Loop: Header=BB65_4 Depth=1
	v_cmp_ne_u16_e32 vcc, 1, v12
	s_and_b64 s[24:25], vcc, exec
	s_andn2_saveexec_b64 s[26:27], s[26:27]
	s_cbranch_execz .LBB65_69
.LBB65_82:                              ;   in Loop: Header=BB65_4 Depth=1
	v_cmp_ne_u16_e32 vcc, -1, v12
	s_andn2_b64 s[24:25], s[24:25], exec
	s_and_b64 s[40:41], vcc, exec
	s_mov_b64 s[22:23], exec
	s_or_b64 s[24:25], s[24:25], s[40:41]
                                        ; implicit-def: $vgpr12
	s_or_b64 exec, exec, s[26:27]
	s_and_saveexec_b64 s[26:27], s[24:25]
	s_xor_b64 s[24:25], exec, s[26:27]
	s_cbranch_execz .LBB65_70
.LBB65_83:                              ;   in Loop: Header=BB65_4 Depth=1
	v_mov_b32_e32 v12, 0
	s_andn2_b64 s[22:23], s[22:23], exec
	s_or_b64 exec, exec, s[24:25]
	s_and_saveexec_b64 s[24:25], s[22:23]
	s_cbranch_execnz .LBB65_71
	s_branch .LBB65_72
.LBB65_84:
	s_mov_b64 s[0:1], 0
.LBB65_85:
	s_andn2_b64 vcc, exec, s[0:1]
	s_cbranch_vccnz .LBB65_153
; %bb.86:
	v_mov_b32_e32 v3, 0
	v_lshlrev_b32_e32 v2, 2, v0
	s_mov_b32 s18, 0
	v_cmp_gt_i64_e32 vcc, s[14:15], v[2:3]
	s_and_saveexec_b64 s[0:1], vcc
	s_cbranch_execz .LBB65_153
; %bb.87:
	s_sext_i32_i16 s0, s28
	v_and_b32_e64 v2, s28, 1
	s_cmp_gt_i32 s0, -1
	s_load_dword s2, s[4:5], 0xc5c
	v_cmp_eq_u16_e32 vcc, 0, v2
	s_cselect_b64 s[6:7], -1, 0
	s_and_b64 s[0:1], vcc, exec
	v_cmp_ne_u16_e64 s[0:1], s28, 0
	v_cndmask_b32_e64 v2, 0, 1, s[0:1]
	v_cmp_ne_u32_e64 s[0:1], 1, v2
	v_cndmask_b32_e64 v2, 0, 1, s[6:7]
	v_mov_b32_e32 v1, v3
	s_cselect_b32 s19, 1, 0xffff
	s_waitcnt lgkmcnt(0)
	s_and_b32 s20, s2, 0xffff
	s_mov_b64 s[8:9], 0
	v_mov_b32_e32 v6, s33
	v_cmp_ne_u32_e64 s[2:3], 1, v2
	s_mov_b64 s[10:11], 0xffff
	s_branch .LBB65_90
.LBB65_88:                              ;   in Loop: Header=BB65_90 Depth=1
	s_or_b64 exec, exec, s[12:13]
	v_mov_b32_e32 v9, v5
.LBB65_89:                              ;   in Loop: Header=BB65_90 Depth=1
	v_mov_b32_e32 v5, s31
	v_add_co_u32_e32 v2, vcc, s30, v2
	v_addc_co_u32_e32 v3, vcc, v5, v3, vcc
	v_lshlrev_b32_e32 v4, 16, v4
	v_and_b32_e32 v7, 0xffff, v7
	v_or_b32_e32 v4, v4, v7
	v_mov_b32_e32 v7, s18
	v_add_co_u32_e32 v0, vcc, s20, v0
	v_lshlrev_b32_e32 v5, 16, v9
	v_addc_co_u32_e32 v1, vcc, v1, v7, vcc
	v_or_b32_sdwa v5, v5, v8 dst_sel:DWORD dst_unused:UNUSED_PAD src0_sel:DWORD src1_sel:WORD_0
	v_lshlrev_b64 v[8:9], 2, v[0:1]
	v_cmp_le_i64_e32 vcc, s[14:15], v[8:9]
	v_cmp_lt_u64_e64 s[4:5], s[10:11], v[8:9]
	s_or_b64 s[4:5], vcc, s[4:5]
	s_and_b64 s[4:5], exec, s[4:5]
	s_or_b64 s[8:9], s[4:5], s[8:9]
	global_store_dwordx2 v[2:3], v[4:5], off
	s_andn2_b64 exec, exec, s[8:9]
	s_cbranch_execz .LBB65_153
.LBB65_90:                              ; =>This Loop Header: Depth=1
                                        ;     Child Loop BB65_93 Depth 2
                                        ;     Child Loop BB65_98 Depth 2
	;; [unrolled: 1-line block ×4, first 2 shown]
	v_lshlrev_b64 v[2:3], 3, v[0:1]
	v_add_co_u32_e32 v4, vcc, s29, v2
	v_addc_co_u32_e32 v5, vcc, v6, v3, vcc
	global_load_dwordx2 v[4:5], v[4:5], off
	s_and_b64 vcc, exec, s[6:7]
	s_cbranch_vccz .LBB65_94
; %bb.91:                               ;   in Loop: Header=BB65_90 Depth=1
	s_and_b64 vcc, exec, s[0:1]
	s_cbranch_vccnz .LBB65_99
; %bb.92:                               ;   in Loop: Header=BB65_90 Depth=1
	v_mov_b32_e32 v9, s28
	v_mov_b32_e32 v7, 1
	s_waitcnt vmcnt(0)
	v_mov_b32_e32 v8, v4
.LBB65_93:                              ;   Parent Loop BB65_90 Depth=1
                                        ; =>  This Inner Loop Header: Depth=2
	v_and_b32_e32 v10, 1, v9
	v_cmp_eq_u32_e32 vcc, 1, v10
	v_cndmask_b32_e32 v10, 1, v8, vcc
	v_mul_lo_u16_e32 v7, v10, v7
	v_lshrrev_b16_e32 v10, 15, v9
	v_add_u16_e32 v10, v9, v10
	v_add_u16_e32 v9, 1, v9
	v_ashrrev_i16_e32 v10, 1, v10
	v_cmp_lt_u16_e32 vcc, 2, v9
	v_mul_lo_u16_e32 v8, v8, v8
	v_mov_b32_e32 v9, v10
	s_cbranch_vccnz .LBB65_93
	s_branch .LBB65_100
.LBB65_94:                              ;   in Loop: Header=BB65_90 Depth=1
                                        ; implicit-def: $vgpr7
	s_branch .LBB65_101
.LBB65_95:                              ;   in Loop: Header=BB65_90 Depth=1
	s_and_b64 vcc, exec, s[2:3]
	s_waitcnt vmcnt(0)
	v_lshrrev_b32_e32 v8, 16, v4
	s_cbranch_vccnz .LBB65_110
.LBB65_96:                              ;   in Loop: Header=BB65_90 Depth=1
	s_and_b64 vcc, exec, s[0:1]
	s_cbranch_vccnz .LBB65_115
; %bb.97:                               ;   in Loop: Header=BB65_90 Depth=1
	v_mov_b32_e32 v10, s28
	v_mov_b32_e32 v4, 1
	;; [unrolled: 1-line block ×3, first 2 shown]
.LBB65_98:                              ;   Parent Loop BB65_90 Depth=1
                                        ; =>  This Inner Loop Header: Depth=2
	v_and_b32_e32 v11, 1, v10
	v_cmp_eq_u32_e32 vcc, 1, v11
	v_cndmask_b32_e32 v11, 1, v9, vcc
	v_mul_lo_u16_e32 v4, v11, v4
	v_lshrrev_b16_e32 v11, 15, v10
	v_add_u16_e32 v11, v10, v11
	v_add_u16_e32 v10, 1, v10
	v_ashrrev_i16_e32 v11, 1, v11
	v_cmp_gt_u16_e32 vcc, 3, v10
	v_mul_lo_u16_e32 v9, v9, v9
	v_mov_b32_e32 v10, v11
	s_cbranch_vccz .LBB65_98
	s_branch .LBB65_116
.LBB65_99:                              ;   in Loop: Header=BB65_90 Depth=1
	v_mov_b32_e32 v7, 1
.LBB65_100:                             ;   in Loop: Header=BB65_90 Depth=1
	s_cbranch_execnz .LBB65_95
.LBB65_101:                             ;   in Loop: Header=BB65_90 Depth=1
	s_waitcnt vmcnt(0)
	v_cmp_lt_i16_e32 vcc, 0, v4
	s_mov_b64 s[4:5], 0
	s_mov_b64 s[12:13], 0
	s_and_saveexec_b64 s[16:17], vcc
	s_xor_b64 s[16:17], exec, s[16:17]
; %bb.102:                              ;   in Loop: Header=BB65_90 Depth=1
	v_cmp_ne_u16_e32 vcc, 1, v4
	s_and_b64 s[12:13], vcc, exec
; %bb.103:                              ;   in Loop: Header=BB65_90 Depth=1
	s_andn2_saveexec_b64 s[16:17], s[16:17]
; %bb.104:                              ;   in Loop: Header=BB65_90 Depth=1
	v_cmp_ne_u16_e32 vcc, -1, v4
	s_andn2_b64 s[12:13], s[12:13], exec
	s_and_b64 s[22:23], vcc, exec
	s_mov_b64 s[4:5], exec
	s_or_b64 s[12:13], s[12:13], s[22:23]
; %bb.105:                              ;   in Loop: Header=BB65_90 Depth=1
	s_or_b64 exec, exec, s[16:17]
	v_mov_b32_e32 v7, v4
	s_and_saveexec_b64 s[16:17], s[12:13]
	s_xor_b64 s[12:13], exec, s[16:17]
; %bb.106:                              ;   in Loop: Header=BB65_90 Depth=1
	v_mov_b32_e32 v7, 0
	s_andn2_b64 s[4:5], s[4:5], exec
; %bb.107:                              ;   in Loop: Header=BB65_90 Depth=1
	s_or_b64 exec, exec, s[12:13]
	s_and_saveexec_b64 s[12:13], s[4:5]
; %bb.108:                              ;   in Loop: Header=BB65_90 Depth=1
	v_mov_b32_e32 v7, s19
; %bb.109:                              ;   in Loop: Header=BB65_90 Depth=1
	s_or_b64 exec, exec, s[12:13]
	s_and_b64 vcc, exec, s[2:3]
	v_lshrrev_b32_e32 v8, 16, v4
	s_cbranch_vccz .LBB65_96
.LBB65_110:                             ;   in Loop: Header=BB65_90 Depth=1
                                        ; implicit-def: $vgpr4
	s_branch .LBB65_117
.LBB65_111:                             ;   in Loop: Header=BB65_90 Depth=1
	s_and_b64 vcc, exec, s[2:3]
	s_cbranch_vccnz .LBB65_123
.LBB65_112:                             ;   in Loop: Header=BB65_90 Depth=1
	s_and_b64 vcc, exec, s[0:1]
	s_cbranch_vccnz .LBB65_131
; %bb.113:                              ;   in Loop: Header=BB65_90 Depth=1
	v_mov_b32_e32 v10, s28
	v_mov_b32_e32 v8, 1
	;; [unrolled: 1-line block ×3, first 2 shown]
.LBB65_114:                             ;   Parent Loop BB65_90 Depth=1
                                        ; =>  This Inner Loop Header: Depth=2
	v_and_b32_e32 v11, 1, v10
	v_cmp_eq_u32_e32 vcc, 1, v11
	v_cndmask_b32_e32 v11, 1, v9, vcc
	v_mul_lo_u16_e32 v8, v11, v8
	v_lshrrev_b16_e32 v11, 15, v10
	v_add_u16_e32 v11, v10, v11
	v_add_u16_e32 v10, 1, v10
	v_ashrrev_i16_e32 v11, 1, v11
	v_cmp_gt_u16_e32 vcc, 3, v10
	v_mul_lo_u16_e32 v9, v9, v9
	v_mov_b32_e32 v10, v11
	s_cbranch_vccz .LBB65_114
	s_branch .LBB65_132
.LBB65_115:                             ;   in Loop: Header=BB65_90 Depth=1
	v_mov_b32_e32 v4, 1
.LBB65_116:                             ;   in Loop: Header=BB65_90 Depth=1
	s_cbranch_execnz .LBB65_111
.LBB65_117:                             ;   in Loop: Header=BB65_90 Depth=1
	v_cmp_lt_i16_e32 vcc, 0, v8
	s_mov_b64 s[4:5], 0
	s_mov_b64 s[12:13], 0
	s_and_saveexec_b64 s[16:17], vcc
	s_xor_b64 s[16:17], exec, s[16:17]
	s_cbranch_execnz .LBB65_128
; %bb.118:                              ;   in Loop: Header=BB65_90 Depth=1
	s_andn2_saveexec_b64 s[16:17], s[16:17]
	s_cbranch_execnz .LBB65_129
.LBB65_119:                             ;   in Loop: Header=BB65_90 Depth=1
	s_or_b64 exec, exec, s[16:17]
	s_and_saveexec_b64 s[16:17], s[12:13]
	s_xor_b64 s[12:13], exec, s[16:17]
	s_cbranch_execnz .LBB65_130
.LBB65_120:                             ;   in Loop: Header=BB65_90 Depth=1
	s_or_b64 exec, exec, s[12:13]
	s_and_saveexec_b64 s[12:13], s[4:5]
.LBB65_121:                             ;   in Loop: Header=BB65_90 Depth=1
	v_mov_b32_e32 v8, s19
.LBB65_122:                             ;   in Loop: Header=BB65_90 Depth=1
	s_or_b64 exec, exec, s[12:13]
	v_mov_b32_e32 v4, v8
	s_and_b64 vcc, exec, s[2:3]
	s_cbranch_vccz .LBB65_112
.LBB65_123:                             ;   in Loop: Header=BB65_90 Depth=1
                                        ; implicit-def: $vgpr8
	s_branch .LBB65_133
.LBB65_124:                             ;   in Loop: Header=BB65_90 Depth=1
	s_and_b64 vcc, exec, s[2:3]
	v_lshrrev_b32_e32 v5, 16, v5
	s_cbranch_vccnz .LBB65_142
.LBB65_125:                             ;   in Loop: Header=BB65_90 Depth=1
	s_and_b64 vcc, exec, s[0:1]
	s_cbranch_vccnz .LBB65_143
; %bb.126:                              ;   in Loop: Header=BB65_90 Depth=1
	v_mov_b32_e32 v11, s28
	v_mov_b32_e32 v9, 1
	v_mov_b32_e32 v10, v5
.LBB65_127:                             ;   Parent Loop BB65_90 Depth=1
                                        ; =>  This Inner Loop Header: Depth=2
	v_and_b32_e32 v12, 1, v11
	v_cmp_eq_u32_e32 vcc, 1, v12
	v_cndmask_b32_e32 v12, 1, v10, vcc
	v_mul_lo_u16_e32 v9, v12, v9
	v_lshrrev_b16_e32 v12, 15, v11
	v_add_u16_e32 v12, v11, v12
	v_add_u16_e32 v11, 1, v11
	v_ashrrev_i16_e32 v12, 1, v12
	v_cmp_gt_u16_e32 vcc, 3, v11
	v_mul_lo_u16_e32 v10, v10, v10
	v_mov_b32_e32 v11, v12
	s_cbranch_vccz .LBB65_127
	s_branch .LBB65_144
.LBB65_128:                             ;   in Loop: Header=BB65_90 Depth=1
	v_cmp_ne_u16_e32 vcc, 1, v8
	s_and_b64 s[12:13], vcc, exec
	s_andn2_saveexec_b64 s[16:17], s[16:17]
	s_cbranch_execz .LBB65_119
.LBB65_129:                             ;   in Loop: Header=BB65_90 Depth=1
	v_cmp_ne_u16_e32 vcc, -1, v8
	s_andn2_b64 s[12:13], s[12:13], exec
	s_and_b64 s[22:23], vcc, exec
	s_mov_b64 s[4:5], exec
	s_or_b64 s[12:13], s[12:13], s[22:23]
                                        ; implicit-def: $vgpr8
	s_or_b64 exec, exec, s[16:17]
	s_and_saveexec_b64 s[16:17], s[12:13]
	s_xor_b64 s[12:13], exec, s[16:17]
	s_cbranch_execz .LBB65_120
.LBB65_130:                             ;   in Loop: Header=BB65_90 Depth=1
	v_mov_b32_e32 v8, 0
	s_andn2_b64 s[4:5], s[4:5], exec
	s_or_b64 exec, exec, s[12:13]
	s_and_saveexec_b64 s[12:13], s[4:5]
	s_cbranch_execnz .LBB65_121
	s_branch .LBB65_122
.LBB65_131:                             ;   in Loop: Header=BB65_90 Depth=1
	v_mov_b32_e32 v8, 1
.LBB65_132:                             ;   in Loop: Header=BB65_90 Depth=1
	s_cbranch_execnz .LBB65_124
.LBB65_133:                             ;   in Loop: Header=BB65_90 Depth=1
	v_cmp_lt_i16_e32 vcc, 0, v5
	s_mov_b64 s[4:5], 0
	s_mov_b64 s[12:13], 0
	s_and_saveexec_b64 s[16:17], vcc
	s_xor_b64 s[16:17], exec, s[16:17]
; %bb.134:                              ;   in Loop: Header=BB65_90 Depth=1
	v_cmp_ne_u16_e32 vcc, 1, v5
	s_and_b64 s[12:13], vcc, exec
; %bb.135:                              ;   in Loop: Header=BB65_90 Depth=1
	s_andn2_saveexec_b64 s[16:17], s[16:17]
; %bb.136:                              ;   in Loop: Header=BB65_90 Depth=1
	v_cmp_ne_u16_e32 vcc, -1, v5
	s_andn2_b64 s[12:13], s[12:13], exec
	s_and_b64 s[22:23], vcc, exec
	s_mov_b64 s[4:5], exec
	s_or_b64 s[12:13], s[12:13], s[22:23]
; %bb.137:                              ;   in Loop: Header=BB65_90 Depth=1
	s_or_b64 exec, exec, s[16:17]
	v_mov_b32_e32 v8, v5
	s_and_saveexec_b64 s[16:17], s[12:13]
	s_xor_b64 s[12:13], exec, s[16:17]
; %bb.138:                              ;   in Loop: Header=BB65_90 Depth=1
	v_mov_b32_e32 v8, 0
	s_andn2_b64 s[4:5], s[4:5], exec
; %bb.139:                              ;   in Loop: Header=BB65_90 Depth=1
	s_or_b64 exec, exec, s[12:13]
	s_and_saveexec_b64 s[12:13], s[4:5]
; %bb.140:                              ;   in Loop: Header=BB65_90 Depth=1
	v_mov_b32_e32 v8, s19
; %bb.141:                              ;   in Loop: Header=BB65_90 Depth=1
	s_or_b64 exec, exec, s[12:13]
	s_and_b64 vcc, exec, s[2:3]
	v_lshrrev_b32_e32 v5, 16, v5
	s_cbranch_vccz .LBB65_125
.LBB65_142:                             ;   in Loop: Header=BB65_90 Depth=1
                                        ; implicit-def: $vgpr9
	s_branch .LBB65_145
.LBB65_143:                             ;   in Loop: Header=BB65_90 Depth=1
	v_mov_b32_e32 v9, 1
.LBB65_144:                             ;   in Loop: Header=BB65_90 Depth=1
	s_cbranch_execnz .LBB65_89
.LBB65_145:                             ;   in Loop: Header=BB65_90 Depth=1
	v_cmp_lt_i16_e32 vcc, 0, v5
	s_mov_b64 s[4:5], 0
	s_mov_b64 s[12:13], 0
	s_and_saveexec_b64 s[16:17], vcc
	s_xor_b64 s[16:17], exec, s[16:17]
	s_cbranch_execnz .LBB65_149
; %bb.146:                              ;   in Loop: Header=BB65_90 Depth=1
	s_andn2_saveexec_b64 s[16:17], s[16:17]
	s_cbranch_execnz .LBB65_150
.LBB65_147:                             ;   in Loop: Header=BB65_90 Depth=1
	s_or_b64 exec, exec, s[16:17]
	s_and_saveexec_b64 s[16:17], s[12:13]
	s_xor_b64 s[12:13], exec, s[16:17]
	s_cbranch_execnz .LBB65_151
.LBB65_148:                             ;   in Loop: Header=BB65_90 Depth=1
	s_or_b64 exec, exec, s[12:13]
	s_and_saveexec_b64 s[12:13], s[4:5]
	s_cbranch_execz .LBB65_88
	s_branch .LBB65_152
.LBB65_149:                             ;   in Loop: Header=BB65_90 Depth=1
	v_cmp_ne_u16_e32 vcc, 1, v5
	s_and_b64 s[12:13], vcc, exec
	s_andn2_saveexec_b64 s[16:17], s[16:17]
	s_cbranch_execz .LBB65_147
.LBB65_150:                             ;   in Loop: Header=BB65_90 Depth=1
	v_cmp_ne_u16_e32 vcc, -1, v5
	s_andn2_b64 s[12:13], s[12:13], exec
	s_and_b64 s[22:23], vcc, exec
	s_mov_b64 s[4:5], exec
	s_or_b64 s[12:13], s[12:13], s[22:23]
                                        ; implicit-def: $vgpr5
	s_or_b64 exec, exec, s[16:17]
	s_and_saveexec_b64 s[16:17], s[12:13]
	s_xor_b64 s[12:13], exec, s[16:17]
	s_cbranch_execz .LBB65_148
.LBB65_151:                             ;   in Loop: Header=BB65_90 Depth=1
	v_mov_b32_e32 v5, 0
	s_andn2_b64 s[4:5], s[4:5], exec
	s_or_b64 exec, exec, s[12:13]
	s_and_saveexec_b64 s[12:13], s[4:5]
	s_cbranch_execz .LBB65_88
.LBB65_152:                             ;   in Loop: Header=BB65_90 Depth=1
	v_mov_b32_e32 v5, s19
	s_branch .LBB65_88
.LBB65_153:
	s_endpgm
	.section	.rodata,"a",@progbits
	.p2align	6, 0x0
	.amdhsa_kernel _ZN2at6native12_GLOBAL__N_125multi_tensor_apply_kernelINS1_18TensorListMetadataILi2EEENS1_21BinaryOpScalarFunctorIsLi2ELi1ELi1EEEJNS1_13power_functorIsEEsEEEvT_T0_DpT1_
		.amdhsa_group_segment_fixed_size 0
		.amdhsa_private_segment_fixed_size 0
		.amdhsa_kernarg_size 3408
		.amdhsa_user_sgpr_count 6
		.amdhsa_user_sgpr_private_segment_buffer 1
		.amdhsa_user_sgpr_dispatch_ptr 0
		.amdhsa_user_sgpr_queue_ptr 0
		.amdhsa_user_sgpr_kernarg_segment_ptr 1
		.amdhsa_user_sgpr_dispatch_id 0
		.amdhsa_user_sgpr_flat_scratch_init 0
		.amdhsa_user_sgpr_kernarg_preload_length 0
		.amdhsa_user_sgpr_kernarg_preload_offset 0
		.amdhsa_user_sgpr_private_segment_size 0
		.amdhsa_uses_dynamic_stack 0
		.amdhsa_system_sgpr_private_segment_wavefront_offset 0
		.amdhsa_system_sgpr_workgroup_id_x 1
		.amdhsa_system_sgpr_workgroup_id_y 0
		.amdhsa_system_sgpr_workgroup_id_z 0
		.amdhsa_system_sgpr_workgroup_info 0
		.amdhsa_system_vgpr_workitem_id 0
		.amdhsa_next_free_vgpr 20
		.amdhsa_next_free_sgpr 42
		.amdhsa_accum_offset 20
		.amdhsa_reserve_vcc 1
		.amdhsa_reserve_flat_scratch 0
		.amdhsa_float_round_mode_32 0
		.amdhsa_float_round_mode_16_64 0
		.amdhsa_float_denorm_mode_32 3
		.amdhsa_float_denorm_mode_16_64 3
		.amdhsa_dx10_clamp 1
		.amdhsa_ieee_mode 1
		.amdhsa_fp16_overflow 0
		.amdhsa_tg_split 0
		.amdhsa_exception_fp_ieee_invalid_op 0
		.amdhsa_exception_fp_denorm_src 0
		.amdhsa_exception_fp_ieee_div_zero 0
		.amdhsa_exception_fp_ieee_overflow 0
		.amdhsa_exception_fp_ieee_underflow 0
		.amdhsa_exception_fp_ieee_inexact 0
		.amdhsa_exception_int_div_zero 0
	.end_amdhsa_kernel
	.section	.text._ZN2at6native12_GLOBAL__N_125multi_tensor_apply_kernelINS1_18TensorListMetadataILi2EEENS1_21BinaryOpScalarFunctorIsLi2ELi1ELi1EEEJNS1_13power_functorIsEEsEEEvT_T0_DpT1_,"axG",@progbits,_ZN2at6native12_GLOBAL__N_125multi_tensor_apply_kernelINS1_18TensorListMetadataILi2EEENS1_21BinaryOpScalarFunctorIsLi2ELi1ELi1EEEJNS1_13power_functorIsEEsEEEvT_T0_DpT1_,comdat
.Lfunc_end65:
	.size	_ZN2at6native12_GLOBAL__N_125multi_tensor_apply_kernelINS1_18TensorListMetadataILi2EEENS1_21BinaryOpScalarFunctorIsLi2ELi1ELi1EEEJNS1_13power_functorIsEEsEEEvT_T0_DpT1_, .Lfunc_end65-_ZN2at6native12_GLOBAL__N_125multi_tensor_apply_kernelINS1_18TensorListMetadataILi2EEENS1_21BinaryOpScalarFunctorIsLi2ELi1ELi1EEEJNS1_13power_functorIsEEsEEEvT_T0_DpT1_
                                        ; -- End function
	.section	.AMDGPU.csdata,"",@progbits
; Kernel info:
; codeLenInByte = 3052
; NumSgprs: 46
; NumVgprs: 20
; NumAgprs: 0
; TotalNumVgprs: 20
; ScratchSize: 0
; MemoryBound: 0
; FloatMode: 240
; IeeeMode: 1
; LDSByteSize: 0 bytes/workgroup (compile time only)
; SGPRBlocks: 5
; VGPRBlocks: 2
; NumSGPRsForWavesPerEU: 46
; NumVGPRsForWavesPerEU: 20
; AccumOffset: 20
; Occupancy: 8
; WaveLimiterHint : 0
; COMPUTE_PGM_RSRC2:SCRATCH_EN: 0
; COMPUTE_PGM_RSRC2:USER_SGPR: 6
; COMPUTE_PGM_RSRC2:TRAP_HANDLER: 0
; COMPUTE_PGM_RSRC2:TGID_X_EN: 1
; COMPUTE_PGM_RSRC2:TGID_Y_EN: 0
; COMPUTE_PGM_RSRC2:TGID_Z_EN: 0
; COMPUTE_PGM_RSRC2:TIDIG_COMP_CNT: 0
; COMPUTE_PGM_RSRC3_GFX90A:ACCUM_OFFSET: 4
; COMPUTE_PGM_RSRC3_GFX90A:TG_SPLIT: 0
	.section	.text._ZN2at6native12_GLOBAL__N_125multi_tensor_apply_kernelINS1_18TensorListMetadataILi2EEENS1_21BinaryOpScalarFunctorIdLi2ELi1ELi1EEEJNS1_13power_functorIdEEdEEEvT_T0_DpT1_,"axG",@progbits,_ZN2at6native12_GLOBAL__N_125multi_tensor_apply_kernelINS1_18TensorListMetadataILi2EEENS1_21BinaryOpScalarFunctorIdLi2ELi1ELi1EEEJNS1_13power_functorIdEEdEEEvT_T0_DpT1_,comdat
	.globl	_ZN2at6native12_GLOBAL__N_125multi_tensor_apply_kernelINS1_18TensorListMetadataILi2EEENS1_21BinaryOpScalarFunctorIdLi2ELi1ELi1EEEJNS1_13power_functorIdEEdEEEvT_T0_DpT1_ ; -- Begin function _ZN2at6native12_GLOBAL__N_125multi_tensor_apply_kernelINS1_18TensorListMetadataILi2EEENS1_21BinaryOpScalarFunctorIdLi2ELi1ELi1EEEJNS1_13power_functorIdEEdEEEvT_T0_DpT1_
	.p2align	8
	.type	_ZN2at6native12_GLOBAL__N_125multi_tensor_apply_kernelINS1_18TensorListMetadataILi2EEENS1_21BinaryOpScalarFunctorIdLi2ELi1ELi1EEEJNS1_13power_functorIdEEdEEEvT_T0_DpT1_,@function
_ZN2at6native12_GLOBAL__N_125multi_tensor_apply_kernelINS1_18TensorListMetadataILi2EEENS1_21BinaryOpScalarFunctorIdLi2ELi1ELi1EEEJNS1_13power_functorIdEEdEEEvT_T0_DpT1_: ; @_ZN2at6native12_GLOBAL__N_125multi_tensor_apply_kernelINS1_18TensorListMetadataILi2EEENS1_21BinaryOpScalarFunctorIdLi2ELi1ELi1EEEJNS1_13power_functorIdEEdEEEvT_T0_DpT1_
; %bb.0:
	v_mov_b32_e32 v1, s6
	global_load_ubyte v1, v1, s[4:5] offset:1536
	s_add_u32 s0, s4, s6
	s_mul_hi_u32 s1, s6, 3
	s_mul_i32 s6, s6, 3
	s_addc_u32 s2, s5, 0
	s_add_u32 s0, s0, s6
	s_addc_u32 s1, s2, s1
	s_load_dword s6, s[0:1], 0x740
	s_mov_b32 s9, 0
	s_mov_b32 s13, s9
	;; [unrolled: 1-line block ×3, first 2 shown]
	s_waitcnt lgkmcnt(0)
	s_ashr_i32 s7, s6, 31
	s_lshl_b64 s[24:25], s[6:7], 19
	s_waitcnt vmcnt(0)
	v_readfirstlane_b32 s0, v1
	s_lshl_b32 s8, s0, 3
	s_load_dwordx2 s[2:3], s[4:5], s8 offset:0x0
	s_load_dwordx2 s[20:21], s[4:5], 0xc50
	s_load_dwordx2 s[14:15], s[4:5], s8 offset:0x400
	s_load_dwordx2 s[0:1], s[4:5], s8 offset:0x200
	s_waitcnt lgkmcnt(0)
	s_add_u32 s33, s2, s24
	s_addc_u32 s86, s3, s25
	s_and_b32 s8, s33, 31
	s_add_u32 s87, s0, s24
	s_addc_u32 s88, s1, s25
	s_and_b32 s12, s14, 3
	s_and_b32 s10, s87, 31
	s_or_b64 s[8:9], s[8:9], s[12:13]
	s_or_b64 s[8:9], s[10:11], s[8:9]
	s_lshl_b64 s[6:7], s[6:7], 16
	s_sub_u32 s22, s14, s6
	s_subb_u32 s23, s15, s7
	s_cmp_eq_u64 s[8:9], 0
	s_mov_b64 s[6:7], -1
	s_cbranch_scc1 .LBB66_21
; %bb.1:
	v_cmp_lt_i64_e64 s[6:7], s[22:23], 1
	s_and_b64 vcc, exec, s[6:7]
	s_cbranch_vccnz .LBB66_20
; %bb.2:
	s_load_dword s6, s[4:5], 0xc64
	v_mov_b32_e32 v2, 0
	v_mov_b32_e32 v4, 0x10000
	;; [unrolled: 1-line block ×3, first 2 shown]
	v_lshlrev_b32_e32 v50, 3, v0
	s_waitcnt lgkmcnt(0)
	s_and_b32 s8, s6, 0xffff
	v_mov_b32_e32 v51, v2
	v_cmp_lt_u64_e32 vcc, s[22:23], v[4:5]
	v_mad_u64_u32 v[6:7], s[6:7], s8, 24, v[50:51]
	s_and_b64 s[6:7], vcc, exec
	v_mov_b32_e32 v3, s3
	v_add_co_u32_e32 v4, vcc, s2, v6
	v_addc_co_u32_e32 v1, vcc, v3, v7, vcc
	v_mov_b32_e32 v54, s1
	v_add_co_u32_e32 v6, vcc, s0, v6
	s_mul_i32 s10, s8, 3
	v_addc_co_u32_e32 v5, vcc, v54, v7, vcc
	s_cselect_b32 s27, s23, 0
	s_cselect_b32 s26, s22, 0x10000
	v_add_co_u32_e32 v53, vcc, s10, v0
	s_lshl_b32 s1, s8, 4
	v_addc_co_u32_e64 v66, s[6:7], 0, 0, vcc
	v_add_co_u32_e32 v9, vcc, s1, v50
	v_addc_co_u32_e64 v45, s[6:7], 0, 0, vcc
	v_add_co_u32_e32 v8, vcc, s2, v9
	v_addc_co_u32_e32 v7, vcc, v3, v45, vcc
	v_add_co_u32_e32 v44, vcc, s0, v9
	s_lshl_b32 s9, s8, 1
	v_addc_co_u32_e32 v9, vcc, v54, v45, vcc
	v_add_co_u32_e32 v67, vcc, s9, v0
	v_addc_co_u32_e64 v68, s[6:7], 0, 0, vcc
	v_add_co_u32_e32 v69, vcc, s8, v0
	v_addc_co_u32_e64 v70, s[6:7], 0, 0, vcc
	v_add_co_u32_e32 v46, vcc, s2, v50
	v_lshlrev_b32_e32 v51, 3, v69
	v_addc_co_u32_e32 v45, vcc, 0, v3, vcc
	v_add_co_u32_e32 v48, vcc, s2, v51
	v_addc_co_u32_e32 v47, vcc, 0, v3, vcc
	v_add_co_u32_e32 v50, vcc, s0, v50
	v_addc_co_u32_e32 v49, vcc, 0, v54, vcc
	s_mov_b32 s30, 0
	s_mov_b32 s34, 0x55555555
	;; [unrolled: 1-line block ×10, first 2 shown]
	v_add_co_u32_e32 v52, vcc, s0, v51
	s_mov_b32 s60, 0
	s_lshl_b32 s61, s8, 2
	s_lshl_b32 s62, s8, 5
	s_mov_b64 s[28:29], 0
	s_brev_b32 s63, -2
	s_mov_b32 s31, 0x7ff00000
	s_mov_b32 s35, 0x3fe55555
	;; [unrolled: 1-line block ×7, first 2 shown]
	s_movk_i32 s64, 0x204
	s_mov_b32 s47, 0xc090cc00
	s_mov_b32 s49, 0x40900000
	;; [unrolled: 1-line block ×6, first 2 shown]
	v_mov_b32_e32 v10, 0x968915a9
	v_mov_b32_e32 v11, 0x3fba6564
	;; [unrolled: 1-line block ×34, first 2 shown]
	v_addc_co_u32_e32 v51, vcc, 0, v54, vcc
	v_mov_b32_e32 v71, 0x3ff00000
	v_mov_b32_e32 v72, 0x7ff00000
	;; [unrolled: 1-line block ×3, first 2 shown]
	s_branch .LBB66_4
.LBB66_3:                               ;   in Loop: Header=BB66_4 Depth=1
	s_or_b64 exec, exec, s[8:9]
	s_add_u32 s28, s28, s61
	s_addc_u32 s29, s29, 0
	s_waitcnt vmcnt(0)
	v_pk_mov_b32 v[54:55], s[22:23], s[22:23] op_sel:[0,1]
	v_cmp_lt_i64_e32 vcc, s[28:29], v[54:55]
	v_mov_b32_e32 v54, 0x10000
	v_mov_b32_e32 v55, 0
	v_cmp_lt_u64_e64 s[0:1], s[28:29], v[54:55]
	s_and_b64 s[0:1], vcc, s[0:1]
	v_mov_b32_e32 v3, s60
	v_add_co_u32_e32 v46, vcc, s62, v46
	v_addc_co_u32_e32 v45, vcc, v45, v3, vcc
	v_add_co_u32_e32 v50, vcc, s62, v50
	v_addc_co_u32_e32 v49, vcc, v49, v3, vcc
	;; [unrolled: 2-line block ×8, first 2 shown]
	s_and_b64 vcc, exec, s[0:1]
	s_cbranch_vccz .LBB66_20
.LBB66_4:                               ; =>This Inner Loop Header: Depth=1
	v_mov_b32_e32 v3, s29
	v_add_co_u32_e32 v54, vcc, s28, v0
	v_addc_co_u32_e32 v55, vcc, 0, v3, vcc
	v_pk_mov_b32 v[58:59], 0, 0
	v_cmp_gt_u64_e64 s[6:7], s[26:27], v[54:55]
	v_pk_mov_b32 v[64:65], v[58:59], v[58:59] op_sel:[0,1]
	s_and_saveexec_b64 s[0:1], s[6:7]
	s_cbranch_execz .LBB66_6
; %bb.5:                                ;   in Loop: Header=BB66_4 Depth=1
	v_mov_b32_e32 v3, s25
	v_add_co_u32_e32 v54, vcc, s24, v46
	v_addc_co_u32_e32 v55, vcc, v45, v3, vcc
	global_load_dwordx2 v[64:65], v[54:55], off
.LBB66_6:                               ;   in Loop: Header=BB66_4 Depth=1
	s_or_b64 exec, exec, s[0:1]
	v_mov_b32_e32 v3, s29
	v_add_co_u32_e32 v54, vcc, s28, v69
	v_addc_co_u32_e32 v55, vcc, v70, v3, vcc
	v_cmp_gt_u64_e64 s[2:3], s[26:27], v[54:55]
	s_and_saveexec_b64 s[0:1], s[2:3]
	s_cbranch_execz .LBB66_8
; %bb.7:                                ;   in Loop: Header=BB66_4 Depth=1
	v_mov_b32_e32 v3, s25
	v_add_co_u32_e32 v54, vcc, s24, v48
	v_addc_co_u32_e32 v55, vcc, v47, v3, vcc
	global_load_dwordx2 v[58:59], v[54:55], off
.LBB66_8:                               ;   in Loop: Header=BB66_4 Depth=1
	s_or_b64 exec, exec, s[0:1]
	v_mov_b32_e32 v3, s29
	v_add_co_u32_e32 v54, vcc, s28, v67
	v_addc_co_u32_e32 v55, vcc, v68, v3, vcc
	v_cmp_gt_u64_e64 s[0:1], s[26:27], v[54:55]
	v_pk_mov_b32 v[54:55], 0, 0
	v_pk_mov_b32 v[56:57], v[54:55], v[54:55] op_sel:[0,1]
	s_and_saveexec_b64 s[8:9], s[0:1]
	s_cbranch_execz .LBB66_10
; %bb.9:                                ;   in Loop: Header=BB66_4 Depth=1
	v_mov_b32_e32 v3, s25
	v_add_co_u32_e32 v56, vcc, s24, v8
	v_addc_co_u32_e32 v57, vcc, v7, v3, vcc
	global_load_dwordx2 v[56:57], v[56:57], off
.LBB66_10:                              ;   in Loop: Header=BB66_4 Depth=1
	s_or_b64 exec, exec, s[8:9]
	v_mov_b32_e32 v3, s29
	v_add_co_u32_e32 v60, vcc, s28, v53
	v_addc_co_u32_e32 v61, vcc, v66, v3, vcc
	v_cmp_gt_u64_e32 vcc, s[26:27], v[60:61]
	s_and_saveexec_b64 s[10:11], vcc
	s_cbranch_execnz .LBB66_15
; %bb.11:                               ;   in Loop: Header=BB66_4 Depth=1
	s_or_b64 exec, exec, s[10:11]
	s_and_saveexec_b64 s[58:59], s[6:7]
	s_cbranch_execnz .LBB66_16
.LBB66_12:                              ;   in Loop: Header=BB66_4 Depth=1
	s_or_b64 exec, exec, s[58:59]
	s_and_saveexec_b64 s[12:13], s[2:3]
	s_cbranch_execnz .LBB66_17
.LBB66_13:                              ;   in Loop: Header=BB66_4 Depth=1
	s_or_b64 exec, exec, s[12:13]
	s_and_saveexec_b64 s[10:11], s[0:1]
	s_cbranch_execnz .LBB66_18
.LBB66_14:                              ;   in Loop: Header=BB66_4 Depth=1
	s_or_b64 exec, exec, s[10:11]
	s_and_saveexec_b64 s[8:9], vcc
	s_cbranch_execz .LBB66_3
	s_branch .LBB66_19
.LBB66_15:                              ;   in Loop: Header=BB66_4 Depth=1
	v_mov_b32_e32 v3, s25
	v_add_co_u32_e64 v54, s[8:9], s24, v4
	v_addc_co_u32_e64 v55, s[8:9], v1, v3, s[8:9]
	global_load_dwordx2 v[54:55], v[54:55], off
	s_or_b64 exec, exec, s[10:11]
	s_and_saveexec_b64 s[58:59], s[6:7]
	s_cbranch_execz .LBB66_12
.LBB66_16:                              ;   in Loop: Header=BB66_4 Depth=1
	v_mov_b32_e32 v3, s21
	s_waitcnt vmcnt(0)
	v_cmp_eq_f64_e64 s[6:7], 1.0, v[64:65]
	v_cndmask_b32_e64 v61, v3, v71, s[6:7]
	v_mov_b32_e32 v3, s20
	v_cndmask_b32_e64 v60, v3, 0, s[6:7]
	v_cmp_eq_f64_e64 s[8:9], 0, v[60:61]
	v_and_b32_e32 v3, 0x7fffffff, v65
	v_mul_f64 v[74:75], v[60:61], 0.5
	v_cndmask_b32_e64 v63, v65, v71, s[8:9]
	v_cndmask_b32_e64 v62, v64, 0, s[8:9]
	;; [unrolled: 1-line block ×4, first 2 shown]
	v_trunc_f64_e32 v[76:77], v[74:75]
	v_cmp_neq_f64_e64 s[8:9], v[76:77], v[74:75]
	v_frexp_mant_f64_e32 v[74:75], v[64:65]
	v_frexp_exp_i32_f64_e32 v3, v[64:65]
	v_cmp_gt_f64_e64 s[10:11], s[34:35], v[74:75]
	v_subbrev_co_u32_e64 v3, s[12:13], 0, v3, s[10:11]
	v_cvt_f64_i32_e32 v[76:77], v3
	v_cndmask_b32_e64 v3, v71, 2.0, s[10:11]
	v_mul_f64 v[74:75], v[74:75], v[2:3]
	v_add_f64 v[80:81], v[74:75], 1.0
	v_rcp_f64_e32 v[82:83], v[80:81]
	v_mul_f64 v[78:79], v[76:77], s[36:37]
	v_fma_f64 v[84:85], v[76:77], s[36:37], -v[78:79]
	v_fmac_f64_e32 v[84:85], s[38:39], v[76:77]
	v_fma_f64 v[86:87], -v[80:81], v[82:83], 1.0
	v_fmac_f64_e32 v[82:83], v[86:87], v[82:83]
	v_fma_f64 v[86:87], -v[80:81], v[82:83], 1.0
	v_add_f64 v[76:77], v[74:75], -1.0
	v_fmac_f64_e32 v[82:83], v[86:87], v[82:83]
	v_mul_f64 v[86:87], v[76:77], v[82:83]
	v_mul_f64 v[88:89], v[80:81], v[86:87]
	v_add_f64 v[90:91], v[80:81], -1.0
	v_add_f64 v[74:75], v[74:75], -v[90:91]
	v_fma_f64 v[80:81], v[86:87], v[80:81], -v[88:89]
	v_fmac_f64_e32 v[80:81], v[86:87], v[74:75]
	v_add_f64 v[74:75], v[88:89], v[80:81]
	v_add_f64 v[90:91], v[76:77], -v[74:75]
	v_add_f64 v[88:89], v[74:75], -v[88:89]
	;; [unrolled: 1-line block ×5, first 2 shown]
	v_add_f64 v[74:75], v[80:81], v[74:75]
	v_add_f64 v[74:75], v[90:91], v[74:75]
	v_mul_f64 v[74:75], v[82:83], v[74:75]
	v_add_f64 v[76:77], v[86:87], v[74:75]
	v_add_f64 v[82:83], v[76:77], -v[86:87]
	v_mul_f64 v[80:81], v[76:77], v[76:77]
	v_add_f64 v[74:75], v[74:75], -v[82:83]
	v_add_f64 v[82:83], v[74:75], v[74:75]
	v_fma_f64 v[86:87], v[76:77], v[76:77], -v[80:81]
	v_fmac_f64_e32 v[86:87], v[76:77], v[82:83]
	v_add_f64 v[82:83], v[80:81], v[86:87]
	v_add_f64 v[80:81], v[82:83], -v[80:81]
	v_add_f64 v[80:81], v[86:87], -v[80:81]
	v_pk_mov_b32 v[86:87], v[10:11], v[10:11] op_sel:[0,1]
	v_fmac_f64_e32 v[86:87], s[40:41], v[82:83]
	v_pk_mov_b32 v[90:91], v[12:13], v[12:13] op_sel:[0,1]
	v_fmac_f64_e32 v[90:91], v[82:83], v[86:87]
	;; [unrolled: 2-line block ×7, first 2 shown]
	v_pk_mov_b32 v[90:91], v[24:25], v[24:25] op_sel:[0,1]
	v_mul_f64 v[88:89], v[76:77], v[82:83]
	v_fmac_f64_e32 v[90:91], v[82:83], v[86:87]
	v_fma_f64 v[86:87], v[82:83], v[76:77], -v[88:89]
	v_mul_f64 v[92:93], v[82:83], v[90:91]
	v_fmac_f64_e32 v[86:87], v[82:83], v[74:75]
	v_fma_f64 v[82:83], v[82:83], v[90:91], -v[92:93]
	v_fmac_f64_e32 v[82:83], v[80:81], v[90:91]
	v_fmac_f64_e32 v[86:87], v[80:81], v[76:77]
	v_add_f64 v[80:81], v[92:93], v[82:83]
	v_add_f64 v[90:91], v[80:81], -v[92:93]
	v_add_f64 v[82:83], v[82:83], -v[90:91]
	v_add_f64 v[90:91], v[80:81], s[34:35]
	s_mov_b32 s44, s34
	v_add_f64 v[92:93], v[90:91], s[44:45]
	v_add_f64 v[80:81], v[80:81], -v[92:93]
	v_add_f64 v[82:83], v[82:83], s[42:43]
	v_add_f64 v[80:81], v[82:83], v[80:81]
	;; [unrolled: 1-line block ×3, first 2 shown]
	v_add_f64 v[90:91], v[90:91], -v[82:83]
	v_add_f64 v[80:81], v[80:81], v[90:91]
	v_add_f64 v[90:91], v[88:89], v[86:87]
	v_mul_f64 v[92:93], v[90:91], v[82:83]
	v_fma_f64 v[94:95], v[90:91], v[82:83], -v[92:93]
	v_fmac_f64_e32 v[94:95], v[90:91], v[80:81]
	v_add_f64 v[80:81], v[90:91], -v[88:89]
	v_add_f64 v[80:81], v[86:87], -v[80:81]
	v_fmac_f64_e32 v[94:95], v[80:81], v[82:83]
	v_ldexp_f64 v[76:77], v[76:77], 1
	v_add_f64 v[82:83], v[92:93], v[94:95]
	v_add_f64 v[88:89], v[82:83], -v[92:93]
	v_add_f64 v[90:91], v[76:77], v[82:83]
	v_add_f64 v[88:89], v[94:95], -v[88:89]
	v_ldexp_f64 v[74:75], v[74:75], 1
	v_add_f64 v[76:77], v[90:91], -v[76:77]
	v_add_f64 v[74:75], v[74:75], v[88:89]
	v_add_f64 v[76:77], v[82:83], -v[76:77]
	v_add_f64 v[74:75], v[74:75], v[76:77]
	v_add_f64 v[80:81], v[78:79], v[84:85]
	;; [unrolled: 1-line block ×4, first 2 shown]
	v_add_f64 v[78:79], v[80:81], -v[78:79]
	v_add_f64 v[78:79], v[84:85], -v[78:79]
	v_add_f64 v[84:85], v[76:77], -v[90:91]
	v_add_f64 v[88:89], v[82:83], -v[80:81]
	v_add_f64 v[74:75], v[74:75], -v[84:85]
	v_add_f64 v[76:77], v[76:77], -v[88:89]
	v_add_f64 v[88:89], v[82:83], -v[88:89]
	v_add_f64 v[84:85], v[78:79], v[74:75]
	v_add_f64 v[80:81], v[80:81], -v[88:89]
	v_add_f64 v[76:77], v[76:77], v[80:81]
	v_add_f64 v[88:89], v[84:85], -v[78:79]
	;; [unrolled: 2-line block ×4, first 2 shown]
	v_add_f64 v[78:79], v[78:79], -v[84:85]
	v_add_f64 v[74:75], v[74:75], v[78:79]
	v_add_f64 v[78:79], v[80:81], -v[82:83]
	v_add_f64 v[76:77], v[76:77], -v[78:79]
	v_add_f64 v[74:75], v[74:75], v[76:77]
	v_add_f64 v[76:77], v[80:81], v[74:75]
	v_mul_f64 v[78:79], v[60:61], v[76:77]
	v_add_f64 v[80:81], v[76:77], -v[80:81]
	v_cmp_eq_f64_e64 s[12:13], 0, v[62:63]
	v_cmp_gt_f64_e64 s[14:15], 0, v[60:61]
	v_add_f64 v[74:75], v[74:75], -v[80:81]
	v_fma_f64 v[76:77], v[60:61], v[76:77], -v[78:79]
	v_mov_b32_e32 v3, s25
	v_add_co_u32_e64 v86, s[10:11], s24, v50
	s_xor_b64 s[14:15], s[14:15], s[12:13]
	v_fmac_f64_e32 v[76:77], v[60:61], v[74:75]
	v_addc_co_u32_e64 v87, s[10:11], v49, v3, s[10:11]
	v_cndmask_b32_e64 v3, v72, 0, s[14:15]
	v_add_f64 v[74:75], v[78:79], v[76:77]
	v_cmp_class_f64_e64 s[14:15], v[78:79], s64
	v_cndmask_b32_e64 v81, v75, v79, s[14:15]
	v_cndmask_b32_e64 v80, v74, v78, s[14:15]
	v_mul_f64 v[82:83], v[80:81], s[50:51]
	v_rndne_f64_e32 v[82:83], v[82:83]
	s_mov_b32 s52, s36
	v_fma_f64 v[84:85], s[52:53], v[82:83], v[80:81]
	s_mov_b32 s54, s38
	v_fmac_f64_e32 v[84:85], s[54:55], v[82:83]
	v_pk_mov_b32 v[88:89], v[26:27], v[26:27] op_sel:[0,1]
	v_fmac_f64_e32 v[88:89], s[56:57], v[84:85]
	v_pk_mov_b32 v[90:91], v[28:29], v[28:29] op_sel:[0,1]
	;; [unrolled: 2-line block ×9, first 2 shown]
	v_fmac_f64_e32 v[88:89], v[84:85], v[90:91]
	v_fma_f64 v[88:89], v[84:85], v[88:89], 1.0
	v_fma_f64 v[84:85], v[84:85], v[88:89], 1.0
	v_cvt_i32_f64_e32 v82, v[82:83]
	v_ldexp_f64 v[82:83], v[84:85], v82
	v_and_b32_e32 v85, 0x7fffffff, v83
	v_mov_b32_e32 v84, v82
	v_cmp_eq_f64_e64 s[14:15], s[30:31], v[84:85]
	v_cmp_lt_f64_e64 s[16:17], s[48:49], v[80:81]
	v_add_f64 v[74:75], v[74:75], -v[78:79]
	v_trunc_f64_e32 v[90:91], v[60:61]
	v_cndmask_b32_e64 v82, v82, 0, s[16:17]
	s_or_b64 s[18:19], s[16:17], s[14:15]
	v_cndmask_b32_e64 v83, v83, v72, s[16:17]
	v_cmp_ngt_f64_e64 s[14:15], s[46:47], v[80:81]
	v_add_f64 v[74:75], v[76:77], -v[74:75]
	v_cmp_neq_f64_e64 s[16:17], |v[80:81]|, s[30:31]
	v_cndmask_b32_e64 v83, 0, v83, s[14:15]
	v_cndmask_b32_e64 v82, 0, v82, s[14:15]
	;; [unrolled: 1-line block ×4, first 2 shown]
	v_cmp_eq_f64_e64 s[16:17], v[90:91], v[60:61]
	v_pk_mov_b32 v[76:77], v[82:83], v[82:83] op_sel:[0,1]
	s_and_b64 s[8:9], s[16:17], s[8:9]
	v_fmac_f64_e32 v[76:77], v[76:77], v[74:75]
	s_and_b64 s[14:15], s[14:15], s[18:19]
	v_cndmask_b32_e64 v74, 0, v63, s[8:9]
	s_and_b32 s18, s21, 0x7fffffff
	v_bfi_b32 v3, s63, v3, v74
	v_mov_b32_e32 v74, s18
	v_cndmask_b32_e64 v75, v74, v71, s[6:7]
	v_mov_b32_e32 v74, s20
	v_cndmask_b32_e64 v74, v74, 0, s[6:7]
	v_cmp_neq_f64_e64 s[6:7], v[60:61], v[74:75]
	v_cmp_gt_f64_e64 s[18:19], 1.0, v[64:65]
	s_xor_b64 s[6:7], s[6:7], s[18:19]
	v_cndmask_b32_e64 v79, v74, 0, s[6:7]
	v_cndmask_b32_e64 v80, v75, 0, s[6:7]
	v_cmp_eq_f64_e64 s[6:7], 1.0, v[64:65]
	v_cmp_eq_f64_e64 s[10:11], s[30:31], v[64:65]
	v_cndmask_b32_e64 v64, v79, v64, s[6:7]
	v_cndmask_b32_e64 v77, v77, v83, s[14:15]
	;; [unrolled: 1-line block ×4, first 2 shown]
	v_bfi_b32 v77, s63, v77, v79
	v_cndmask_b32_e64 v78, 0, v76, s[16:17]
	v_cndmask_b32_e64 v65, v80, v65, s[6:7]
	;; [unrolled: 1-line block ×3, first 2 shown]
	v_cmp_gt_f64_e64 s[6:7], 0, v[62:63]
	v_cndmask_b32_e64 v77, v77, v79, s[6:7]
	v_cndmask_b32_e64 v76, v76, v78, s[6:7]
	v_cmp_eq_f64_e64 s[6:7], s[30:31], v[74:75]
	v_cndmask_b32_e64 v64, v76, v64, s[6:7]
	v_cndmask_b32_e64 v65, v77, v65, s[6:7]
	s_or_b64 s[6:7], s[10:11], s[12:13]
	v_cndmask_b32_e64 v3, v65, v3, s[6:7]
	v_cndmask_b32_e64 v64, v64, 0, s[6:7]
	v_cmp_o_f64_e64 s[6:7], v[62:63], v[60:61]
	v_cndmask_b32_e64 v60, 0, v64, s[6:7]
	v_cndmask_b32_e64 v61, v73, v3, s[6:7]
	global_store_dwordx2 v[86:87], v[60:61], off
	s_or_b64 exec, exec, s[58:59]
	s_and_saveexec_b64 s[12:13], s[2:3]
	s_cbranch_execz .LBB66_13
.LBB66_17:                              ;   in Loop: Header=BB66_4 Depth=1
	v_mov_b32_e32 v3, s21
	s_waitcnt vmcnt(0)
	v_cmp_eq_f64_e64 s[2:3], 1.0, v[58:59]
	v_cndmask_b32_e64 v61, v3, v71, s[2:3]
	v_mov_b32_e32 v3, s20
	v_cndmask_b32_e64 v60, v3, 0, s[2:3]
	v_cmp_eq_f64_e64 s[6:7], 0, v[60:61]
	v_and_b32_e32 v3, 0x7fffffff, v59
	v_cndmask_b32_e64 v63, v59, v71, s[6:7]
	v_cndmask_b32_e64 v62, v58, 0, s[6:7]
	;; [unrolled: 1-line block ×4, first 2 shown]
	v_frexp_mant_f64_e32 v[64:65], v[58:59]
	v_cmp_gt_f64_e64 s[6:7], s[34:35], v[64:65]
	v_cndmask_b32_e64 v3, v71, 2.0, s[6:7]
	v_frexp_exp_i32_f64_e32 v74, v[58:59]
	v_mul_f64 v[64:65], v[64:65], v[2:3]
	v_subbrev_co_u32_e64 v3, s[6:7], 0, v74, s[6:7]
	v_add_f64 v[74:75], v[64:65], 1.0
	v_rcp_f64_e32 v[76:77], v[74:75]
	v_add_f64 v[80:81], v[74:75], -1.0
	v_add_f64 v[78:79], v[64:65], -1.0
	v_add_f64 v[64:65], v[64:65], -v[80:81]
	v_fma_f64 v[80:81], -v[74:75], v[76:77], 1.0
	v_fmac_f64_e32 v[76:77], v[80:81], v[76:77]
	v_fma_f64 v[80:81], -v[74:75], v[76:77], 1.0
	v_fmac_f64_e32 v[76:77], v[80:81], v[76:77]
	v_mul_f64 v[80:81], v[78:79], v[76:77]
	v_mul_f64 v[82:83], v[74:75], v[80:81]
	v_fma_f64 v[74:75], v[80:81], v[74:75], -v[82:83]
	v_fmac_f64_e32 v[74:75], v[80:81], v[64:65]
	v_add_f64 v[64:65], v[82:83], v[74:75]
	v_add_f64 v[84:85], v[78:79], -v[64:65]
	v_add_f64 v[82:83], v[64:65], -v[82:83]
	;; [unrolled: 1-line block ×5, first 2 shown]
	v_add_f64 v[64:65], v[74:75], v[64:65]
	v_add_f64 v[64:65], v[84:85], v[64:65]
	v_mul_f64 v[64:65], v[76:77], v[64:65]
	v_add_f64 v[74:75], v[80:81], v[64:65]
	v_add_f64 v[76:77], v[74:75], -v[80:81]
	v_add_f64 v[64:65], v[64:65], -v[76:77]
	v_mul_f64 v[76:77], v[74:75], v[74:75]
	v_fma_f64 v[78:79], v[74:75], v[74:75], -v[76:77]
	v_add_f64 v[80:81], v[64:65], v[64:65]
	v_fmac_f64_e32 v[78:79], v[74:75], v[80:81]
	v_add_f64 v[80:81], v[76:77], v[78:79]
	v_add_f64 v[76:77], v[80:81], -v[76:77]
	v_add_f64 v[76:77], v[78:79], -v[76:77]
	v_pk_mov_b32 v[78:79], v[10:11], v[10:11] op_sel:[0,1]
	v_fmac_f64_e32 v[78:79], s[40:41], v[80:81]
	v_pk_mov_b32 v[82:83], v[12:13], v[12:13] op_sel:[0,1]
	v_fmac_f64_e32 v[82:83], v[80:81], v[78:79]
	;; [unrolled: 2-line block ×8, first 2 shown]
	v_cvt_f64_i32_e32 v[78:79], v3
	v_mul_f64 v[84:85], v[78:79], s[36:37]
	v_mul_f64 v[90:91], v[74:75], v[80:81]
	v_fma_f64 v[86:87], v[78:79], s[36:37], -v[84:85]
	v_fma_f64 v[92:93], v[80:81], v[74:75], -v[90:91]
	v_fmac_f64_e32 v[86:87], s[38:39], v[78:79]
	v_fmac_f64_e32 v[92:93], v[80:81], v[64:65]
	v_add_f64 v[78:79], v[84:85], v[86:87]
	v_fmac_f64_e32 v[92:93], v[76:77], v[74:75]
	v_add_f64 v[84:85], v[78:79], -v[84:85]
	v_ldexp_f64 v[88:89], v[64:65], 1
	v_add_f64 v[64:65], v[90:91], v[92:93]
	v_add_f64 v[84:85], v[86:87], -v[84:85]
	v_ldexp_f64 v[86:87], v[74:75], 1
	v_add_f64 v[74:75], v[64:65], -v[90:91]
	v_mul_f64 v[90:91], v[80:81], v[82:83]
	v_fma_f64 v[80:81], v[80:81], v[82:83], -v[90:91]
	v_fmac_f64_e32 v[80:81], v[76:77], v[82:83]
	v_add_f64 v[76:77], v[90:91], v[80:81]
	v_add_f64 v[82:83], v[76:77], -v[90:91]
	v_add_f64 v[80:81], v[80:81], -v[82:83]
	v_add_f64 v[82:83], v[76:77], s[34:35]
	s_mov_b32 s44, s34
	v_add_f64 v[90:91], v[82:83], s[44:45]
	v_add_f64 v[76:77], v[76:77], -v[90:91]
	v_add_f64 v[80:81], v[80:81], s[42:43]
	v_add_f64 v[76:77], v[80:81], v[76:77]
	v_add_f64 v[80:81], v[82:83], v[76:77]
	v_add_f64 v[82:83], v[82:83], -v[80:81]
	v_add_f64 v[76:77], v[76:77], v[82:83]
	v_mul_f64 v[82:83], v[64:65], v[80:81]
	v_fma_f64 v[90:91], v[64:65], v[80:81], -v[82:83]
	v_add_f64 v[74:75], v[92:93], -v[74:75]
	v_fmac_f64_e32 v[90:91], v[64:65], v[76:77]
	v_fmac_f64_e32 v[90:91], v[74:75], v[80:81]
	v_add_f64 v[64:65], v[82:83], v[90:91]
	v_add_f64 v[74:75], v[64:65], -v[82:83]
	v_add_f64 v[76:77], v[86:87], v[64:65]
	v_add_f64 v[74:75], v[90:91], -v[74:75]
	v_add_f64 v[80:81], v[76:77], -v[86:87]
	;; [unrolled: 1-line block ×3, first 2 shown]
	v_add_f64 v[74:75], v[88:89], v[74:75]
	v_add_f64 v[64:65], v[74:75], v[64:65]
	;; [unrolled: 1-line block ×3, first 2 shown]
	v_add_f64 v[76:77], v[74:75], -v[76:77]
	v_add_f64 v[64:65], v[64:65], -v[76:77]
	v_add_f64 v[76:77], v[78:79], v[74:75]
	v_add_f64 v[80:81], v[76:77], -v[78:79]
	v_add_f64 v[82:83], v[76:77], -v[80:81]
	;; [unrolled: 1-line block ×4, first 2 shown]
	v_add_f64 v[74:75], v[74:75], v[78:79]
	v_add_f64 v[78:79], v[84:85], v[64:65]
	v_add_f64 v[80:81], v[78:79], -v[84:85]
	v_add_f64 v[74:75], v[78:79], v[74:75]
	v_add_f64 v[82:83], v[78:79], -v[80:81]
	;; [unrolled: 2-line block ×3, first 2 shown]
	v_add_f64 v[64:65], v[64:65], -v[80:81]
	v_add_f64 v[76:77], v[78:79], -v[76:77]
	v_add_f64 v[64:65], v[64:65], v[82:83]
	v_add_f64 v[74:75], v[74:75], -v[76:77]
	v_add_f64 v[64:65], v[64:65], v[74:75]
	v_add_f64 v[74:75], v[78:79], v[64:65]
	v_add_f64 v[76:77], v[74:75], -v[78:79]
	v_add_f64 v[64:65], v[64:65], -v[76:77]
	v_mul_f64 v[76:77], v[60:61], v[74:75]
	v_fma_f64 v[74:75], v[60:61], v[74:75], -v[76:77]
	v_fmac_f64_e32 v[74:75], v[60:61], v[64:65]
	v_add_f64 v[64:65], v[76:77], v[74:75]
	v_cmp_class_f64_e64 s[6:7], v[76:77], s64
	v_add_f64 v[78:79], v[64:65], -v[76:77]
	v_cndmask_b32_e64 v65, v65, v77, s[6:7]
	v_cndmask_b32_e64 v64, v64, v76, s[6:7]
	v_mul_f64 v[76:77], v[64:65], s[50:51]
	v_rndne_f64_e32 v[76:77], v[76:77]
	s_mov_b32 s52, s36
	v_add_f64 v[74:75], v[74:75], -v[78:79]
	v_fma_f64 v[78:79], s[52:53], v[76:77], v[64:65]
	s_mov_b32 s54, s38
	v_fmac_f64_e32 v[78:79], s[54:55], v[76:77]
	v_pk_mov_b32 v[80:81], v[26:27], v[26:27] op_sel:[0,1]
	v_fmac_f64_e32 v[80:81], s[56:57], v[78:79]
	v_pk_mov_b32 v[82:83], v[28:29], v[28:29] op_sel:[0,1]
	;; [unrolled: 2-line block ×9, first 2 shown]
	v_fmac_f64_e32 v[80:81], v[78:79], v[82:83]
	v_fma_f64 v[80:81], v[78:79], v[80:81], 1.0
	v_cmp_neq_f64_e64 s[6:7], |v[64:65]|, s[30:31]
	v_fma_f64 v[78:79], v[78:79], v[80:81], 1.0
	v_cvt_i32_f64_e32 v3, v[76:77]
	v_cndmask_b32_e64 v75, 0, v75, s[6:7]
	v_cndmask_b32_e64 v74, 0, v74, s[6:7]
	v_ldexp_f64 v[76:77], v[78:79], v3
	v_cmp_lt_f64_e64 s[6:7], s[48:49], v[64:65]
	v_cndmask_b32_e64 v3, v76, 0, s[6:7]
	v_cndmask_b32_e64 v78, v77, v72, s[6:7]
	v_cmp_ngt_f64_e64 s[8:9], s[46:47], v[64:65]
	v_and_b32_e32 v77, 0x7fffffff, v77
	v_cndmask_b32_e64 v65, 0, v78, s[8:9]
	v_cndmask_b32_e64 v64, 0, v3, s[8:9]
	v_cmp_eq_f64_e64 s[10:11], s[30:31], v[76:77]
	v_pk_mov_b32 v[78:79], v[64:65], v[64:65] op_sel:[0,1]
	s_or_b64 s[6:7], s[6:7], s[10:11]
	v_fmac_f64_e32 v[78:79], v[78:79], v[74:75]
	s_and_b64 s[6:7], s[8:9], s[6:7]
	v_mul_f64 v[74:75], v[60:61], 0.5
	v_cndmask_b32_e64 v3, v78, v64, s[6:7]
	v_cndmask_b32_e64 v78, v79, v65, s[6:7]
	v_trunc_f64_e32 v[64:65], v[60:61]
	v_trunc_f64_e32 v[76:77], v[74:75]
	v_cmp_neq_f64_e64 s[6:7], v[76:77], v[74:75]
	v_cmp_eq_f64_e64 s[8:9], v[64:65], v[60:61]
	s_and_b64 s[6:7], s[8:9], s[6:7]
	v_cndmask_b32_e64 v65, v71, v63, s[6:7]
	v_bfi_b32 v65, s63, v78, v65
	v_cndmask_b32_e64 v64, 0, v3, s[8:9]
	v_cndmask_b32_e64 v74, v73, v65, s[8:9]
	v_cmp_gt_f64_e64 s[8:9], 0, v[62:63]
	v_cndmask_b32_e64 v74, v65, v74, s[8:9]
	v_cndmask_b32_e64 v3, v3, v64, s[8:9]
	s_and_b32 s8, s21, 0x7fffffff
	v_mov_b32_e32 v64, s8
	v_cndmask_b32_e64 v65, v64, v71, s[2:3]
	v_mov_b32_e32 v64, s20
	v_cndmask_b32_e64 v64, v64, 0, s[2:3]
	v_cmp_neq_f64_e64 s[2:3], v[60:61], v[64:65]
	v_cmp_gt_f64_e64 s[8:9], 1.0, v[58:59]
	s_xor_b64 s[2:3], s[2:3], s[8:9]
	v_cndmask_b32_e64 v75, v64, 0, s[2:3]
	v_cndmask_b32_e64 v76, v65, 0, s[2:3]
	v_cmp_eq_f64_e64 s[2:3], 1.0, v[58:59]
	v_cmp_eq_f64_e64 s[8:9], 0, v[62:63]
	v_cmp_gt_f64_e64 s[10:11], 0, v[60:61]
	v_cndmask_b32_e64 v76, v76, v59, s[2:3]
	v_cndmask_b32_e64 v75, v75, v58, s[2:3]
	v_cmp_eq_f64_e64 s[2:3], s[30:31], v[64:65]
	s_xor_b64 s[10:11], s[10:11], s[8:9]
	v_cndmask_b32_e64 v3, v3, v75, s[2:3]
	v_cndmask_b32_e64 v64, v74, v76, s[2:3]
	v_cmp_eq_f64_e64 s[2:3], s[30:31], v[58:59]
	v_cndmask_b32_e64 v58, v72, 0, s[10:11]
	v_cndmask_b32_e64 v59, 0, v63, s[6:7]
	v_bfi_b32 v58, s63, v58, v59
	s_or_b64 s[2:3], s[2:3], s[8:9]
	v_cndmask_b32_e64 v59, v64, v58, s[2:3]
	v_cndmask_b32_e64 v3, v3, 0, s[2:3]
	v_cmp_o_f64_e64 s[2:3], v[62:63], v[60:61]
	v_cndmask_b32_e64 v58, 0, v3, s[2:3]
	v_cndmask_b32_e64 v59, v73, v59, s[2:3]
	v_mov_b32_e32 v3, s25
	v_add_co_u32_e64 v60, s[2:3], s24, v52
	v_addc_co_u32_e64 v61, s[2:3], v51, v3, s[2:3]
	global_store_dwordx2 v[60:61], v[58:59], off
	s_or_b64 exec, exec, s[12:13]
	s_and_saveexec_b64 s[10:11], s[0:1]
	s_cbranch_execz .LBB66_14
.LBB66_18:                              ;   in Loop: Header=BB66_4 Depth=1
	v_mov_b32_e32 v3, s21
	s_waitcnt vmcnt(0)
	v_cmp_eq_f64_e64 s[0:1], 1.0, v[56:57]
	v_cndmask_b32_e64 v59, v3, v71, s[0:1]
	v_mov_b32_e32 v3, s20
	v_cndmask_b32_e64 v58, v3, 0, s[0:1]
	v_cmp_eq_f64_e64 s[2:3], 0, v[58:59]
	v_and_b32_e32 v3, 0x7fffffff, v57
	v_cndmask_b32_e64 v61, v57, v71, s[2:3]
	v_cndmask_b32_e64 v60, v56, 0, s[2:3]
	;; [unrolled: 1-line block ×4, first 2 shown]
	v_frexp_mant_f64_e32 v[62:63], v[56:57]
	v_cmp_gt_f64_e64 s[2:3], s[34:35], v[62:63]
	v_cndmask_b32_e64 v3, v71, 2.0, s[2:3]
	v_frexp_exp_i32_f64_e32 v64, v[56:57]
	v_mul_f64 v[62:63], v[62:63], v[2:3]
	v_subbrev_co_u32_e64 v3, s[2:3], 0, v64, s[2:3]
	v_add_f64 v[64:65], v[62:63], 1.0
	v_rcp_f64_e32 v[74:75], v[64:65]
	v_add_f64 v[78:79], v[64:65], -1.0
	v_add_f64 v[76:77], v[62:63], -1.0
	v_add_f64 v[62:63], v[62:63], -v[78:79]
	v_fma_f64 v[78:79], -v[64:65], v[74:75], 1.0
	v_fmac_f64_e32 v[74:75], v[78:79], v[74:75]
	v_fma_f64 v[78:79], -v[64:65], v[74:75], 1.0
	v_fmac_f64_e32 v[74:75], v[78:79], v[74:75]
	v_mul_f64 v[78:79], v[76:77], v[74:75]
	v_mul_f64 v[80:81], v[64:65], v[78:79]
	v_fma_f64 v[64:65], v[78:79], v[64:65], -v[80:81]
	v_fmac_f64_e32 v[64:65], v[78:79], v[62:63]
	v_add_f64 v[62:63], v[80:81], v[64:65]
	v_add_f64 v[82:83], v[76:77], -v[62:63]
	v_add_f64 v[80:81], v[62:63], -v[80:81]
	;; [unrolled: 1-line block ×5, first 2 shown]
	v_add_f64 v[62:63], v[64:65], v[62:63]
	v_add_f64 v[62:63], v[82:83], v[62:63]
	v_mul_f64 v[62:63], v[74:75], v[62:63]
	v_add_f64 v[64:65], v[78:79], v[62:63]
	v_add_f64 v[74:75], v[64:65], -v[78:79]
	v_add_f64 v[62:63], v[62:63], -v[74:75]
	v_mul_f64 v[74:75], v[64:65], v[64:65]
	v_fma_f64 v[76:77], v[64:65], v[64:65], -v[74:75]
	v_add_f64 v[78:79], v[62:63], v[62:63]
	v_fmac_f64_e32 v[76:77], v[64:65], v[78:79]
	v_add_f64 v[78:79], v[74:75], v[76:77]
	v_add_f64 v[74:75], v[78:79], -v[74:75]
	v_add_f64 v[74:75], v[76:77], -v[74:75]
	v_pk_mov_b32 v[76:77], v[10:11], v[10:11] op_sel:[0,1]
	v_fmac_f64_e32 v[76:77], s[40:41], v[78:79]
	v_pk_mov_b32 v[80:81], v[12:13], v[12:13] op_sel:[0,1]
	v_fmac_f64_e32 v[80:81], v[78:79], v[76:77]
	;; [unrolled: 2-line block ×8, first 2 shown]
	v_cvt_f64_i32_e32 v[76:77], v3
	v_mul_f64 v[82:83], v[76:77], s[36:37]
	v_mul_f64 v[88:89], v[64:65], v[78:79]
	v_fma_f64 v[84:85], v[76:77], s[36:37], -v[82:83]
	v_fma_f64 v[90:91], v[78:79], v[64:65], -v[88:89]
	v_fmac_f64_e32 v[84:85], s[38:39], v[76:77]
	v_fmac_f64_e32 v[90:91], v[78:79], v[62:63]
	v_add_f64 v[76:77], v[82:83], v[84:85]
	v_fmac_f64_e32 v[90:91], v[74:75], v[64:65]
	v_add_f64 v[82:83], v[76:77], -v[82:83]
	v_ldexp_f64 v[86:87], v[62:63], 1
	v_add_f64 v[62:63], v[88:89], v[90:91]
	v_add_f64 v[82:83], v[84:85], -v[82:83]
	v_ldexp_f64 v[84:85], v[64:65], 1
	v_add_f64 v[64:65], v[62:63], -v[88:89]
	v_mul_f64 v[88:89], v[78:79], v[80:81]
	v_fma_f64 v[78:79], v[78:79], v[80:81], -v[88:89]
	v_fmac_f64_e32 v[78:79], v[74:75], v[80:81]
	v_add_f64 v[74:75], v[88:89], v[78:79]
	v_add_f64 v[80:81], v[74:75], -v[88:89]
	v_add_f64 v[78:79], v[78:79], -v[80:81]
	v_add_f64 v[80:81], v[74:75], s[34:35]
	s_mov_b32 s44, s34
	v_add_f64 v[88:89], v[80:81], s[44:45]
	v_add_f64 v[74:75], v[74:75], -v[88:89]
	v_add_f64 v[78:79], v[78:79], s[42:43]
	v_add_f64 v[74:75], v[78:79], v[74:75]
	;; [unrolled: 1-line block ×3, first 2 shown]
	v_add_f64 v[80:81], v[80:81], -v[78:79]
	v_add_f64 v[74:75], v[74:75], v[80:81]
	v_mul_f64 v[80:81], v[62:63], v[78:79]
	v_fma_f64 v[88:89], v[62:63], v[78:79], -v[80:81]
	v_add_f64 v[64:65], v[90:91], -v[64:65]
	v_fmac_f64_e32 v[88:89], v[62:63], v[74:75]
	v_fmac_f64_e32 v[88:89], v[64:65], v[78:79]
	v_add_f64 v[62:63], v[80:81], v[88:89]
	v_add_f64 v[64:65], v[62:63], -v[80:81]
	v_add_f64 v[74:75], v[84:85], v[62:63]
	v_add_f64 v[64:65], v[88:89], -v[64:65]
	v_add_f64 v[78:79], v[74:75], -v[84:85]
	;; [unrolled: 1-line block ×3, first 2 shown]
	v_add_f64 v[64:65], v[86:87], v[64:65]
	v_add_f64 v[62:63], v[64:65], v[62:63]
	;; [unrolled: 1-line block ×3, first 2 shown]
	v_add_f64 v[74:75], v[64:65], -v[74:75]
	v_add_f64 v[62:63], v[62:63], -v[74:75]
	v_add_f64 v[74:75], v[76:77], v[64:65]
	v_add_f64 v[78:79], v[74:75], -v[76:77]
	v_add_f64 v[80:81], v[74:75], -v[78:79]
	;; [unrolled: 1-line block ×4, first 2 shown]
	v_add_f64 v[64:65], v[64:65], v[76:77]
	v_add_f64 v[76:77], v[82:83], v[62:63]
	v_add_f64 v[78:79], v[76:77], -v[82:83]
	v_add_f64 v[64:65], v[76:77], v[64:65]
	v_add_f64 v[80:81], v[76:77], -v[78:79]
	;; [unrolled: 2-line block ×3, first 2 shown]
	v_add_f64 v[62:63], v[62:63], -v[78:79]
	v_add_f64 v[74:75], v[76:77], -v[74:75]
	v_add_f64 v[62:63], v[62:63], v[80:81]
	v_add_f64 v[64:65], v[64:65], -v[74:75]
	v_add_f64 v[62:63], v[62:63], v[64:65]
	v_add_f64 v[64:65], v[76:77], v[62:63]
	v_add_f64 v[74:75], v[64:65], -v[76:77]
	v_add_f64 v[62:63], v[62:63], -v[74:75]
	v_mul_f64 v[74:75], v[58:59], v[64:65]
	v_fma_f64 v[64:65], v[58:59], v[64:65], -v[74:75]
	v_fmac_f64_e32 v[64:65], v[58:59], v[62:63]
	v_add_f64 v[62:63], v[74:75], v[64:65]
	v_cmp_class_f64_e64 s[2:3], v[74:75], s64
	v_add_f64 v[76:77], v[62:63], -v[74:75]
	v_cndmask_b32_e64 v63, v63, v75, s[2:3]
	v_cndmask_b32_e64 v62, v62, v74, s[2:3]
	v_mul_f64 v[74:75], v[62:63], s[50:51]
	v_rndne_f64_e32 v[74:75], v[74:75]
	s_mov_b32 s52, s36
	v_add_f64 v[64:65], v[64:65], -v[76:77]
	v_fma_f64 v[76:77], s[52:53], v[74:75], v[62:63]
	s_mov_b32 s54, s38
	v_fmac_f64_e32 v[76:77], s[54:55], v[74:75]
	v_pk_mov_b32 v[78:79], v[26:27], v[26:27] op_sel:[0,1]
	v_fmac_f64_e32 v[78:79], s[56:57], v[76:77]
	v_pk_mov_b32 v[80:81], v[28:29], v[28:29] op_sel:[0,1]
	;; [unrolled: 2-line block ×9, first 2 shown]
	v_fmac_f64_e32 v[78:79], v[76:77], v[80:81]
	v_fma_f64 v[78:79], v[76:77], v[78:79], 1.0
	v_cmp_neq_f64_e64 s[2:3], |v[62:63]|, s[30:31]
	v_fma_f64 v[76:77], v[76:77], v[78:79], 1.0
	v_cvt_i32_f64_e32 v3, v[74:75]
	v_cndmask_b32_e64 v65, 0, v65, s[2:3]
	v_cndmask_b32_e64 v64, 0, v64, s[2:3]
	v_ldexp_f64 v[74:75], v[76:77], v3
	v_cmp_lt_f64_e64 s[2:3], s[48:49], v[62:63]
	v_cndmask_b32_e64 v3, v74, 0, s[2:3]
	v_cndmask_b32_e64 v76, v75, v72, s[2:3]
	v_cmp_ngt_f64_e64 s[6:7], s[46:47], v[62:63]
	v_and_b32_e32 v75, 0x7fffffff, v75
	v_cndmask_b32_e64 v63, 0, v76, s[6:7]
	v_cndmask_b32_e64 v62, 0, v3, s[6:7]
	v_cmp_eq_f64_e64 s[8:9], s[30:31], v[74:75]
	v_pk_mov_b32 v[76:77], v[62:63], v[62:63] op_sel:[0,1]
	s_or_b64 s[2:3], s[2:3], s[8:9]
	v_fmac_f64_e32 v[76:77], v[76:77], v[64:65]
	s_and_b64 s[2:3], s[6:7], s[2:3]
	v_mul_f64 v[64:65], v[58:59], 0.5
	v_cndmask_b32_e64 v3, v76, v62, s[2:3]
	v_cndmask_b32_e64 v76, v77, v63, s[2:3]
	v_trunc_f64_e32 v[62:63], v[58:59]
	v_trunc_f64_e32 v[74:75], v[64:65]
	v_cmp_neq_f64_e64 s[2:3], v[74:75], v[64:65]
	v_cmp_eq_f64_e64 s[6:7], v[62:63], v[58:59]
	s_and_b64 s[2:3], s[6:7], s[2:3]
	v_cndmask_b32_e64 v63, v71, v61, s[2:3]
	v_bfi_b32 v63, s63, v76, v63
	v_cndmask_b32_e64 v62, 0, v3, s[6:7]
	v_cndmask_b32_e64 v64, v73, v63, s[6:7]
	v_cmp_gt_f64_e64 s[6:7], 0, v[60:61]
	v_cndmask_b32_e64 v64, v63, v64, s[6:7]
	v_cndmask_b32_e64 v3, v3, v62, s[6:7]
	s_and_b32 s6, s21, 0x7fffffff
	v_mov_b32_e32 v62, s6
	v_cndmask_b32_e64 v63, v62, v71, s[0:1]
	v_mov_b32_e32 v62, s20
	v_cndmask_b32_e64 v62, v62, 0, s[0:1]
	v_cmp_neq_f64_e64 s[0:1], v[58:59], v[62:63]
	v_cmp_gt_f64_e64 s[6:7], 1.0, v[56:57]
	s_xor_b64 s[0:1], s[0:1], s[6:7]
	v_cndmask_b32_e64 v65, v62, 0, s[0:1]
	v_cndmask_b32_e64 v74, v63, 0, s[0:1]
	v_cmp_eq_f64_e64 s[0:1], 1.0, v[56:57]
	v_cmp_eq_f64_e64 s[6:7], 0, v[60:61]
	v_cmp_gt_f64_e64 s[8:9], 0, v[58:59]
	v_cndmask_b32_e64 v74, v74, v57, s[0:1]
	v_cndmask_b32_e64 v65, v65, v56, s[0:1]
	v_cmp_eq_f64_e64 s[0:1], s[30:31], v[62:63]
	s_xor_b64 s[8:9], s[8:9], s[6:7]
	v_cndmask_b32_e64 v3, v3, v65, s[0:1]
	v_cndmask_b32_e64 v62, v64, v74, s[0:1]
	v_cmp_eq_f64_e64 s[0:1], s[30:31], v[56:57]
	v_cndmask_b32_e64 v56, v72, 0, s[8:9]
	v_cndmask_b32_e64 v57, 0, v61, s[2:3]
	v_bfi_b32 v56, s63, v56, v57
	s_or_b64 s[0:1], s[0:1], s[6:7]
	v_cndmask_b32_e64 v57, v62, v56, s[0:1]
	v_cndmask_b32_e64 v3, v3, 0, s[0:1]
	v_cmp_o_f64_e64 s[0:1], v[60:61], v[58:59]
	v_cndmask_b32_e64 v56, 0, v3, s[0:1]
	v_cndmask_b32_e64 v57, v73, v57, s[0:1]
	v_mov_b32_e32 v3, s25
	v_add_co_u32_e64 v58, s[0:1], s24, v44
	v_addc_co_u32_e64 v59, s[0:1], v9, v3, s[0:1]
	global_store_dwordx2 v[58:59], v[56:57], off
	s_or_b64 exec, exec, s[10:11]
	s_and_saveexec_b64 s[8:9], vcc
	s_cbranch_execz .LBB66_3
.LBB66_19:                              ;   in Loop: Header=BB66_4 Depth=1
	v_mov_b32_e32 v3, s21
	s_waitcnt vmcnt(0)
	v_cmp_eq_f64_e32 vcc, 1.0, v[54:55]
	v_cndmask_b32_e32 v57, v3, v71, vcc
	v_mov_b32_e32 v3, s20
	v_cndmask_b32_e64 v56, v3, 0, vcc
	v_cmp_eq_f64_e64 s[0:1], 0, v[56:57]
	v_and_b32_e32 v3, 0x7fffffff, v55
	v_cndmask_b32_e64 v59, v55, v71, s[0:1]
	v_cndmask_b32_e64 v58, v54, 0, s[0:1]
	;; [unrolled: 1-line block ×4, first 2 shown]
	v_frexp_mant_f64_e32 v[60:61], v[54:55]
	v_cmp_gt_f64_e64 s[0:1], s[34:35], v[60:61]
	v_cndmask_b32_e64 v3, v71, 2.0, s[0:1]
	v_frexp_exp_i32_f64_e32 v62, v[54:55]
	v_mul_f64 v[60:61], v[60:61], v[2:3]
	v_subbrev_co_u32_e64 v3, s[0:1], 0, v62, s[0:1]
	v_add_f64 v[62:63], v[60:61], 1.0
	v_rcp_f64_e32 v[64:65], v[62:63]
	v_add_f64 v[76:77], v[62:63], -1.0
	v_add_f64 v[74:75], v[60:61], -1.0
	v_add_f64 v[60:61], v[60:61], -v[76:77]
	v_fma_f64 v[76:77], -v[62:63], v[64:65], 1.0
	v_fmac_f64_e32 v[64:65], v[76:77], v[64:65]
	v_fma_f64 v[76:77], -v[62:63], v[64:65], 1.0
	v_fmac_f64_e32 v[64:65], v[76:77], v[64:65]
	v_mul_f64 v[76:77], v[74:75], v[64:65]
	v_mul_f64 v[78:79], v[62:63], v[76:77]
	v_fma_f64 v[62:63], v[76:77], v[62:63], -v[78:79]
	v_fmac_f64_e32 v[62:63], v[76:77], v[60:61]
	v_add_f64 v[60:61], v[78:79], v[62:63]
	v_add_f64 v[80:81], v[74:75], -v[60:61]
	v_add_f64 v[78:79], v[60:61], -v[78:79]
	;; [unrolled: 1-line block ×5, first 2 shown]
	v_add_f64 v[60:61], v[62:63], v[60:61]
	v_add_f64 v[60:61], v[80:81], v[60:61]
	v_mul_f64 v[60:61], v[64:65], v[60:61]
	v_add_f64 v[62:63], v[76:77], v[60:61]
	v_add_f64 v[64:65], v[62:63], -v[76:77]
	v_add_f64 v[60:61], v[60:61], -v[64:65]
	v_mul_f64 v[64:65], v[62:63], v[62:63]
	v_fma_f64 v[74:75], v[62:63], v[62:63], -v[64:65]
	v_add_f64 v[76:77], v[60:61], v[60:61]
	v_fmac_f64_e32 v[74:75], v[62:63], v[76:77]
	v_add_f64 v[76:77], v[64:65], v[74:75]
	v_add_f64 v[64:65], v[76:77], -v[64:65]
	v_add_f64 v[64:65], v[74:75], -v[64:65]
	v_pk_mov_b32 v[74:75], v[10:11], v[10:11] op_sel:[0,1]
	v_fmac_f64_e32 v[74:75], s[40:41], v[76:77]
	v_pk_mov_b32 v[78:79], v[12:13], v[12:13] op_sel:[0,1]
	v_fmac_f64_e32 v[78:79], v[76:77], v[74:75]
	v_pk_mov_b32 v[74:75], v[14:15], v[14:15] op_sel:[0,1]
	v_fmac_f64_e32 v[74:75], v[76:77], v[78:79]
	v_pk_mov_b32 v[78:79], v[16:17], v[16:17] op_sel:[0,1]
	v_fmac_f64_e32 v[78:79], v[76:77], v[74:75]
	v_pk_mov_b32 v[74:75], v[18:19], v[18:19] op_sel:[0,1]
	v_fmac_f64_e32 v[74:75], v[76:77], v[78:79]
	v_pk_mov_b32 v[78:79], v[20:21], v[20:21] op_sel:[0,1]
	v_fmac_f64_e32 v[78:79], v[76:77], v[74:75]
	v_pk_mov_b32 v[74:75], v[22:23], v[22:23] op_sel:[0,1]
	v_fmac_f64_e32 v[74:75], v[76:77], v[78:79]
	v_pk_mov_b32 v[78:79], v[24:25], v[24:25] op_sel:[0,1]
	v_fmac_f64_e32 v[78:79], v[76:77], v[74:75]
	v_cvt_f64_i32_e32 v[74:75], v3
	v_mul_f64 v[80:81], v[74:75], s[36:37]
	v_mul_f64 v[86:87], v[62:63], v[76:77]
	v_fma_f64 v[82:83], v[74:75], s[36:37], -v[80:81]
	v_fma_f64 v[88:89], v[76:77], v[62:63], -v[86:87]
	v_fmac_f64_e32 v[82:83], s[38:39], v[74:75]
	v_fmac_f64_e32 v[88:89], v[76:77], v[60:61]
	v_add_f64 v[74:75], v[80:81], v[82:83]
	v_fmac_f64_e32 v[88:89], v[64:65], v[62:63]
	v_add_f64 v[80:81], v[74:75], -v[80:81]
	v_ldexp_f64 v[84:85], v[60:61], 1
	v_add_f64 v[60:61], v[86:87], v[88:89]
	v_add_f64 v[80:81], v[82:83], -v[80:81]
	v_ldexp_f64 v[82:83], v[62:63], 1
	v_add_f64 v[62:63], v[60:61], -v[86:87]
	v_mul_f64 v[86:87], v[76:77], v[78:79]
	v_fma_f64 v[76:77], v[76:77], v[78:79], -v[86:87]
	v_fmac_f64_e32 v[76:77], v[64:65], v[78:79]
	v_add_f64 v[64:65], v[86:87], v[76:77]
	v_add_f64 v[78:79], v[64:65], -v[86:87]
	v_add_f64 v[76:77], v[76:77], -v[78:79]
	v_add_f64 v[78:79], v[64:65], s[34:35]
	s_mov_b32 s44, s34
	v_add_f64 v[86:87], v[78:79], s[44:45]
	v_add_f64 v[64:65], v[64:65], -v[86:87]
	v_add_f64 v[76:77], v[76:77], s[42:43]
	v_add_f64 v[64:65], v[76:77], v[64:65]
	;; [unrolled: 1-line block ×3, first 2 shown]
	v_add_f64 v[78:79], v[78:79], -v[76:77]
	v_add_f64 v[64:65], v[64:65], v[78:79]
	v_mul_f64 v[78:79], v[60:61], v[76:77]
	v_fma_f64 v[86:87], v[60:61], v[76:77], -v[78:79]
	v_add_f64 v[62:63], v[88:89], -v[62:63]
	v_fmac_f64_e32 v[86:87], v[60:61], v[64:65]
	v_fmac_f64_e32 v[86:87], v[62:63], v[76:77]
	v_add_f64 v[60:61], v[78:79], v[86:87]
	v_add_f64 v[62:63], v[60:61], -v[78:79]
	v_add_f64 v[64:65], v[82:83], v[60:61]
	v_add_f64 v[62:63], v[86:87], -v[62:63]
	v_add_f64 v[76:77], v[64:65], -v[82:83]
	;; [unrolled: 1-line block ×3, first 2 shown]
	v_add_f64 v[62:63], v[84:85], v[62:63]
	v_add_f64 v[60:61], v[62:63], v[60:61]
	;; [unrolled: 1-line block ×3, first 2 shown]
	v_add_f64 v[64:65], v[62:63], -v[64:65]
	v_add_f64 v[60:61], v[60:61], -v[64:65]
	v_add_f64 v[64:65], v[74:75], v[62:63]
	v_add_f64 v[76:77], v[64:65], -v[74:75]
	v_add_f64 v[78:79], v[64:65], -v[76:77]
	;; [unrolled: 1-line block ×4, first 2 shown]
	v_add_f64 v[62:63], v[62:63], v[74:75]
	v_add_f64 v[74:75], v[80:81], v[60:61]
	v_add_f64 v[76:77], v[74:75], -v[80:81]
	v_add_f64 v[62:63], v[74:75], v[62:63]
	v_add_f64 v[78:79], v[74:75], -v[76:77]
	;; [unrolled: 2-line block ×3, first 2 shown]
	v_add_f64 v[60:61], v[60:61], -v[76:77]
	v_add_f64 v[64:65], v[74:75], -v[64:65]
	v_add_f64 v[60:61], v[60:61], v[78:79]
	v_add_f64 v[62:63], v[62:63], -v[64:65]
	v_add_f64 v[60:61], v[60:61], v[62:63]
	v_add_f64 v[62:63], v[74:75], v[60:61]
	v_add_f64 v[64:65], v[62:63], -v[74:75]
	v_add_f64 v[60:61], v[60:61], -v[64:65]
	v_mul_f64 v[64:65], v[56:57], v[62:63]
	v_fma_f64 v[62:63], v[56:57], v[62:63], -v[64:65]
	v_fmac_f64_e32 v[62:63], v[56:57], v[60:61]
	v_add_f64 v[60:61], v[64:65], v[62:63]
	v_cmp_class_f64_e64 s[0:1], v[64:65], s64
	v_add_f64 v[74:75], v[60:61], -v[64:65]
	v_cndmask_b32_e64 v61, v61, v65, s[0:1]
	v_cndmask_b32_e64 v60, v60, v64, s[0:1]
	v_mul_f64 v[64:65], v[60:61], s[50:51]
	v_rndne_f64_e32 v[64:65], v[64:65]
	s_mov_b32 s52, s36
	v_add_f64 v[62:63], v[62:63], -v[74:75]
	v_fma_f64 v[74:75], s[52:53], v[64:65], v[60:61]
	s_mov_b32 s54, s38
	v_fmac_f64_e32 v[74:75], s[54:55], v[64:65]
	v_pk_mov_b32 v[76:77], v[26:27], v[26:27] op_sel:[0,1]
	v_fmac_f64_e32 v[76:77], s[56:57], v[74:75]
	v_pk_mov_b32 v[78:79], v[28:29], v[28:29] op_sel:[0,1]
	v_fmac_f64_e32 v[78:79], v[74:75], v[76:77]
	v_pk_mov_b32 v[76:77], v[30:31], v[30:31] op_sel:[0,1]
	v_fmac_f64_e32 v[76:77], v[74:75], v[78:79]
	v_pk_mov_b32 v[78:79], v[32:33], v[32:33] op_sel:[0,1]
	v_fmac_f64_e32 v[78:79], v[74:75], v[76:77]
	v_pk_mov_b32 v[76:77], v[34:35], v[34:35] op_sel:[0,1]
	v_fmac_f64_e32 v[76:77], v[74:75], v[78:79]
	v_pk_mov_b32 v[78:79], v[36:37], v[36:37] op_sel:[0,1]
	v_fmac_f64_e32 v[78:79], v[74:75], v[76:77]
	v_pk_mov_b32 v[76:77], v[38:39], v[38:39] op_sel:[0,1]
	v_fmac_f64_e32 v[76:77], v[74:75], v[78:79]
	v_pk_mov_b32 v[78:79], v[40:41], v[40:41] op_sel:[0,1]
	v_fmac_f64_e32 v[78:79], v[74:75], v[76:77]
	v_pk_mov_b32 v[76:77], v[42:43], v[42:43] op_sel:[0,1]
	v_fmac_f64_e32 v[76:77], v[74:75], v[78:79]
	v_fma_f64 v[76:77], v[74:75], v[76:77], 1.0
	v_cmp_neq_f64_e64 s[0:1], |v[60:61]|, s[30:31]
	v_fma_f64 v[74:75], v[74:75], v[76:77], 1.0
	v_cvt_i32_f64_e32 v3, v[64:65]
	v_cndmask_b32_e64 v63, 0, v63, s[0:1]
	v_cndmask_b32_e64 v62, 0, v62, s[0:1]
	v_ldexp_f64 v[64:65], v[74:75], v3
	v_cmp_lt_f64_e64 s[0:1], s[48:49], v[60:61]
	v_cndmask_b32_e64 v3, v64, 0, s[0:1]
	v_cndmask_b32_e64 v74, v65, v72, s[0:1]
	v_cmp_ngt_f64_e64 s[2:3], s[46:47], v[60:61]
	v_and_b32_e32 v65, 0x7fffffff, v65
	v_cndmask_b32_e64 v61, 0, v74, s[2:3]
	v_cndmask_b32_e64 v60, 0, v3, s[2:3]
	v_cmp_eq_f64_e64 s[6:7], s[30:31], v[64:65]
	v_pk_mov_b32 v[74:75], v[60:61], v[60:61] op_sel:[0,1]
	s_or_b64 s[0:1], s[0:1], s[6:7]
	v_fmac_f64_e32 v[74:75], v[74:75], v[62:63]
	s_and_b64 s[0:1], s[2:3], s[0:1]
	v_mul_f64 v[62:63], v[56:57], 0.5
	v_cndmask_b32_e64 v3, v74, v60, s[0:1]
	v_cndmask_b32_e64 v74, v75, v61, s[0:1]
	v_trunc_f64_e32 v[60:61], v[56:57]
	v_trunc_f64_e32 v[64:65], v[62:63]
	v_cmp_neq_f64_e64 s[0:1], v[64:65], v[62:63]
	v_cmp_eq_f64_e64 s[2:3], v[60:61], v[56:57]
	s_and_b64 s[0:1], s[2:3], s[0:1]
	v_cndmask_b32_e64 v61, v71, v59, s[0:1]
	v_bfi_b32 v61, s63, v74, v61
	v_cndmask_b32_e64 v60, 0, v3, s[2:3]
	v_cndmask_b32_e64 v62, v73, v61, s[2:3]
	v_cmp_gt_f64_e64 s[2:3], 0, v[58:59]
	v_cndmask_b32_e64 v62, v61, v62, s[2:3]
	v_cndmask_b32_e64 v3, v3, v60, s[2:3]
	s_and_b32 s2, s21, 0x7fffffff
	v_mov_b32_e32 v60, s2
	v_cndmask_b32_e32 v61, v60, v71, vcc
	v_mov_b32_e32 v60, s20
	v_cndmask_b32_e64 v60, v60, 0, vcc
	v_cmp_neq_f64_e32 vcc, v[56:57], v[60:61]
	v_cmp_gt_f64_e64 s[2:3], 1.0, v[54:55]
	s_xor_b64 s[2:3], vcc, s[2:3]
	v_cndmask_b32_e64 v63, v60, 0, s[2:3]
	v_cndmask_b32_e64 v64, v61, 0, s[2:3]
	v_cmp_eq_f64_e32 vcc, 1.0, v[54:55]
	v_cmp_eq_f64_e64 s[2:3], 0, v[58:59]
	v_cmp_gt_f64_e64 s[6:7], 0, v[56:57]
	v_cndmask_b32_e32 v64, v64, v55, vcc
	v_cndmask_b32_e32 v63, v63, v54, vcc
	v_cmp_eq_f64_e32 vcc, s[30:31], v[60:61]
	s_xor_b64 s[6:7], s[6:7], s[2:3]
	v_cndmask_b32_e32 v3, v3, v63, vcc
	v_cndmask_b32_e32 v60, v62, v64, vcc
	v_cmp_eq_f64_e32 vcc, s[30:31], v[54:55]
	v_cndmask_b32_e64 v54, v72, 0, s[6:7]
	v_cndmask_b32_e64 v55, 0, v59, s[0:1]
	v_bfi_b32 v54, s63, v54, v55
	s_or_b64 vcc, vcc, s[2:3]
	v_cndmask_b32_e32 v55, v60, v54, vcc
	v_cndmask_b32_e64 v3, v3, 0, vcc
	v_cmp_o_f64_e32 vcc, v[58:59], v[56:57]
	v_cndmask_b32_e32 v54, 0, v3, vcc
	v_cndmask_b32_e32 v55, v73, v55, vcc
	v_mov_b32_e32 v3, s25
	v_add_co_u32_e32 v56, vcc, s24, v6
	v_addc_co_u32_e32 v57, vcc, v5, v3, vcc
	global_store_dwordx2 v[56:57], v[54:55], off
	s_branch .LBB66_3
.LBB66_20:
	s_mov_b64 s[6:7], 0
.LBB66_21:
	s_andn2_b64 vcc, exec, s[6:7]
	s_cbranch_vccnz .LBB66_25
; %bb.22:
	v_mov_b32_e32 v2, 0
	v_lshlrev_b32_e32 v4, 2, v0
	v_mov_b32_e32 v5, v2
	s_mov_b32 s0, 0
	v_cmp_gt_i64_e32 vcc, s[22:23], v[4:5]
	s_and_saveexec_b64 s[2:3], vcc
	s_cbranch_execz .LBB66_25
; %bb.23:
	s_load_dword s1, s[4:5], 0xc64
	s_mov_b32 s2, 0x968915a9
	s_mov_b32 s3, 0x3fba6564
	v_pk_mov_b32 v[6:7], s[2:3], s[2:3] op_sel:[0,1]
	s_mov_b32 s2, 0xfca7ab0c
	s_waitcnt lgkmcnt(0)
	s_and_b32 s1, s1, 0xffff
	s_mov_b32 s18, 0x55555555
	s_mov_b32 s24, 0x4222de17
	;; [unrolled: 1-line block ×28, first 2 shown]
	v_mov_b32_e32 v1, v2
	v_lshlrev_b32_e32 v4, 5, v0
	v_add_lshl_u32 v0, v0, s1, 2
	s_lshl_b32 s89, s1, 2
	s_lshl_b32 s90, s1, 5
	s_mov_b64 s[16:17], 0
	v_mov_b32_e32 v5, s21
	v_mov_b32_e32 v52, 0x3ff00000
	;; [unrolled: 1-line block ×3, first 2 shown]
	s_brev_b32 s91, -2
	s_mov_b32 s19, 0x3fe55555
	s_mov_b32 s25, 0x3fbdee67
	;; [unrolled: 1-line block ×16, first 2 shown]
	s_movk_i32 s92, 0x204
	s_mov_b32 s55, 0x7ff00000
	s_mov_b32 s57, 0x3ff71547
	;; [unrolled: 1-line block ×3, first 2 shown]
	v_pk_mov_b32 v[8:9], s[2:3], s[2:3] op_sel:[0,1]
	s_mov_b32 s61, 0x3ec71dee
	s_mov_b32 s63, 0x3efa0199
	;; [unrolled: 1-line block ×9, first 2 shown]
	v_mov_b32_e32 v54, 0x7ff00000
	s_mov_b32 s79, 0xc090cc00
	v_mov_b32_e32 v55, 0x7ff80000
	s_mov_b64 s[80:81], 0xffff
	v_mov_b32_e32 v56, s0
.LBB66_24:                              ; =>This Inner Loop Header: Depth=1
	v_cmp_le_i64_e64 s[0:1], s[22:23], v[0:1]
	v_cmp_lt_u64_e64 s[2:3], s[80:81], v[0:1]
	v_add_co_u32_e64 v0, s[4:5], s89, v0
	v_addc_co_u32_e64 v1, s[4:5], v1, v56, s[4:5]
	v_mov_b32_e32 v3, s86
	v_add_co_u32_e64 v12, s[4:5], s33, v4
	v_addc_co_u32_e64 v13, s[4:5], 0, v3, s[4:5]
	global_load_dwordx4 v[24:27], v[12:13], off
	global_load_dwordx4 v[36:39], v[12:13], off offset:16
	v_mov_b32_e32 v11, s88
	v_add_co_u32_e32 v10, vcc, s87, v4
	v_addc_co_u32_e32 v11, vcc, 0, v11, vcc
	s_and_b32 s6, s21, 0x7fffffff
	s_or_b64 s[82:83], s[0:1], s[2:3]
	v_mov_b32_e32 v14, s20
	v_mov_b32_e32 v3, s6
	s_waitcnt vmcnt(1)
	v_cmp_eq_f64_e32 vcc, 1.0, v[24:25]
	v_cmp_eq_f64_e64 s[0:1], 1.0, v[26:27]
	v_cndmask_b32_e32 v21, v5, v52, vcc
	v_cndmask_b32_e64 v19, v5, v52, s[0:1]
	s_waitcnt vmcnt(0)
	v_cmp_eq_f64_e64 s[2:3], 1.0, v[36:37]
	v_cmp_eq_f64_e64 s[4:5], 1.0, v[38:39]
	v_cndmask_b32_e64 v20, v53, 0, vcc
	v_cndmask_b32_e64 v18, v53, 0, s[0:1]
	v_and_b32_e32 v40, 0x7fffffff, v27
	v_cndmask_b32_e64 v17, v5, v52, s[2:3]
	v_cndmask_b32_e64 v13, v5, v52, s[4:5]
	v_cndmask_b32_e32 v35, v3, v52, vcc
	v_cndmask_b32_e64 v34, v14, 0, vcc
	v_cndmask_b32_e64 v16, v53, 0, s[2:3]
	v_cndmask_b32_e64 v29, v3, v52, s[2:3]
	;; [unrolled: 1-line block ×4, first 2 shown]
	v_cmp_eq_f64_e32 vcc, 0, v[20:21]
	v_cmp_eq_f64_e64 s[2:3], 0, v[18:19]
	v_and_b32_e32 v15, 0x7fffffff, v25
	v_and_b32_e32 v42, 0x7fffffff, v37
	v_cndmask_b32_e64 v23, v3, v52, s[4:5]
	v_cndmask_b32_e64 v22, v14, 0, s[4:5]
	v_cndmask_b32_e32 v31, v25, v52, vcc
	v_cndmask_b32_e64 v27, v27, v52, s[2:3]
	v_cmp_eq_f64_e64 s[4:5], 0, v[16:17]
	v_cndmask_b32_e64 v30, v24, 0, vcc
	v_cndmask_b32_e64 v26, v26, 0, s[2:3]
	v_cndmask_b32_e64 v41, v40, v52, s[2:3]
	v_cmp_eq_f64_e64 s[2:3], 0, v[12:13]
	v_and_b32_e32 v44, 0x7fffffff, v39
	v_cndmask_b32_e64 v33, v3, v52, s[0:1]
	v_cndmask_b32_e64 v32, v14, 0, s[0:1]
	v_cmp_gt_f64_e64 s[0:1], 0, v[20:21]
	v_cndmask_b32_e64 v25, v37, v52, s[4:5]
	v_cndmask_b32_e32 v43, v15, v52, vcc
	v_cndmask_b32_e64 v15, v39, v52, s[2:3]
	v_cndmask_b32_e64 v24, v36, 0, s[4:5]
	;; [unrolled: 1-line block ×3, first 2 shown]
	v_cmp_eq_f64_e64 s[4:5], 0, v[30:31]
	v_cmp_gt_f64_e64 s[10:11], 0, v[18:19]
	v_cndmask_b32_e64 v14, v38, 0, s[2:3]
	v_cndmask_b32_e64 v37, v44, v52, s[2:3]
	s_xor_b64 s[0:1], s[0:1], s[4:5]
	v_cmp_eq_f64_e64 s[2:3], 0, v[26:27]
	v_cndmask_b32_e64 v58, v54, 0, s[0:1]
	s_xor_b64 s[0:1], s[10:11], s[2:3]
	v_cmp_gt_f64_e32 vcc, 0, v[16:17]
	v_cndmask_b32_e64 v59, v54, 0, s[0:1]
	v_cmp_eq_f64_e64 s[0:1], 0, v[24:25]
	v_cmp_gt_f64_e64 s[14:15], 0, v[12:13]
	s_xor_b64 s[10:11], vcc, s[0:1]
	v_cmp_eq_f64_e32 vcc, 0, v[14:15]
	v_mov_b32_e32 v42, v30
	v_cndmask_b32_e64 v60, v54, 0, s[10:11]
	s_xor_b64 s[10:11], s[14:15], vcc
	v_cmp_neq_f64_e64 s[6:7], v[20:21], v[34:35]
	v_mov_b32_e32 v40, v26
	v_cndmask_b32_e64 v57, v54, 0, s[10:11]
	v_cmp_gt_f64_e64 s[10:11], 1.0, v[42:43]
	v_cmp_neq_f64_e64 s[8:9], v[18:19], v[32:33]
	v_mov_b32_e32 v38, v24
	s_xor_b64 s[14:15], s[6:7], s[10:11]
	v_cmp_gt_f64_e64 s[6:7], 1.0, v[40:41]
	v_cmp_neq_f64_e64 s[12:13], v[16:17], v[28:29]
	s_xor_b64 s[84:85], s[8:9], s[6:7]
	v_cmp_gt_f64_e64 s[6:7], 1.0, v[38:39]
	v_mov_b32_e32 v36, v14
	s_xor_b64 s[10:11], s[12:13], s[6:7]
	v_cmp_neq_f64_e64 s[6:7], v[12:13], v[22:23]
	v_cmp_gt_f64_e64 s[8:9], 1.0, v[36:37]
	v_frexp_mant_f64_e32 v[44:45], v[42:43]
	s_xor_b64 s[12:13], s[6:7], s[8:9]
	v_frexp_exp_i32_f64_e32 v46, v[42:43]
	v_cmp_gt_f64_e64 s[6:7], s[18:19], v[44:45]
	v_cndmask_b32_e64 v3, v52, 2.0, s[6:7]
	v_subbrev_co_u32_e64 v61, s[6:7], 0, v46, s[6:7]
	v_frexp_mant_f64_e32 v[46:47], v[40:41]
	v_frexp_exp_i32_f64_e32 v48, v[40:41]
	v_cmp_gt_f64_e64 s[6:7], s[18:19], v[46:47]
	v_mul_f64 v[44:45], v[44:45], v[2:3]
	v_cndmask_b32_e64 v3, v52, 2.0, s[6:7]
	v_subbrev_co_u32_e64 v82, s[6:7], 0, v48, s[6:7]
	v_frexp_mant_f64_e32 v[48:49], v[38:39]
	v_frexp_exp_i32_f64_e32 v62, v[38:39]
	v_cmp_gt_f64_e64 s[6:7], s[18:19], v[48:49]
	v_mul_f64 v[50:51], v[46:47], v[2:3]
	;; [unrolled: 6-line block ×3, first 2 shown]
	v_cndmask_b32_e64 v3, v52, 2.0, s[6:7]
	v_subbrev_co_u32_e64 v90, s[6:7], 0, v64, s[6:7]
	v_add_f64 v[64:65], v[44:45], 1.0
	v_cvt_f64_i32_e32 v[66:67], v61
	v_rcp_f64_e32 v[70:71], v[64:65]
	v_add_f64 v[68:69], v[64:65], -1.0
	v_mul_f64 v[72:73], v[66:67], s[42:43]
	v_add_f64 v[48:49], v[44:45], -1.0
	v_add_f64 v[44:45], v[44:45], -v[68:69]
	v_fma_f64 v[68:69], v[66:67], s[42:43], -v[72:73]
	v_fmac_f64_e32 v[68:69], s[46:47], v[66:67]
	v_add_f64 v[66:67], v[72:73], v[68:69]
	v_fma_f64 v[74:75], -v[64:65], v[70:71], 1.0
	v_add_f64 v[72:73], v[66:67], -v[72:73]
	v_fmac_f64_e32 v[70:71], v[74:75], v[70:71]
	v_add_f64 v[68:69], v[68:69], -v[72:73]
	v_fma_f64 v[72:73], -v[64:65], v[70:71], 1.0
	v_fmac_f64_e32 v[70:71], v[72:73], v[70:71]
	v_mul_f64 v[72:73], v[48:49], v[70:71]
	v_mul_f64 v[74:75], v[64:65], v[72:73]
	v_fma_f64 v[64:65], v[72:73], v[64:65], -v[74:75]
	v_fmac_f64_e32 v[64:65], v[72:73], v[44:45]
	v_add_f64 v[44:45], v[74:75], v[64:65]
	v_add_f64 v[76:77], v[48:49], -v[44:45]
	v_add_f64 v[74:75], v[44:45], -v[74:75]
	;; [unrolled: 1-line block ×5, first 2 shown]
	v_add_f64 v[44:45], v[64:65], v[44:45]
	v_add_f64 v[44:45], v[76:77], v[44:45]
	v_mul_f64 v[44:45], v[70:71], v[44:45]
	v_add_f64 v[48:49], v[72:73], v[44:45]
	v_add_f64 v[64:65], v[48:49], -v[72:73]
	v_mul_f64 v[70:71], v[48:49], v[48:49]
	v_add_f64 v[44:45], v[44:45], -v[64:65]
	v_fma_f64 v[64:65], v[48:49], v[48:49], -v[70:71]
	v_add_f64 v[74:75], v[44:45], v[44:45]
	v_fmac_f64_e32 v[64:65], v[48:49], v[74:75]
	v_add_f64 v[74:75], v[70:71], v[64:65]
	v_add_f64 v[70:71], v[74:75], -v[70:71]
	v_fma_f64 v[78:79], s[24:25], v[74:75], v[6:7]
	v_mul_f64 v[80:81], v[48:49], v[74:75]
	v_add_f64 v[64:65], v[64:65], -v[70:71]
	v_fma_f64 v[70:71], v[74:75], v[78:79], s[26:27]
	v_fma_f64 v[78:79], v[74:75], v[48:49], -v[80:81]
	v_fma_f64 v[70:71], v[74:75], v[70:71], s[28:29]
	v_ldexp_f64 v[76:77], v[44:45], 1
	v_fmac_f64_e32 v[78:79], v[74:75], v[44:45]
	v_fma_f64 v[44:45], v[74:75], v[70:71], s[30:31]
	v_fma_f64 v[44:45], v[74:75], v[44:45], s[34:35]
	v_fmac_f64_e32 v[78:79], v[64:65], v[48:49]
	v_fma_f64 v[44:45], v[74:75], v[44:45], s[36:37]
	v_ldexp_f64 v[72:73], v[48:49], 1
	v_add_f64 v[48:49], v[80:81], v[78:79]
	v_fma_f64 v[44:45], v[74:75], v[44:45], s[38:39]
	v_add_f64 v[70:71], v[48:49], -v[80:81]
	v_fma_f64 v[44:45], v[74:75], v[44:45], s[40:41]
	v_add_f64 v[70:71], v[78:79], -v[70:71]
	v_mul_f64 v[78:79], v[74:75], v[44:45]
	v_fma_f64 v[74:75], v[74:75], v[44:45], -v[78:79]
	v_fmac_f64_e32 v[74:75], v[64:65], v[44:45]
	v_add_f64 v[44:45], v[78:79], v[74:75]
	v_add_f64 v[64:65], v[44:45], -v[78:79]
	v_add_f64 v[78:79], v[44:45], s[18:19]
	v_add_f64 v[64:65], v[74:75], -v[64:65]
	;; [unrolled: 2-line block ×3, first 2 shown]
	v_add_f64 v[64:65], v[64:65], s[52:53]
	v_add_f64 v[44:45], v[64:65], v[44:45]
	;; [unrolled: 1-line block ×3, first 2 shown]
	v_add_f64 v[74:75], v[78:79], -v[64:65]
	v_mul_f64 v[78:79], v[48:49], v[64:65]
	v_add_f64 v[44:45], v[44:45], v[74:75]
	v_fma_f64 v[74:75], v[48:49], v[64:65], -v[78:79]
	v_fmac_f64_e32 v[74:75], v[48:49], v[44:45]
	v_fmac_f64_e32 v[74:75], v[70:71], v[64:65]
	v_add_f64 v[44:45], v[78:79], v[74:75]
	v_add_f64 v[48:49], v[44:45], -v[78:79]
	v_add_f64 v[64:65], v[72:73], v[44:45]
	v_add_f64 v[48:49], v[74:75], -v[48:49]
	v_add_f64 v[70:71], v[64:65], -v[72:73]
	;; [unrolled: 1-line block ×3, first 2 shown]
	v_add_f64 v[48:49], v[76:77], v[48:49]
	v_add_f64 v[44:45], v[48:49], v[44:45]
	v_add_f64 v[48:49], v[64:65], v[44:45]
	v_add_f64 v[64:65], v[48:49], -v[64:65]
	v_add_f64 v[70:71], v[66:67], v[48:49]
	v_add_f64 v[44:45], v[44:45], -v[64:65]
	v_add_f64 v[64:65], v[70:71], -v[66:67]
	;; [unrolled: 1-line block ×4, first 2 shown]
	v_add_f64 v[64:65], v[68:69], v[44:45]
	v_add_f64 v[66:67], v[66:67], -v[72:73]
	v_add_f64 v[72:73], v[64:65], -v[68:69]
	v_add_f64 v[48:49], v[48:49], v[66:67]
	v_add_f64 v[66:67], v[64:65], -v[72:73]
	v_add_f64 v[48:49], v[64:65], v[48:49]
	v_add_f64 v[44:45], v[44:45], -v[72:73]
	v_add_f64 v[66:67], v[68:69], -v[66:67]
	v_add_f64 v[64:65], v[70:71], v[48:49]
	v_add_f64 v[44:45], v[44:45], v[66:67]
	v_add_f64 v[66:67], v[64:65], -v[70:71]
	v_add_f64 v[48:49], v[48:49], -v[66:67]
	v_add_f64 v[72:73], v[50:51], 1.0
	v_add_f64 v[44:45], v[44:45], v[48:49]
	v_rcp_f64_e32 v[78:79], v[72:73]
	v_add_f64 v[48:49], v[64:65], v[44:45]
	v_add_f64 v[64:65], v[48:49], -v[64:65]
	v_mul_f64 v[66:67], v[20:21], v[48:49]
	v_add_f64 v[44:45], v[44:45], -v[64:65]
	v_fma_f64 v[64:65], v[20:21], v[48:49], -v[66:67]
	v_cvt_f64_i32_e32 v[48:49], v82
	v_add_f64 v[76:77], v[72:73], -1.0
	v_add_f64 v[70:71], v[50:51], -1.0
	v_mul_f64 v[74:75], v[48:49], s[42:43]
	v_add_f64 v[50:51], v[50:51], -v[76:77]
	v_fma_f64 v[76:77], -v[72:73], v[78:79], 1.0
	v_fma_f64 v[80:81], v[48:49], s[42:43], -v[74:75]
	v_fmac_f64_e32 v[78:79], v[76:77], v[78:79]
	v_fmac_f64_e32 v[80:81], s[46:47], v[48:49]
	v_fma_f64 v[76:77], -v[72:73], v[78:79], 1.0
	v_add_f64 v[48:49], v[74:75], v[80:81]
	v_fmac_f64_e32 v[78:79], v[76:77], v[78:79]
	v_add_f64 v[74:75], v[48:49], -v[74:75]
	v_mul_f64 v[76:77], v[70:71], v[78:79]
	v_add_f64 v[74:75], v[80:81], -v[74:75]
	v_mul_f64 v[80:81], v[72:73], v[76:77]
	v_fma_f64 v[72:73], v[76:77], v[72:73], -v[80:81]
	v_fmac_f64_e32 v[72:73], v[76:77], v[50:51]
	v_add_f64 v[50:51], v[80:81], v[72:73]
	v_add_f64 v[82:83], v[70:71], -v[50:51]
	v_add_f64 v[80:81], v[50:51], -v[80:81]
	;; [unrolled: 1-line block ×5, first 2 shown]
	v_add_f64 v[50:51], v[72:73], v[50:51]
	v_add_f64 v[50:51], v[82:83], v[50:51]
	v_mul_f64 v[50:51], v[78:79], v[50:51]
	v_add_f64 v[70:71], v[76:77], v[50:51]
	v_add_f64 v[72:73], v[70:71], -v[76:77]
	v_mul_f64 v[76:77], v[70:71], v[70:71]
	v_add_f64 v[50:51], v[50:51], -v[72:73]
	v_fma_f64 v[72:73], v[70:71], v[70:71], -v[76:77]
	v_add_f64 v[80:81], v[50:51], v[50:51]
	v_fmac_f64_e32 v[72:73], v[70:71], v[80:81]
	v_add_f64 v[80:81], v[76:77], v[72:73]
	v_add_f64 v[76:77], v[80:81], -v[76:77]
	v_fma_f64 v[84:85], s[24:25], v[80:81], v[6:7]
	v_mul_f64 v[86:87], v[70:71], v[80:81]
	v_add_f64 v[72:73], v[72:73], -v[76:77]
	v_fma_f64 v[76:77], v[80:81], v[84:85], s[26:27]
	v_fma_f64 v[84:85], v[80:81], v[70:71], -v[86:87]
	v_fma_f64 v[76:77], v[80:81], v[76:77], s[28:29]
	v_ldexp_f64 v[82:83], v[50:51], 1
	v_fmac_f64_e32 v[84:85], v[80:81], v[50:51]
	v_fma_f64 v[50:51], v[80:81], v[76:77], s[30:31]
	v_fma_f64 v[50:51], v[80:81], v[50:51], s[34:35]
	v_fmac_f64_e32 v[84:85], v[72:73], v[70:71]
	v_fma_f64 v[50:51], v[80:81], v[50:51], s[36:37]
	v_ldexp_f64 v[78:79], v[70:71], 1
	v_add_f64 v[70:71], v[86:87], v[84:85]
	v_fma_f64 v[50:51], v[80:81], v[50:51], s[38:39]
	v_add_f64 v[76:77], v[70:71], -v[86:87]
	v_fma_f64 v[50:51], v[80:81], v[50:51], s[40:41]
	v_add_f64 v[76:77], v[84:85], -v[76:77]
	v_mul_f64 v[84:85], v[80:81], v[50:51]
	v_fma_f64 v[80:81], v[80:81], v[50:51], -v[84:85]
	v_fmac_f64_e32 v[80:81], v[72:73], v[50:51]
	v_add_f64 v[50:51], v[84:85], v[80:81]
	v_add_f64 v[72:73], v[50:51], -v[84:85]
	v_add_f64 v[84:85], v[50:51], s[18:19]
	v_add_f64 v[72:73], v[80:81], -v[72:73]
	;; [unrolled: 2-line block ×3, first 2 shown]
	v_add_f64 v[72:73], v[72:73], s[52:53]
	v_add_f64 v[50:51], v[72:73], v[50:51]
	;; [unrolled: 1-line block ×3, first 2 shown]
	v_add_f64 v[80:81], v[84:85], -v[72:73]
	v_mul_f64 v[84:85], v[70:71], v[72:73]
	v_add_f64 v[50:51], v[50:51], v[80:81]
	v_fma_f64 v[80:81], v[70:71], v[72:73], -v[84:85]
	v_fmac_f64_e32 v[80:81], v[70:71], v[50:51]
	v_fmac_f64_e32 v[80:81], v[76:77], v[72:73]
	v_add_f64 v[50:51], v[84:85], v[80:81]
	v_add_f64 v[70:71], v[50:51], -v[84:85]
	v_add_f64 v[72:73], v[78:79], v[50:51]
	v_add_f64 v[70:71], v[80:81], -v[70:71]
	v_add_f64 v[76:77], v[72:73], -v[78:79]
	;; [unrolled: 1-line block ×3, first 2 shown]
	v_add_f64 v[70:71], v[82:83], v[70:71]
	v_add_f64 v[50:51], v[70:71], v[50:51]
	v_add_f64 v[70:71], v[72:73], v[50:51]
	v_add_f64 v[72:73], v[70:71], -v[72:73]
	v_add_f64 v[76:77], v[48:49], v[70:71]
	v_add_f64 v[50:51], v[50:51], -v[72:73]
	v_add_f64 v[72:73], v[76:77], -v[48:49]
	;; [unrolled: 1-line block ×4, first 2 shown]
	v_add_f64 v[72:73], v[74:75], v[50:51]
	v_add_f64 v[48:49], v[48:49], -v[78:79]
	v_add_f64 v[78:79], v[72:73], -v[74:75]
	v_add_f64 v[48:49], v[70:71], v[48:49]
	v_add_f64 v[70:71], v[72:73], -v[78:79]
	v_add_f64 v[50:51], v[50:51], -v[78:79]
	;; [unrolled: 1-line block ×3, first 2 shown]
	v_add_f64 v[48:49], v[72:73], v[48:49]
	v_add_f64 v[50:51], v[50:51], v[70:71]
	;; [unrolled: 1-line block ×3, first 2 shown]
	v_add_f64 v[72:73], v[70:71], -v[76:77]
	v_add_f64 v[48:49], v[48:49], -v[72:73]
	v_add_f64 v[48:49], v[50:51], v[48:49]
	v_fmac_f64_e32 v[64:65], v[20:21], v[44:45]
	v_add_f64 v[50:51], v[70:71], v[48:49]
	v_add_f64 v[68:69], v[66:67], v[64:65]
	v_cmp_class_f64_e64 s[6:7], v[66:67], s92
	v_add_f64 v[70:71], v[50:51], -v[70:71]
	v_mul_f64 v[72:73], v[18:19], v[50:51]
	v_cndmask_b32_e64 v45, v69, v67, s[6:7]
	v_cndmask_b32_e64 v44, v68, v66, s[6:7]
	v_add_f64 v[48:49], v[48:49], -v[70:71]
	v_fma_f64 v[70:71], v[18:19], v[50:51], -v[72:73]
	v_add_f64 v[50:51], v[68:69], -v[66:67]
	v_add_f64 v[68:69], v[62:63], 1.0
	v_rcp_f64_e32 v[80:81], v[68:69]
	v_add_f64 v[50:51], v[64:65], -v[50:51]
	v_cvt_f64_i32_e32 v[64:65], v88
	v_add_f64 v[78:79], v[68:69], -1.0
	v_add_f64 v[66:67], v[62:63], -1.0
	v_mul_f64 v[76:77], v[64:65], s[42:43]
	v_add_f64 v[62:63], v[62:63], -v[78:79]
	v_fma_f64 v[78:79], -v[68:69], v[80:81], 1.0
	v_fma_f64 v[82:83], v[64:65], s[42:43], -v[76:77]
	v_fmac_f64_e32 v[80:81], v[78:79], v[80:81]
	v_fmac_f64_e32 v[82:83], s[46:47], v[64:65]
	v_fma_f64 v[78:79], -v[68:69], v[80:81], 1.0
	v_add_f64 v[64:65], v[76:77], v[82:83]
	v_fmac_f64_e32 v[80:81], v[78:79], v[80:81]
	v_add_f64 v[76:77], v[64:65], -v[76:77]
	v_mul_f64 v[78:79], v[66:67], v[80:81]
	v_add_f64 v[76:77], v[82:83], -v[76:77]
	v_mul_f64 v[82:83], v[68:69], v[78:79]
	v_fma_f64 v[68:69], v[78:79], v[68:69], -v[82:83]
	v_fmac_f64_e32 v[68:69], v[78:79], v[62:63]
	v_add_f64 v[62:63], v[82:83], v[68:69]
	v_add_f64 v[84:85], v[66:67], -v[62:63]
	v_add_f64 v[82:83], v[62:63], -v[82:83]
	;; [unrolled: 1-line block ×5, first 2 shown]
	v_add_f64 v[62:63], v[68:69], v[62:63]
	v_add_f64 v[62:63], v[84:85], v[62:63]
	v_mul_f64 v[62:63], v[80:81], v[62:63]
	v_add_f64 v[66:67], v[78:79], v[62:63]
	v_add_f64 v[68:69], v[66:67], -v[78:79]
	v_mul_f64 v[78:79], v[66:67], v[66:67]
	v_add_f64 v[62:63], v[62:63], -v[68:69]
	v_fma_f64 v[68:69], v[66:67], v[66:67], -v[78:79]
	v_add_f64 v[82:83], v[62:63], v[62:63]
	v_fmac_f64_e32 v[68:69], v[66:67], v[82:83]
	v_add_f64 v[82:83], v[78:79], v[68:69]
	v_add_f64 v[78:79], v[82:83], -v[78:79]
	v_fma_f64 v[86:87], s[24:25], v[82:83], v[6:7]
	v_mul_f64 v[88:89], v[66:67], v[82:83]
	v_add_f64 v[68:69], v[68:69], -v[78:79]
	v_fma_f64 v[78:79], v[82:83], v[86:87], s[26:27]
	v_fma_f64 v[86:87], v[82:83], v[66:67], -v[88:89]
	v_fma_f64 v[78:79], v[82:83], v[78:79], s[28:29]
	v_ldexp_f64 v[84:85], v[62:63], 1
	v_fmac_f64_e32 v[86:87], v[82:83], v[62:63]
	v_fma_f64 v[62:63], v[82:83], v[78:79], s[30:31]
	v_fma_f64 v[62:63], v[82:83], v[62:63], s[34:35]
	v_fmac_f64_e32 v[86:87], v[68:69], v[66:67]
	v_fma_f64 v[62:63], v[82:83], v[62:63], s[36:37]
	v_ldexp_f64 v[80:81], v[66:67], 1
	v_add_f64 v[66:67], v[88:89], v[86:87]
	v_fma_f64 v[62:63], v[82:83], v[62:63], s[38:39]
	v_add_f64 v[78:79], v[66:67], -v[88:89]
	v_fma_f64 v[62:63], v[82:83], v[62:63], s[40:41]
	v_add_f64 v[78:79], v[86:87], -v[78:79]
	v_mul_f64 v[86:87], v[82:83], v[62:63]
	v_fma_f64 v[82:83], v[82:83], v[62:63], -v[86:87]
	v_fmac_f64_e32 v[82:83], v[68:69], v[62:63]
	v_add_f64 v[62:63], v[86:87], v[82:83]
	v_add_f64 v[68:69], v[62:63], -v[86:87]
	v_add_f64 v[86:87], v[62:63], s[18:19]
	v_add_f64 v[68:69], v[82:83], -v[68:69]
	;; [unrolled: 2-line block ×3, first 2 shown]
	v_add_f64 v[68:69], v[68:69], s[52:53]
	v_add_f64 v[62:63], v[68:69], v[62:63]
	;; [unrolled: 1-line block ×3, first 2 shown]
	v_add_f64 v[82:83], v[86:87], -v[68:69]
	v_mul_f64 v[86:87], v[66:67], v[68:69]
	v_add_f64 v[62:63], v[62:63], v[82:83]
	v_fma_f64 v[82:83], v[66:67], v[68:69], -v[86:87]
	v_fmac_f64_e32 v[82:83], v[66:67], v[62:63]
	v_fmac_f64_e32 v[82:83], v[78:79], v[68:69]
	v_add_f64 v[62:63], v[86:87], v[82:83]
	v_add_f64 v[66:67], v[62:63], -v[86:87]
	v_add_f64 v[68:69], v[80:81], v[62:63]
	v_add_f64 v[66:67], v[82:83], -v[66:67]
	v_add_f64 v[78:79], v[68:69], -v[80:81]
	;; [unrolled: 1-line block ×3, first 2 shown]
	v_add_f64 v[66:67], v[84:85], v[66:67]
	v_add_f64 v[62:63], v[66:67], v[62:63]
	;; [unrolled: 1-line block ×3, first 2 shown]
	v_add_f64 v[68:69], v[66:67], -v[68:69]
	v_add_f64 v[78:79], v[64:65], v[66:67]
	v_add_f64 v[62:63], v[62:63], -v[68:69]
	v_add_f64 v[68:69], v[78:79], -v[64:65]
	;; [unrolled: 1-line block ×4, first 2 shown]
	v_add_f64 v[68:69], v[76:77], v[62:63]
	v_add_f64 v[64:65], v[64:65], -v[80:81]
	v_add_f64 v[80:81], v[68:69], -v[76:77]
	v_add_f64 v[64:65], v[66:67], v[64:65]
	v_add_f64 v[66:67], v[68:69], -v[80:81]
	v_mul_f64 v[46:47], v[46:47], v[2:3]
	v_add_f64 v[66:67], v[76:77], -v[66:67]
	v_add_f64 v[76:77], v[46:47], 1.0
	v_fmac_f64_e32 v[70:71], v[18:19], v[48:49]
	v_rcp_f64_e32 v[82:83], v[76:77]
	v_add_f64 v[74:75], v[72:73], v[70:71]
	v_cmp_class_f64_e64 s[6:7], v[72:73], s92
	v_cndmask_b32_e64 v49, v75, v73, s[6:7]
	v_cndmask_b32_e64 v48, v74, v72, s[6:7]
	v_add_f64 v[62:63], v[62:63], -v[80:81]
	v_add_f64 v[64:65], v[68:69], v[64:65]
	v_add_f64 v[72:73], v[74:75], -v[72:73]
	v_add_f64 v[62:63], v[62:63], v[66:67]
	v_add_f64 v[66:67], v[78:79], v[64:65]
	v_add_f64 v[70:71], v[70:71], -v[72:73]
	v_cvt_f64_i32_e32 v[72:73], v90
	v_add_f64 v[80:81], v[76:77], -1.0
	v_add_f64 v[68:69], v[66:67], -v[78:79]
	v_add_f64 v[74:75], v[46:47], -1.0
	v_mul_f64 v[78:79], v[72:73], s[42:43]
	v_add_f64 v[46:47], v[46:47], -v[80:81]
	v_fma_f64 v[80:81], -v[76:77], v[82:83], 1.0
	v_fma_f64 v[84:85], v[72:73], s[42:43], -v[78:79]
	v_fmac_f64_e32 v[82:83], v[80:81], v[82:83]
	v_fmac_f64_e32 v[84:85], s[46:47], v[72:73]
	v_fma_f64 v[80:81], -v[76:77], v[82:83], 1.0
	v_add_f64 v[72:73], v[78:79], v[84:85]
	v_fmac_f64_e32 v[82:83], v[80:81], v[82:83]
	v_add_f64 v[78:79], v[72:73], -v[78:79]
	v_mul_f64 v[80:81], v[74:75], v[82:83]
	v_add_f64 v[78:79], v[84:85], -v[78:79]
	v_mul_f64 v[84:85], v[76:77], v[80:81]
	v_fma_f64 v[76:77], v[80:81], v[76:77], -v[84:85]
	v_fmac_f64_e32 v[76:77], v[80:81], v[46:47]
	v_add_f64 v[46:47], v[84:85], v[76:77]
	v_add_f64 v[86:87], v[74:75], -v[46:47]
	v_add_f64 v[84:85], v[46:47], -v[84:85]
	;; [unrolled: 1-line block ×5, first 2 shown]
	v_add_f64 v[46:47], v[76:77], v[46:47]
	v_add_f64 v[46:47], v[86:87], v[46:47]
	v_mul_f64 v[46:47], v[82:83], v[46:47]
	v_add_f64 v[74:75], v[80:81], v[46:47]
	v_add_f64 v[76:77], v[74:75], -v[80:81]
	v_mul_f64 v[80:81], v[74:75], v[74:75]
	v_add_f64 v[46:47], v[46:47], -v[76:77]
	v_fma_f64 v[76:77], v[74:75], v[74:75], -v[80:81]
	v_add_f64 v[84:85], v[46:47], v[46:47]
	v_fmac_f64_e32 v[76:77], v[74:75], v[84:85]
	v_add_f64 v[84:85], v[80:81], v[76:77]
	v_add_f64 v[80:81], v[84:85], -v[80:81]
	v_fma_f64 v[88:89], s[24:25], v[84:85], v[6:7]
	v_mul_f64 v[90:91], v[74:75], v[84:85]
	v_add_f64 v[76:77], v[76:77], -v[80:81]
	v_fma_f64 v[80:81], v[84:85], v[88:89], s[26:27]
	v_fma_f64 v[88:89], v[84:85], v[74:75], -v[90:91]
	v_fma_f64 v[80:81], v[84:85], v[80:81], s[28:29]
	v_ldexp_f64 v[86:87], v[46:47], 1
	v_fmac_f64_e32 v[88:89], v[84:85], v[46:47]
	v_fma_f64 v[46:47], v[84:85], v[80:81], s[30:31]
	v_fma_f64 v[46:47], v[84:85], v[46:47], s[34:35]
	v_fmac_f64_e32 v[88:89], v[76:77], v[74:75]
	v_fma_f64 v[46:47], v[84:85], v[46:47], s[36:37]
	v_ldexp_f64 v[82:83], v[74:75], 1
	v_add_f64 v[74:75], v[90:91], v[88:89]
	v_fma_f64 v[46:47], v[84:85], v[46:47], s[38:39]
	v_add_f64 v[80:81], v[74:75], -v[90:91]
	v_fma_f64 v[46:47], v[84:85], v[46:47], s[40:41]
	v_add_f64 v[80:81], v[88:89], -v[80:81]
	v_mul_f64 v[88:89], v[84:85], v[46:47]
	v_fma_f64 v[84:85], v[84:85], v[46:47], -v[88:89]
	v_fmac_f64_e32 v[84:85], v[76:77], v[46:47]
	v_add_f64 v[46:47], v[88:89], v[84:85]
	v_add_f64 v[76:77], v[46:47], -v[88:89]
	v_add_f64 v[88:89], v[46:47], s[18:19]
	v_add_f64 v[76:77], v[84:85], -v[76:77]
	;; [unrolled: 2-line block ×3, first 2 shown]
	v_add_f64 v[76:77], v[76:77], s[52:53]
	v_add_f64 v[46:47], v[76:77], v[46:47]
	;; [unrolled: 1-line block ×3, first 2 shown]
	v_add_f64 v[84:85], v[88:89], -v[76:77]
	v_mul_f64 v[88:89], v[74:75], v[76:77]
	v_add_f64 v[46:47], v[46:47], v[84:85]
	v_fma_f64 v[84:85], v[74:75], v[76:77], -v[88:89]
	v_fmac_f64_e32 v[84:85], v[74:75], v[46:47]
	v_fmac_f64_e32 v[84:85], v[80:81], v[76:77]
	v_add_f64 v[64:65], v[64:65], -v[68:69]
	v_add_f64 v[46:47], v[88:89], v[84:85]
	v_add_f64 v[62:63], v[62:63], v[64:65]
	v_add_f64 v[74:75], v[46:47], -v[88:89]
	v_add_f64 v[76:77], v[82:83], v[46:47]
	v_add_f64 v[64:65], v[66:67], v[62:63]
	v_add_f64 v[74:75], v[84:85], -v[74:75]
	v_add_f64 v[80:81], v[76:77], -v[82:83]
	v_add_f64 v[66:67], v[64:65], -v[66:67]
	v_mul_f64 v[68:69], v[16:17], v[64:65]
	v_add_f64 v[46:47], v[46:47], -v[80:81]
	v_add_f64 v[74:75], v[86:87], v[74:75]
	v_add_f64 v[62:63], v[62:63], -v[66:67]
	v_fma_f64 v[64:65], v[16:17], v[64:65], -v[68:69]
	v_add_f64 v[46:47], v[74:75], v[46:47]
	v_cmp_neq_f64_e64 s[6:7], |v[44:45]|, s[54:55]
	v_fmac_f64_e32 v[64:65], v[16:17], v[62:63]
	v_add_f64 v[74:75], v[76:77], v[46:47]
	v_cndmask_b32_e64 v51, 0, v51, s[6:7]
	v_cndmask_b32_e64 v50, 0, v50, s[6:7]
	v_add_f64 v[62:63], v[68:69], v[64:65]
	v_cmp_class_f64_e64 s[6:7], v[68:69], s92
	v_add_f64 v[76:77], v[74:75], -v[76:77]
	v_add_f64 v[80:81], v[72:73], v[74:75]
	v_cndmask_b32_e64 v67, v63, v69, s[6:7]
	v_cndmask_b32_e64 v66, v62, v68, s[6:7]
	v_add_f64 v[46:47], v[46:47], -v[76:77]
	v_add_f64 v[76:77], v[80:81], -v[72:73]
	;; [unrolled: 1-line block ×5, first 2 shown]
	v_add_f64 v[76:77], v[78:79], v[46:47]
	v_add_f64 v[62:63], v[64:65], -v[62:63]
	v_mul_f64 v[64:65], v[44:45], s[56:57]
	v_add_f64 v[72:73], v[72:73], -v[82:83]
	v_add_f64 v[82:83], v[76:77], -v[78:79]
	v_rndne_f64_e32 v[64:65], v[64:65]
	v_add_f64 v[72:73], v[74:75], v[72:73]
	v_add_f64 v[74:75], v[76:77], -v[82:83]
	v_fma_f64 v[68:69], s[44:45], v[64:65], v[44:45]
	v_add_f64 v[46:47], v[46:47], -v[82:83]
	v_add_f64 v[74:75], v[78:79], -v[74:75]
	v_add_f64 v[72:73], v[76:77], v[72:73]
	v_fmac_f64_e32 v[68:69], s[48:49], v[64:65]
	v_add_f64 v[46:47], v[46:47], v[74:75]
	v_add_f64 v[74:75], v[80:81], v[72:73]
	v_cvt_i32_f64_e32 v3, v[64:65]
	v_fma_f64 v[64:65], s[58:59], v[68:69], v[8:9]
	v_add_f64 v[76:77], v[74:75], -v[80:81]
	v_fma_f64 v[64:65], v[68:69], v[64:65], s[60:61]
	v_add_f64 v[72:73], v[72:73], -v[76:77]
	v_fma_f64 v[64:65], v[68:69], v[64:65], s[62:63]
	v_add_f64 v[46:47], v[46:47], v[72:73]
	v_fma_f64 v[64:65], v[68:69], v[64:65], s[64:65]
	v_add_f64 v[72:73], v[74:75], v[46:47]
	v_fma_f64 v[64:65], v[68:69], v[64:65], s[66:67]
	v_add_f64 v[74:75], v[72:73], -v[74:75]
	v_mul_f64 v[76:77], v[12:13], v[72:73]
	v_fma_f64 v[64:65], v[68:69], v[64:65], s[68:69]
	v_add_f64 v[46:47], v[46:47], -v[74:75]
	v_fma_f64 v[72:73], v[12:13], v[72:73], -v[76:77]
	v_fma_f64 v[64:65], v[68:69], v[64:65], s[70:71]
	v_cmp_neq_f64_e64 s[6:7], |v[48:49]|, s[54:55]
	v_fmac_f64_e32 v[72:73], v[12:13], v[46:47]
	v_fma_f64 v[64:65], v[68:69], v[64:65], s[72:73]
	v_cndmask_b32_e64 v71, 0, v71, s[6:7]
	v_cndmask_b32_e64 v70, 0, v70, s[6:7]
	v_add_f64 v[46:47], v[76:77], v[72:73]
	v_cmp_class_f64_e64 s[6:7], v[76:77], s92
	v_fma_f64 v[64:65], v[68:69], v[64:65], s[74:75]
	v_cndmask_b32_e64 v75, v47, v77, s[6:7]
	v_cndmask_b32_e64 v74, v46, v76, s[6:7]
	v_cmp_neq_f64_e64 s[6:7], |v[66:67]|, s[54:55]
	v_add_f64 v[46:47], v[46:47], -v[76:77]
	v_fma_f64 v[64:65], v[68:69], v[64:65], 1.0
	v_cndmask_b32_e64 v63, 0, v63, s[6:7]
	v_cndmask_b32_e64 v62, 0, v62, s[6:7]
	v_add_f64 v[46:47], v[72:73], -v[46:47]
	v_cmp_neq_f64_e64 s[6:7], |v[74:75]|, s[54:55]
	v_fma_f64 v[64:65], v[68:69], v[64:65], 1.0
	v_cndmask_b32_e64 v47, 0, v47, s[6:7]
	v_cndmask_b32_e64 v46, 0, v46, s[6:7]
	v_ldexp_f64 v[64:65], v[64:65], v3
	v_cmp_lt_f64_e64 s[6:7], s[76:77], v[44:45]
	v_cndmask_b32_e64 v61, v65, v54, s[6:7]
	v_and_b32_e32 v65, 0x7fffffff, v65
	v_cndmask_b32_e64 v3, v64, 0, s[6:7]
	v_cmp_eq_f64_e64 s[8:9], s[54:55], v[64:65]
	v_mul_f64 v[64:65], v[48:49], s[56:57]
	v_rndne_f64_e32 v[64:65], v[64:65]
	v_fma_f64 v[68:69], s[44:45], v[64:65], v[48:49]
	v_fmac_f64_e32 v[68:69], s[48:49], v[64:65]
	v_cvt_i32_f64_e32 v72, v[64:65]
	v_fma_f64 v[64:65], s[58:59], v[68:69], v[8:9]
	v_fma_f64 v[64:65], v[68:69], v[64:65], s[60:61]
	v_fma_f64 v[64:65], v[68:69], v[64:65], s[62:63]
	v_fma_f64 v[64:65], v[68:69], v[64:65], s[64:65]
	v_fma_f64 v[64:65], v[68:69], v[64:65], s[66:67]
	v_fma_f64 v[64:65], v[68:69], v[64:65], s[68:69]
	v_fma_f64 v[64:65], v[68:69], v[64:65], s[70:71]
	v_fma_f64 v[64:65], v[68:69], v[64:65], s[72:73]
	v_mul_f64 v[80:81], v[66:67], s[56:57]
	v_fma_f64 v[64:65], v[68:69], v[64:65], s[74:75]
	v_rndne_f64_e32 v[80:81], v[80:81]
	v_fma_f64 v[64:65], v[68:69], v[64:65], 1.0
	v_fma_f64 v[82:83], s[44:45], v[80:81], v[66:67]
	v_fma_f64 v[64:65], v[68:69], v[64:65], 1.0
	v_fmac_f64_e32 v[82:83], s[48:49], v[80:81]
	s_or_b64 s[94:95], s[6:7], s[8:9]
	v_ldexp_f64 v[64:65], v[64:65], v72
	v_cmp_lt_f64_e64 s[6:7], s[76:77], v[48:49]
	v_fma_f64 v[84:85], s[58:59], v[82:83], v[8:9]
	v_cndmask_b32_e64 v69, v65, v54, s[6:7]
	v_and_b32_e32 v65, 0x7fffffff, v65
	v_fma_f64 v[84:85], v[82:83], v[84:85], s[60:61]
	v_cmp_eq_f64_e64 s[8:9], s[54:55], v[64:65]
	v_fma_f64 v[84:85], v[82:83], v[84:85], s[62:63]
	v_cndmask_b32_e64 v68, v64, 0, s[6:7]
	s_or_b64 s[8:9], s[6:7], s[8:9]
	v_cmp_ngt_f64_e64 s[6:7], s[78:79], v[44:45]
	v_fma_f64 v[84:85], v[82:83], v[84:85], s[64:65]
	v_cndmask_b32_e64 v45, 0, v61, s[6:7]
	v_cndmask_b32_e64 v44, 0, v3, s[6:7]
	v_fma_f64 v[84:85], v[82:83], v[84:85], s[66:67]
	v_pk_mov_b32 v[64:65], v[44:45], v[44:45] op_sel:[0,1]
	v_fma_f64 v[84:85], v[82:83], v[84:85], s[68:69]
	v_fmac_f64_e32 v[64:65], v[64:65], v[50:51]
	s_and_b64 s[6:7], s[6:7], s[94:95]
	v_fma_f64 v[84:85], v[82:83], v[84:85], s[70:71]
	v_cndmask_b32_e64 v3, v64, v44, s[6:7]
	v_cndmask_b32_e64 v61, v65, v45, s[6:7]
	v_cmp_ngt_f64_e64 s[6:7], s[78:79], v[48:49]
	v_fma_f64 v[84:85], v[82:83], v[84:85], s[72:73]
	v_cndmask_b32_e64 v45, 0, v69, s[6:7]
	v_cndmask_b32_e64 v44, 0, v68, s[6:7]
	v_fma_f64 v[84:85], v[82:83], v[84:85], s[74:75]
	v_pk_mov_b32 v[48:49], v[44:45], v[44:45] op_sel:[0,1]
	v_fma_f64 v[84:85], v[82:83], v[84:85], 1.0
	v_fmac_f64_e32 v[48:49], v[48:49], v[70:71]
	s_and_b64 s[6:7], s[6:7], s[8:9]
	v_fma_f64 v[82:83], v[82:83], v[84:85], 1.0
	v_cvt_i32_f64_e32 v80, v[80:81]
	v_cndmask_b32_e64 v86, v48, v44, s[6:7]
	v_cndmask_b32_e64 v87, v49, v45, s[6:7]
	v_ldexp_f64 v[80:81], v[82:83], v80
	v_cmp_lt_f64_e64 s[6:7], s[76:77], v[66:67]
	v_cndmask_b32_e64 v83, v81, v54, s[6:7]
	v_and_b32_e32 v81, 0x7fffffff, v81
	v_cmp_eq_f64_e64 s[8:9], s[54:55], v[80:81]
	v_cndmask_b32_e64 v82, v80, 0, s[6:7]
	s_or_b64 s[8:9], s[6:7], s[8:9]
	v_cmp_ngt_f64_e64 s[6:7], s[78:79], v[66:67]
	v_cndmask_b32_e64 v67, 0, v83, s[6:7]
	v_cndmask_b32_e64 v66, 0, v82, s[6:7]
	v_mul_f64 v[64:65], v[18:19], 0.5
	v_pk_mov_b32 v[82:83], v[66:67], v[66:67] op_sel:[0,1]
	v_trunc_f64_e32 v[80:81], v[64:65]
	v_fmac_f64_e32 v[82:83], v[82:83], v[62:63]
	s_and_b64 s[6:7], s[6:7], s[8:9]
	v_cndmask_b32_e64 v82, v82, v66, s[6:7]
	v_cndmask_b32_e64 v83, v83, v67, s[6:7]
	v_cmp_neq_f64_e64 s[6:7], v[80:81], v[64:65]
	v_mul_f64 v[64:65], v[74:75], s[56:57]
	v_rndne_f64_e32 v[64:65], v[64:65]
	v_mul_f64 v[48:49], v[20:21], 0.5
	v_fma_f64 v[66:67], s[44:45], v[64:65], v[74:75]
	v_trunc_f64_e32 v[78:79], v[48:49]
	v_fmac_f64_e32 v[66:67], s[48:49], v[64:65]
	v_cmp_neq_f64_e64 s[8:9], v[78:79], v[48:49]
	v_fma_f64 v[78:79], s[58:59], v[66:67], v[8:9]
	v_fma_f64 v[78:79], v[66:67], v[78:79], s[60:61]
	;; [unrolled: 1-line block ×9, first 2 shown]
	v_fma_f64 v[78:79], v[66:67], v[78:79], 1.0
	v_cndmask_b32_e64 v88, v34, 0, s[14:15]
	v_cndmask_b32_e64 v84, v35, 0, s[14:15]
	;; [unrolled: 1-line block ×4, first 2 shown]
	v_fma_f64 v[66:67], v[66:67], v[78:79], 1.0
	v_cndmask_b32_e64 v78, v29, 0, s[10:11]
	v_cndmask_b32_e64 v79, v23, 0, s[12:13]
	v_cmp_eq_f64_e64 s[10:11], 1.0, v[36:37]
	v_cmp_eq_f64_e64 s[12:13], 1.0, v[42:43]
	v_cvt_i32_f64_e32 v64, v[64:65]
	v_cndmask_b32_e64 v89, v32, 0, s[84:85]
	v_cndmask_b32_e64 v85, v33, 0, s[84:85]
	;; [unrolled: 1-line block ×4, first 2 shown]
	v_cmp_eq_f64_e64 s[12:13], 1.0, v[40:41]
	v_cndmask_b32_e64 v79, v79, v37, s[10:11]
	v_cndmask_b32_e64 v81, v81, v14, s[10:11]
	v_ldexp_f64 v[64:65], v[66:67], v64
	v_cmp_lt_f64_e64 s[10:11], s[76:77], v[74:75]
	v_cndmask_b32_e64 v85, v85, v41, s[12:13]
	v_cndmask_b32_e64 v89, v89, v26, s[12:13]
	v_cmp_eq_f64_e64 s[12:13], 1.0, v[38:39]
	v_cndmask_b32_e64 v67, v65, v54, s[10:11]
	v_and_b32_e32 v65, 0x7fffffff, v65
	v_trunc_f64_e32 v[44:45], v[20:21]
	v_cndmask_b32_e64 v78, v78, v39, s[12:13]
	v_cndmask_b32_e64 v80, v80, v24, s[12:13]
	v_cmp_eq_f64_e64 s[12:13], s[54:55], v[64:65]
	v_cndmask_b32_e64 v66, v64, 0, s[10:11]
	s_or_b64 s[12:13], s[10:11], s[12:13]
	v_cmp_eq_f64_e64 s[10:11], v[44:45], v[20:21]
	s_and_b64 s[8:9], s[10:11], s[8:9]
	v_cndmask_b32_e64 v91, v52, v31, s[8:9]
	v_cndmask_b32_e64 v92, 0, v31, s[8:9]
	v_cmp_ngt_f64_e64 s[8:9], s[78:79], v[74:75]
	v_cndmask_b32_e64 v45, 0, v67, s[8:9]
	v_cndmask_b32_e64 v44, 0, v66, s[8:9]
	v_pk_mov_b32 v[64:65], v[44:45], v[44:45] op_sel:[0,1]
	v_trunc_f64_e32 v[50:51], v[18:19]
	v_fmac_f64_e32 v[64:65], v[64:65], v[46:47]
	v_bfi_b32 v46, s91, v61, v91
	v_cndmask_b32_e64 v90, 0, v3, s[10:11]
	v_cndmask_b32_e64 v47, v55, v46, s[10:11]
	v_cmp_eq_f64_e64 s[10:11], v[50:51], v[18:19]
	s_and_b64 s[8:9], s[8:9], s[12:13]
	s_and_b64 s[6:7], s[10:11], s[6:7]
	v_mul_f64 v[70:71], v[16:17], 0.5
	v_cndmask_b32_e64 v51, v52, v27, s[6:7]
	v_cndmask_b32_e64 v44, v64, v44, s[8:9]
	;; [unrolled: 1-line block ×3, first 2 shown]
	v_cmp_gt_f64_e64 s[8:9], 0, v[30:31]
	v_trunc_f64_e32 v[68:69], v[16:17]
	v_trunc_f64_e32 v[62:63], v[70:71]
	v_cndmask_b32_e64 v46, v46, v47, s[8:9]
	v_cndmask_b32_e64 v3, v3, v90, s[8:9]
	v_cmp_eq_f64_e64 s[8:9], s[54:55], v[42:43]
	v_bfi_b32 v42, s91, v87, v51
	v_mul_f64 v[76:77], v[12:13], 0.5
	v_cmp_neq_f64_e64 s[12:13], v[62:63], v[70:71]
	v_cndmask_b32_e64 v50, 0, v86, s[10:11]
	v_cndmask_b32_e64 v43, v55, v42, s[10:11]
	v_cmp_eq_f64_e64 s[10:11], v[68:69], v[16:17]
	v_trunc_f64_e32 v[48:49], v[76:77]
	s_and_b64 s[12:13], s[10:11], s[12:13]
	v_cndmask_b32_e64 v61, 0, v27, s[6:7]
	v_cmp_neq_f64_e64 s[6:7], v[48:49], v[76:77]
	v_cndmask_b32_e64 v48, v52, v25, s[12:13]
	v_cndmask_b32_e64 v49, 0, v25, s[12:13]
	v_cmp_eq_f64_e64 s[12:13], s[54:55], v[34:35]
	v_cndmask_b32_e64 v3, v3, v88, s[12:13]
	v_cndmask_b32_e64 v34, v46, v84, s[12:13]
	v_cmp_gt_f64_e64 s[12:13], 0, v[26:27]
	v_trunc_f64_e32 v[72:73], v[12:13]
	v_cndmask_b32_e64 v35, v42, v43, s[12:13]
	v_cndmask_b32_e64 v42, v86, v50, s[12:13]
	v_cmp_eq_f64_e64 s[12:13], s[54:55], v[40:41]
	v_bfi_b32 v40, s91, v83, v48
	v_cndmask_b32_e64 v47, 0, v82, s[10:11]
	v_cndmask_b32_e64 v41, v55, v40, s[10:11]
	v_cmp_eq_f64_e64 s[10:11], v[72:73], v[12:13]
	s_and_b64 s[6:7], s[10:11], s[6:7]
	v_cndmask_b32_e64 v46, v52, v15, s[6:7]
	v_cndmask_b32_e64 v48, 0, v15, s[6:7]
	v_cmp_eq_f64_e64 s[6:7], s[54:55], v[38:39]
	v_bfi_b32 v38, s91, v58, v92
	s_or_b64 s[4:5], s[8:9], s[4:5]
	v_cmp_eq_f64_e64 s[8:9], s[54:55], v[36:37]
	v_cndmask_b32_e64 v34, v34, v38, s[4:5]
	v_cndmask_b32_e64 v3, v3, 0, s[4:5]
	v_cmp_eq_f64_e64 s[4:5], s[54:55], v[32:33]
	s_or_b64 s[2:3], s[12:13], s[2:3]
	s_or_b64 s[0:1], s[6:7], s[0:1]
	s_or_b64 vcc, s[8:9], vcc
	v_bfi_b32 v39, s91, v45, v46
	v_cndmask_b32_e64 v32, v42, v89, s[4:5]
	v_cndmask_b32_e64 v33, v35, v85, s[4:5]
	v_cmp_gt_f64_e64 s[4:5], 0, v[24:25]
	s_add_u32 s33, s33, s90
	v_cndmask_b32_e64 v43, 0, v44, s[10:11]
	v_bfi_b32 v36, s91, v59, v61
	v_cndmask_b32_e64 v35, v40, v41, s[4:5]
	v_cndmask_b32_e64 v38, v82, v47, s[4:5]
	v_cmp_eq_f64_e64 s[4:5], s[54:55], v[28:29]
	v_cndmask_b32_e64 v28, v55, v39, s[10:11]
	v_cmp_gt_f64_e64 s[10:11], 0, v[14:15]
	v_cmp_o_f64_e64 s[12:13], v[30:31], v[20:21]
	s_addc_u32 s86, s86, 0
	v_bfi_b32 v37, s91, v60, v49
	v_cndmask_b32_e64 v20, 0, v3, s[12:13]
	v_cndmask_b32_e64 v3, v33, v36, s[2:3]
	;; [unrolled: 1-line block ×7, first 2 shown]
	v_cmp_eq_f64_e64 s[2:3], s[54:55], v[22:23]
	v_cmp_o_f64_e64 s[4:5], v[26:27], v[18:19]
	s_add_u32 s87, s87, s90
	v_bfi_b32 v29, s91, v57, v48
	v_cndmask_b32_e64 v23, v55, v3, s[4:5]
	v_cndmask_b32_e64 v3, v32, v37, s[0:1]
	;; [unrolled: 1-line block ×5, first 2 shown]
	v_cmp_o_f64_e64 s[0:1], v[24:25], v[16:17]
	s_addc_u32 s88, s88, 0
	v_cndmask_b32_e64 v16, 0, v18, s[0:1]
	v_cndmask_b32_e64 v17, v55, v3, s[0:1]
	v_cndmask_b32_e32 v3, v26, v29, vcc
	v_cndmask_b32_e64 v18, v19, 0, vcc
	v_cmp_o_f64_e32 vcc, v[14:15], v[12:13]
	s_and_b64 s[0:1], exec, s[82:83]
	v_cndmask_b32_e64 v21, v55, v34, s[12:13]
	v_cndmask_b32_e64 v22, 0, v30, s[4:5]
	v_cndmask_b32_e32 v18, 0, v18, vcc
	v_cndmask_b32_e32 v19, v55, v3, vcc
	s_or_b64 s[16:17], s[0:1], s[16:17]
	global_store_dwordx4 v[10:11], v[20:23], off
	global_store_dwordx4 v[10:11], v[16:19], off offset:16
	s_andn2_b64 exec, exec, s[16:17]
	s_cbranch_execnz .LBB66_24
.LBB66_25:
	s_endpgm
	.section	.rodata,"a",@progbits
	.p2align	6, 0x0
	.amdhsa_kernel _ZN2at6native12_GLOBAL__N_125multi_tensor_apply_kernelINS1_18TensorListMetadataILi2EEENS1_21BinaryOpScalarFunctorIdLi2ELi1ELi1EEEJNS1_13power_functorIdEEdEEEvT_T0_DpT1_
		.amdhsa_group_segment_fixed_size 0
		.amdhsa_private_segment_fixed_size 0
		.amdhsa_kernarg_size 3416
		.amdhsa_user_sgpr_count 6
		.amdhsa_user_sgpr_private_segment_buffer 1
		.amdhsa_user_sgpr_dispatch_ptr 0
		.amdhsa_user_sgpr_queue_ptr 0
		.amdhsa_user_sgpr_kernarg_segment_ptr 1
		.amdhsa_user_sgpr_dispatch_id 0
		.amdhsa_user_sgpr_flat_scratch_init 0
		.amdhsa_user_sgpr_kernarg_preload_length 0
		.amdhsa_user_sgpr_kernarg_preload_offset 0
		.amdhsa_user_sgpr_private_segment_size 0
		.amdhsa_uses_dynamic_stack 0
		.amdhsa_system_sgpr_private_segment_wavefront_offset 0
		.amdhsa_system_sgpr_workgroup_id_x 1
		.amdhsa_system_sgpr_workgroup_id_y 0
		.amdhsa_system_sgpr_workgroup_id_z 0
		.amdhsa_system_sgpr_workgroup_info 0
		.amdhsa_system_vgpr_workitem_id 0
		.amdhsa_next_free_vgpr 96
		.amdhsa_next_free_sgpr 96
		.amdhsa_accum_offset 96
		.amdhsa_reserve_vcc 1
		.amdhsa_reserve_flat_scratch 0
		.amdhsa_float_round_mode_32 0
		.amdhsa_float_round_mode_16_64 0
		.amdhsa_float_denorm_mode_32 3
		.amdhsa_float_denorm_mode_16_64 3
		.amdhsa_dx10_clamp 1
		.amdhsa_ieee_mode 1
		.amdhsa_fp16_overflow 0
		.amdhsa_tg_split 0
		.amdhsa_exception_fp_ieee_invalid_op 0
		.amdhsa_exception_fp_denorm_src 0
		.amdhsa_exception_fp_ieee_div_zero 0
		.amdhsa_exception_fp_ieee_overflow 0
		.amdhsa_exception_fp_ieee_underflow 0
		.amdhsa_exception_fp_ieee_inexact 0
		.amdhsa_exception_int_div_zero 0
	.end_amdhsa_kernel
	.section	.text._ZN2at6native12_GLOBAL__N_125multi_tensor_apply_kernelINS1_18TensorListMetadataILi2EEENS1_21BinaryOpScalarFunctorIdLi2ELi1ELi1EEEJNS1_13power_functorIdEEdEEEvT_T0_DpT1_,"axG",@progbits,_ZN2at6native12_GLOBAL__N_125multi_tensor_apply_kernelINS1_18TensorListMetadataILi2EEENS1_21BinaryOpScalarFunctorIdLi2ELi1ELi1EEEJNS1_13power_functorIdEEdEEEvT_T0_DpT1_,comdat
.Lfunc_end66:
	.size	_ZN2at6native12_GLOBAL__N_125multi_tensor_apply_kernelINS1_18TensorListMetadataILi2EEENS1_21BinaryOpScalarFunctorIdLi2ELi1ELi1EEEJNS1_13power_functorIdEEdEEEvT_T0_DpT1_, .Lfunc_end66-_ZN2at6native12_GLOBAL__N_125multi_tensor_apply_kernelINS1_18TensorListMetadataILi2EEENS1_21BinaryOpScalarFunctorIdLi2ELi1ELi1EEEJNS1_13power_functorIdEEdEEEvT_T0_DpT1_
                                        ; -- End function
	.section	.AMDGPU.csdata,"",@progbits
; Kernel info:
; codeLenInByte = 14620
; NumSgprs: 100
; NumVgprs: 96
; NumAgprs: 0
; TotalNumVgprs: 96
; ScratchSize: 0
; MemoryBound: 0
; FloatMode: 240
; IeeeMode: 1
; LDSByteSize: 0 bytes/workgroup (compile time only)
; SGPRBlocks: 12
; VGPRBlocks: 11
; NumSGPRsForWavesPerEU: 100
; NumVGPRsForWavesPerEU: 96
; AccumOffset: 96
; Occupancy: 5
; WaveLimiterHint : 0
; COMPUTE_PGM_RSRC2:SCRATCH_EN: 0
; COMPUTE_PGM_RSRC2:USER_SGPR: 6
; COMPUTE_PGM_RSRC2:TRAP_HANDLER: 0
; COMPUTE_PGM_RSRC2:TGID_X_EN: 1
; COMPUTE_PGM_RSRC2:TGID_Y_EN: 0
; COMPUTE_PGM_RSRC2:TGID_Z_EN: 0
; COMPUTE_PGM_RSRC2:TIDIG_COMP_CNT: 0
; COMPUTE_PGM_RSRC3_GFX90A:ACCUM_OFFSET: 23
; COMPUTE_PGM_RSRC3_GFX90A:TG_SPLIT: 0
	.section	.text._ZN2at6native12_GLOBAL__N_125multi_tensor_apply_kernelINS1_18TensorListMetadataILi2EEENS1_21BinaryOpScalarFunctorIfLi2ELi1ELi1EEEJNS1_13power_functorIfEEfEEEvT_T0_DpT1_,"axG",@progbits,_ZN2at6native12_GLOBAL__N_125multi_tensor_apply_kernelINS1_18TensorListMetadataILi2EEENS1_21BinaryOpScalarFunctorIfLi2ELi1ELi1EEEJNS1_13power_functorIfEEfEEEvT_T0_DpT1_,comdat
	.globl	_ZN2at6native12_GLOBAL__N_125multi_tensor_apply_kernelINS1_18TensorListMetadataILi2EEENS1_21BinaryOpScalarFunctorIfLi2ELi1ELi1EEEJNS1_13power_functorIfEEfEEEvT_T0_DpT1_ ; -- Begin function _ZN2at6native12_GLOBAL__N_125multi_tensor_apply_kernelINS1_18TensorListMetadataILi2EEENS1_21BinaryOpScalarFunctorIfLi2ELi1ELi1EEEJNS1_13power_functorIfEEfEEEvT_T0_DpT1_
	.p2align	8
	.type	_ZN2at6native12_GLOBAL__N_125multi_tensor_apply_kernelINS1_18TensorListMetadataILi2EEENS1_21BinaryOpScalarFunctorIfLi2ELi1ELi1EEEJNS1_13power_functorIfEEfEEEvT_T0_DpT1_,@function
_ZN2at6native12_GLOBAL__N_125multi_tensor_apply_kernelINS1_18TensorListMetadataILi2EEENS1_21BinaryOpScalarFunctorIfLi2ELi1ELi1EEEJNS1_13power_functorIfEEfEEEvT_T0_DpT1_: ; @_ZN2at6native12_GLOBAL__N_125multi_tensor_apply_kernelINS1_18TensorListMetadataILi2EEENS1_21BinaryOpScalarFunctorIfLi2ELi1ELi1EEEJNS1_13power_functorIfEEfEEEvT_T0_DpT1_
; %bb.0:
	v_mov_b32_e32 v1, s6
	global_load_ubyte v1, v1, s[4:5] offset:1536
	s_add_u32 s0, s4, s6
	s_mul_hi_u32 s2, s6, 3
	s_mul_i32 s6, s6, 3
	s_addc_u32 s7, s5, 0
	s_add_u32 s6, s0, s6
	s_addc_u32 s7, s7, s2
	s_load_dword s6, s[6:7], 0x740
	s_mov_b32 s1, 0
	s_mov_b32 s11, s1
	;; [unrolled: 1-line block ×3, first 2 shown]
	s_waitcnt lgkmcnt(0)
	s_ashr_i32 s7, s6, 31
	s_lshl_b64 s[26:27], s[6:7], 18
	s_waitcnt vmcnt(0)
	v_readfirstlane_b32 s0, v1
	s_lshl_b32 s0, s0, 3
	s_load_dwordx2 s[20:21], s[4:5], s0 offset:0x0
	s_load_dword s36, s[4:5], 0xc4c
	s_load_dwordx2 s[8:9], s[4:5], s0 offset:0x400
	s_load_dwordx2 s[22:23], s[4:5], s0 offset:0x200
	s_waitcnt lgkmcnt(0)
	s_and_b32 s0, s20, 15
	s_and_b32 s10, s8, 3
	;; [unrolled: 1-line block ×3, first 2 shown]
	s_or_b64 s[0:1], s[0:1], s[10:11]
	s_or_b64 s[0:1], s[2:3], s[0:1]
	s_lshl_b64 s[2:3], s[6:7], 16
	s_sub_u32 s24, s8, s2
	s_subb_u32 s25, s9, s3
	s_cmp_eq_u64 s[0:1], 0
	s_mov_b64 s[0:1], -1
	s_cbranch_scc1 .LBB67_21
; %bb.1:
	v_cmp_lt_i64_e64 s[0:1], s[24:25], 1
	s_and_b64 vcc, exec, s[0:1]
	s_cbranch_vccnz .LBB67_20
; %bb.2:
	s_load_dword s0, s[4:5], 0xc5c
	v_mov_b32_e32 v2, 0x10000
	v_mov_b32_e32 v3, 0
	v_cmp_lt_u64_e32 vcc, s[24:25], v[2:3]
	v_lshlrev_b32_e32 v10, 2, v0
	s_waitcnt lgkmcnt(0)
	s_and_b32 s2, s0, 0xffff
	s_and_b64 s[0:1], vcc, exec
	v_mov_b32_e32 v13, s21
	v_add_co_u32_e32 v2, vcc, s20, v10
	v_addc_co_u32_e32 v1, vcc, 0, v13, vcc
	v_mov_b32_e32 v11, 0
	v_mov_b32_e32 v15, s23
	v_add_co_u32_e32 v4, vcc, s22, v10
	v_addc_co_u32_e32 v3, vcc, 0, v15, vcc
	v_mad_u64_u32 v[8:9], s[0:1], s2, 12, v[10:11]
	v_add_co_u32_e32 v6, vcc, s20, v8
	v_addc_co_u32_e32 v5, vcc, v13, v9, vcc
	v_add_co_u32_e32 v8, vcc, s22, v8
	s_mul_i32 s6, s2, 3
	v_addc_co_u32_e32 v7, vcc, v15, v9, vcc
	v_add_co_u32_e32 v17, vcc, s6, v0
	v_addc_co_u32_e64 v18, s[0:1], 0, 0, vcc
	s_cselect_b32 s29, s25, 0
	s_cselect_b32 s28, s24, 0x10000
	s_lshl_b32 s0, s2, 3
	v_add_co_u32_e32 v11, vcc, s0, v10
	v_addc_co_u32_e64 v14, s[0:1], 0, 0, vcc
	v_add_co_u32_e32 v10, vcc, s20, v11
	v_addc_co_u32_e32 v9, vcc, v13, v14, vcc
	v_add_co_u32_e32 v12, vcc, s22, v11
	s_lshl_b32 s3, s2, 1
	v_addc_co_u32_e32 v11, vcc, v15, v14, vcc
	v_add_co_u32_e32 v19, vcc, s3, v0
	v_addc_co_u32_e64 v20, s[0:1], 0, 0, vcc
	v_add_co_u32_e32 v21, vcc, s2, v0
	v_lshlrev_b32_e32 v16, 2, v21
	v_addc_co_u32_e64 v22, s[0:1], 0, 0, vcc
	v_add_co_u32_e32 v14, vcc, s20, v16
	v_addc_co_u32_e32 v13, vcc, 0, v13, vcc
	v_add_co_u32_e32 v16, vcc, s22, v16
	s_mov_b32 s33, 0
	s_lshl_b32 s37, s2, 2
	s_lshl_b32 s38, s2, 4
	v_addc_co_u32_e32 v15, vcc, 0, v15, vcc
	s_mov_b64 s[30:31], 0
	s_mov_b32 s39, 0x7f800000
	s_brev_b32 s40, -2
	s_mov_b32 s41, 0x3f2aaaab
	s_mov_b32 s42, 0x3f317218
	v_mov_b32_e32 v23, 0x3ecccdef
	s_movk_i32 s43, 0x204
	s_mov_b32 s44, 0x42b17218
	s_mov_b32 s45, 0x3fb8aa3b
	;; [unrolled: 1-line block ×3, first 2 shown]
	v_mov_b32_e32 v24, 0x7f800000
	v_mov_b32_e32 v25, 0x37000000
	;; [unrolled: 1-line block ×3, first 2 shown]
	s_branch .LBB67_4
.LBB67_3:                               ;   in Loop: Header=BB67_4 Depth=1
	s_or_b64 exec, exec, s[8:9]
	s_add_u32 s30, s30, s37
	s_addc_u32 s31, s31, 0
	s_waitcnt vmcnt(0)
	v_pk_mov_b32 v[28:29], s[24:25], s[24:25] op_sel:[0,1]
	v_cmp_lt_i64_e32 vcc, s[30:31], v[28:29]
	v_mov_b32_e32 v28, 0x10000
	v_mov_b32_e32 v29, 0
	v_cmp_lt_u64_e64 s[0:1], s[30:31], v[28:29]
	s_and_b64 s[0:1], vcc, s[0:1]
	v_mov_b32_e32 v27, s33
	v_add_co_u32_e32 v2, vcc, s38, v2
	v_addc_co_u32_e32 v1, vcc, v1, v27, vcc
	v_add_co_u32_e32 v4, vcc, s38, v4
	v_addc_co_u32_e32 v3, vcc, v3, v27, vcc
	;; [unrolled: 2-line block ×8, first 2 shown]
	s_and_b64 vcc, exec, s[0:1]
	s_cbranch_vccz .LBB67_20
.LBB67_4:                               ; =>This Inner Loop Header: Depth=1
	v_mov_b32_e32 v27, s31
	v_add_co_u32_e32 v28, vcc, s30, v0
	v_addc_co_u32_e32 v29, vcc, 0, v27, vcc
	v_cmp_gt_u64_e64 s[6:7], s[28:29], v[28:29]
	v_mov_b32_e32 v30, 0
	s_and_saveexec_b64 s[0:1], s[6:7]
	s_cbranch_execz .LBB67_6
; %bb.5:                                ;   in Loop: Header=BB67_4 Depth=1
	v_mov_b32_e32 v27, s27
	v_add_co_u32_e32 v28, vcc, s26, v2
	v_addc_co_u32_e32 v29, vcc, v1, v27, vcc
	global_load_dword v30, v[28:29], off
.LBB67_6:                               ;   in Loop: Header=BB67_4 Depth=1
	s_or_b64 exec, exec, s[0:1]
	v_mov_b32_e32 v27, s31
	v_add_co_u32_e32 v28, vcc, s30, v21
	v_addc_co_u32_e32 v29, vcc, v22, v27, vcc
	v_cmp_gt_u64_e64 s[2:3], s[28:29], v[28:29]
	v_mov_b32_e32 v29, 0
	s_and_saveexec_b64 s[0:1], s[2:3]
	s_cbranch_execz .LBB67_8
; %bb.7:                                ;   in Loop: Header=BB67_4 Depth=1
	v_mov_b32_e32 v27, s27
	v_add_co_u32_e32 v28, vcc, s26, v14
	v_addc_co_u32_e32 v29, vcc, v13, v27, vcc
	global_load_dword v29, v[28:29], off
.LBB67_8:                               ;   in Loop: Header=BB67_4 Depth=1
	s_or_b64 exec, exec, s[0:1]
	v_mov_b32_e32 v27, s31
	v_add_co_u32_e32 v32, vcc, s30, v19
	v_addc_co_u32_e32 v33, vcc, v20, v27, vcc
	v_cmp_gt_u64_e64 s[0:1], s[28:29], v[32:33]
	v_mov_b32_e32 v27, 0
	v_mov_b32_e32 v28, 0
	s_and_saveexec_b64 s[8:9], s[0:1]
	s_cbranch_execz .LBB67_10
; %bb.9:                                ;   in Loop: Header=BB67_4 Depth=1
	v_mov_b32_e32 v28, s27
	v_add_co_u32_e32 v32, vcc, s26, v10
	v_addc_co_u32_e32 v33, vcc, v9, v28, vcc
	global_load_dword v28, v[32:33], off
.LBB67_10:                              ;   in Loop: Header=BB67_4 Depth=1
	s_or_b64 exec, exec, s[8:9]
	v_mov_b32_e32 v31, s31
	v_add_co_u32_e32 v32, vcc, s30, v17
	v_addc_co_u32_e32 v33, vcc, v18, v31, vcc
	v_cmp_gt_u64_e32 vcc, s[28:29], v[32:33]
	s_and_saveexec_b64 s[10:11], vcc
	s_cbranch_execnz .LBB67_15
; %bb.11:                               ;   in Loop: Header=BB67_4 Depth=1
	s_or_b64 exec, exec, s[10:11]
	s_and_saveexec_b64 s[34:35], s[6:7]
	s_cbranch_execnz .LBB67_16
.LBB67_12:                              ;   in Loop: Header=BB67_4 Depth=1
	s_or_b64 exec, exec, s[34:35]
	s_and_saveexec_b64 s[12:13], s[2:3]
	s_cbranch_execnz .LBB67_17
.LBB67_13:                              ;   in Loop: Header=BB67_4 Depth=1
	s_or_b64 exec, exec, s[12:13]
	s_and_saveexec_b64 s[10:11], s[0:1]
	s_cbranch_execnz .LBB67_18
.LBB67_14:                              ;   in Loop: Header=BB67_4 Depth=1
	s_or_b64 exec, exec, s[10:11]
	s_and_saveexec_b64 s[8:9], vcc
	s_cbranch_execz .LBB67_3
	s_branch .LBB67_19
.LBB67_15:                              ;   in Loop: Header=BB67_4 Depth=1
	v_mov_b32_e32 v27, s27
	v_add_co_u32_e64 v32, s[8:9], s26, v6
	v_addc_co_u32_e64 v33, s[8:9], v5, v27, s[8:9]
	global_load_dword v27, v[32:33], off
	s_or_b64 exec, exec, s[10:11]
	s_and_saveexec_b64 s[34:35], s[6:7]
	s_cbranch_execz .LBB67_12
.LBB67_16:                              ;   in Loop: Header=BB67_4 Depth=1
	v_mov_b32_e32 v31, s27
	v_add_co_u32_e64 v32, s[6:7], s26, v4
	v_mov_b32_e32 v34, s36
	s_waitcnt vmcnt(0)
	v_cmp_eq_f32_e64 s[14:15], 1.0, v30
	v_addc_co_u32_e64 v33, s[6:7], v3, v31, s[6:7]
	v_cndmask_b32_e64 v48, v34, 1.0, s[14:15]
	v_cmp_eq_f32_e64 s[6:7], 0, v48
	v_cndmask_b32_e64 v49, v30, 1.0, s[6:7]
	v_cmp_eq_f32_e64 s[8:9], 0, v49
	v_cmp_gt_f32_e64 s[10:11], 0, v48
	s_xor_b64 s[10:11], s[10:11], s[8:9]
	v_trunc_f32_e32 v31, v48
	v_cndmask_b32_e64 v50, |v30|, 1.0, s[6:7]
	v_cndmask_b32_e64 v30, v24, 0, s[10:11]
	v_cmp_eq_f32_e64 s[10:11], v31, v48
	v_mul_f32_e32 v31, 0.5, v48
	v_trunc_f32_e32 v35, v31
	v_cmp_neq_f32_e64 s[12:13], v35, v31
	s_and_b64 s[12:13], s[10:11], s[12:13]
	v_cndmask_b32_e64 v31, 0, v49, s[12:13]
	v_bfi_b32 v51, s40, v30, v31
	v_cvt_f64_f32_e32 v[30:31], v50
	v_frexp_exp_i32_f64_e32 v30, v[30:31]
	v_frexp_mant_f32_e32 v31, v50
	v_cmp_gt_f32_e64 s[18:19], s41, v31
	v_subbrev_co_u32_e64 v30, s[16:17], 0, v30, s[18:19]
	v_cvt_f32_i32_e32 v35, v30
	v_cndmask_b32_e64 v52, |v34|, 1.0, s[14:15]
	v_cmp_neq_f32_e64 s[14:15], v48, v52
	v_cmp_gt_f32_e64 s[16:17], 1.0, v50
	v_mul_f32_e32 v30, 0x3f317218, v35
	v_fma_f32 v34, v35, s42, -v30
	v_fmac_f32_e32 v34, 0xb102e308, v35
	v_cndmask_b32_e64 v35, 1.0, 2.0, s[18:19]
	v_mul_f32_e32 v31, v31, v35
	v_add_f32_e32 v35, 1.0, v31
	v_rcp_f32_e32 v44, v35
	v_add_f32_e32 v36, -1.0, v35
	v_add_f32_e32 v37, -1.0, v31
	v_sub_f32_e32 v36, v31, v36
	v_mul_f32_e32 v31, v37, v44
	v_mul_f32_e32 v38, v35, v31
	v_fma_f32 v40, v31, v35, -v38
	v_fmac_f32_e32 v40, v31, v36
	v_add_f32_e32 v36, v38, v40
	v_sub_f32_e32 v39, v37, v36
	v_pk_add_f32 v[42:43], v[36:37], v[38:39] neg_lo:[0,1] neg_hi:[0,1]
	v_mov_b32_e32 v41, v36
	v_pk_add_f32 v[36:37], v[42:43], v[40:41] neg_lo:[0,1] neg_hi:[0,1]
	v_add_f32_e32 v35, v36, v37
	v_add_f32_e32 v35, v39, v35
	v_mul_f32_e32 v37, v44, v35
	v_add_f32_e32 v36, v31, v37
	v_sub_f32_e32 v31, v36, v31
	v_mul_f32_e32 v39, v36, v36
	v_sub_f32_e32 v46, v37, v31
	v_add_f32_e32 v31, v46, v46
	v_fma_f32 v37, v36, v36, -v39
	v_fmac_f32_e32 v37, v36, v31
	v_add_f32_e32 v38, v39, v37
	v_sub_f32_e32 v31, v38, v39
	v_sub_f32_e32 v31, v37, v31
	v_mov_b32_e32 v37, 0x3e91f4c4
	v_fmac_f32_e32 v37, 0x3e76c4e1, v38
	v_fma_f32 v37, v38, v37, v23
	v_mul_f32_e32 v39, v38, v37
	v_fma_f32 v40, v38, v37, -v39
	v_fmac_f32_e32 v40, v31, v37
	v_add_f32_e32 v42, v39, v40
	v_add_f32_e32 v41, 0x3f2aaaaa, v42
	v_sub_f32_e32 v37, v42, v39
	v_sub_f32_e32 v37, v40, v37
	v_add_f32_e32 v39, 0xbf2aaaaa, v41
	v_add_f32_e32 v37, 0x31739010, v37
	v_sub_f32_e32 v39, v42, v39
	v_pk_mul_f32 v[42:43], v[36:37], v[38:39]
	v_fma_f32 v40, v38, v36, -v42
	v_pk_add_f32 v[44:45], v[36:37], v[38:39]
	v_fmac_f32_e32 v40, v38, v46
	v_mov_b32_e32 v43, v45
	v_fmac_f32_e32 v40, v31, v36
	v_ldexp_f32 v35, v36, 1
	v_pk_add_f32 v[36:37], v[42:43], v[40:41]
	v_mov_b32_e32 v38, v37
	v_pk_mul_f32 v[38:39], v[36:37], v[38:39]
	v_sub_f32_e32 v31, v36, v42
	v_sub_f32_e32 v39, v41, v37
	;; [unrolled: 1-line block ×3, first 2 shown]
	v_add_f32_e32 v39, v45, v39
	v_fma_f32 v40, v36, v37, -v38
	v_fmac_f32_e32 v40, v36, v39
	v_fmac_f32_e32 v40, v31, v37
	v_add_f32_e32 v31, v38, v40
	v_pk_add_f32 v[36:37], v[30:31], v[34:35]
	v_mov_b32_e32 v42, v31
	v_mov_b32_e32 v43, v37
	;; [unrolled: 1-line block ×3, first 2 shown]
	v_pk_add_f32 v[38:39], v[42:43], v[38:39] neg_lo:[0,1] neg_hi:[0,1]
	v_mov_b32_e32 v41, v31
	v_ldexp_f32 v44, v46, 1
	v_pk_add_f32 v[38:39], v[40:41], v[38:39] neg_lo:[0,1] neg_hi:[0,1]
	v_add_f32_e32 v31, v44, v38
	v_add_f32_e32 v31, v31, v39
	v_pk_add_f32 v[38:39], v[36:37], v[30:31] neg_lo:[0,1] neg_hi:[0,1]
	v_pk_add_f32 v[40:41], v[36:37], v[30:31]
	v_mov_b32_e32 v42, v38
	v_mov_b32_e32 v43, v41
	;; [unrolled: 1-line block ×3, first 2 shown]
	v_pk_add_f32 v[42:43], v[34:35], v[42:43]
	v_mov_b32_e32 v30, v43
	v_pk_add_f32 v[44:45], v[30:31], v[36:37] neg_lo:[0,1] neg_hi:[0,1]
	v_mov_b32_e32 v45, v44
	v_mov_b32_e32 v42, v41
	;; [unrolled: 1-line block ×4, first 2 shown]
	v_pk_add_f32 v[38:39], v[34:35], v[38:39] neg_lo:[0,1] neg_hi:[0,1]
	v_pk_add_f32 v[46:47], v[40:41], v[44:45] neg_lo:[0,1] neg_hi:[0,1]
	;; [unrolled: 1-line block ×3, first 2 shown]
	v_mov_b32_e32 v34, v31
	v_pk_add_f32 v[34:35], v[34:35], v[36:37] neg_lo:[0,1] neg_hi:[0,1]
	v_mov_b32_e32 v46, v38
	v_pk_add_f32 v[36:37], v[46:47], v[34:35]
	v_mov_b32_e32 v40, v37
	v_pk_add_f32 v[40:41], v[36:37], v[40:41]
	v_pk_add_f32 v[30:31], v[30:31], v[40:41]
	v_mov_b32_e32 v39, v43
	v_mov_b32_e32 v37, v30
	v_pk_add_f32 v[42:43], v[36:37], v[38:39] neg_lo:[0,1] neg_hi:[0,1]
	v_mov_b32_e32 v35, v40
	v_sub_f32_e32 v31, v36, v42
	v_pk_add_f32 v[34:35], v[34:35], v[42:43] neg_lo:[0,1] neg_hi:[0,1]
	v_sub_f32_e32 v31, v38, v31
	v_add_f32_e32 v31, v34, v31
	v_add_f32_e32 v31, v31, v35
	;; [unrolled: 1-line block ×3, first 2 shown]
	v_mul_f32_e32 v35, v48, v34
	v_sub_f32_e32 v30, v34, v30
	v_sub_f32_e32 v30, v31, v30
	v_fma_f32 v31, v48, v34, -v35
	v_fmac_f32_e32 v31, v48, v30
	v_add_f32_e32 v30, v35, v31
	v_cmp_class_f32_e64 s[18:19], v35, s43
	v_cndmask_b32_e64 v34, v30, v35, s[18:19]
	v_cmp_eq_f32_e64 s[18:19], s44, v34
	v_cndmask_b32_e64 v36, 0, v25, s[18:19]
	v_sub_f32_e32 v37, v34, v36
	v_mul_f32_e32 v38, 0x3fb8aa3b, v37
	v_fma_f32 v39, v37, s45, -v38
	v_rndne_f32_e32 v40, v38
	v_fmac_f32_e32 v39, 0x32a5705f, v37
	v_sub_f32_e32 v38, v38, v40
	v_add_f32_e32 v38, v38, v39
	v_exp_f32_e32 v38, v38
	v_cvt_i32_f32_e32 v39, v40
	s_xor_b64 s[14:15], s[14:15], s[16:17]
	v_cndmask_b32_e64 v40, v52, 0, s[14:15]
	v_cmp_eq_f32_e64 s[14:15], 1.0, v50
	v_cndmask_b32_e64 v40, v40, v50, s[14:15]
	v_ldexp_f32 v38, v38, v39
	v_cmp_ngt_f32_e64 s[14:15], s46, v37
	v_cndmask_b32_e64 v38, 0, v38, s[14:15]
	v_cmp_nlt_f32_e64 s[14:15], s44, v37
	v_sub_f32_e32 v30, v30, v35
	v_cndmask_b32_e64 v37, v24, v38, s[14:15]
	v_sub_f32_e32 v30, v31, v30
	v_cmp_neq_f32_e64 s[14:15], |v34|, s39
	v_cndmask_b32_e64 v30, 0, v30, s[14:15]
	v_add_f32_e32 v30, v36, v30
	v_fma_f32 v30, v37, v30, v37
	v_cmp_class_f32_e64 s[14:15], v37, s43
	v_cndmask_b32_e64 v30, v30, v37, s[14:15]
	v_cndmask_b32_e64 v31, 1.0, v49, s[12:13]
	v_bfi_b32 v30, s40, v30, v31
	v_cndmask_b32_e64 v31, v26, v30, s[10:11]
	v_cmp_gt_f32_e64 s[10:11], 0, v49
	v_cmp_eq_f32_e64 s[6:7], s39, v50
	v_cndmask_b32_e64 v30, v30, v31, s[10:11]
	v_cmp_eq_f32_e64 s[10:11], s39, v52
	v_cndmask_b32_e64 v30, v30, v40, s[10:11]
	s_or_b64 s[6:7], s[6:7], s[8:9]
	v_cndmask_b32_e64 v30, v30, v51, s[6:7]
	v_cmp_o_f32_e64 s[6:7], v49, v48
	v_cndmask_b32_e64 v30, v26, v30, s[6:7]
	global_store_dword v[32:33], v30, off
	s_or_b64 exec, exec, s[34:35]
	s_and_saveexec_b64 s[12:13], s[2:3]
	s_cbranch_execz .LBB67_13
.LBB67_17:                              ;   in Loop: Header=BB67_4 Depth=1
	v_mov_b32_e32 v46, s36
	s_waitcnt vmcnt(0)
	v_cmp_eq_f32_e64 s[2:3], 1.0, v29
	v_cndmask_b32_e64 v47, v46, 1.0, s[2:3]
	v_cmp_eq_f32_e64 s[6:7], 0, v47
	v_cndmask_b32_e64 v48, |v29|, 1.0, s[6:7]
	v_frexp_mant_f32_e32 v30, v48
	v_cmp_gt_f32_e64 s[8:9], s41, v30
	v_cndmask_b32_e64 v31, 1.0, 2.0, s[8:9]
	v_mul_f32_e32 v30, v30, v31
	v_add_f32_e32 v33, 1.0, v30
	v_rcp_f32_e32 v38, v33
	v_add_f32_e32 v31, -1.0, v33
	v_sub_f32_e32 v35, v30, v31
	v_add_f32_e32 v31, -1.0, v30
	v_mul_f32_e32 v39, v31, v38
	v_mul_f32_e32 v32, v33, v39
	v_fma_f32 v34, v39, v33, -v32
	v_fmac_f32_e32 v34, v39, v35
	v_add_f32_e32 v30, v32, v34
	v_sub_f32_e32 v33, v31, v30
	v_pk_add_f32 v[36:37], v[30:31], v[32:33] neg_lo:[0,1] neg_hi:[0,1]
	v_mov_b32_e32 v35, v30
	v_pk_add_f32 v[30:31], v[36:37], v[34:35] neg_lo:[0,1] neg_hi:[0,1]
	v_add_f32_e32 v30, v30, v31
	v_add_f32_e32 v30, v33, v30
	v_mul_f32_e32 v31, v38, v30
	v_add_f32_e32 v30, v39, v31
	v_sub_f32_e32 v32, v30, v39
	v_sub_f32_e32 v40, v31, v32
	v_mul_f32_e32 v31, v30, v30
	v_fma_f32 v33, v30, v30, -v31
	v_add_f32_e32 v32, v40, v40
	v_fmac_f32_e32 v33, v30, v32
	v_add_f32_e32 v32, v31, v33
	v_mov_b32_e32 v34, 0x3e91f4c4
	v_fmac_f32_e32 v34, 0x3e76c4e1, v32
	v_fma_f32 v34, v32, v34, v23
	v_sub_f32_e32 v31, v32, v31
	v_sub_f32_e32 v41, v33, v31
	v_mul_f32_e32 v31, v32, v34
	v_fma_f32 v33, v32, v34, -v31
	v_fmac_f32_e32 v33, v41, v34
	v_add_f32_e32 v34, v31, v33
	v_add_f32_e32 v35, 0x3f2aaaaa, v34
	v_sub_f32_e32 v31, v34, v31
	v_sub_f32_e32 v31, v33, v31
	v_add_f32_e32 v33, 0xbf2aaaaa, v35
	v_add_f32_e32 v31, 0x31739010, v31
	v_sub_f32_e32 v33, v34, v33
	v_pk_mul_f32 v[36:37], v[30:31], v[32:33]
	v_fma_f32 v34, v32, v30, -v36
	v_pk_add_f32 v[38:39], v[30:31], v[32:33]
	v_fmac_f32_e32 v34, v32, v40
	v_mov_b32_e32 v37, v39
	v_fmac_f32_e32 v34, v41, v30
	v_pk_add_f32 v[32:33], v[36:37], v[34:35]
	v_sub_f32_e32 v31, v32, v36
	v_sub_f32_e32 v31, v34, v31
	;; [unrolled: 1-line block ×3, first 2 shown]
	v_add_f32_e32 v38, v39, v34
	v_mov_b32_e32 v34, v33
	v_pk_mul_f32 v[34:35], v[32:33], v[34:35]
	v_cvt_f64_f32_e32 v[36:37], v48
	v_frexp_exp_i32_f64_e32 v35, v[36:37]
	v_subbrev_co_u32_e64 v35, s[8:9], 0, v35, s[8:9]
	v_cvt_f32_i32_e32 v35, v35
	v_fma_f32 v36, v32, v33, -v34
	v_fmac_f32_e32 v36, v32, v38
	v_fmac_f32_e32 v36, v31, v33
	v_mul_f32_e32 v32, 0x3f317218, v35
	v_fma_f32 v38, v35, s42, -v32
	v_fmac_f32_e32 v38, 0xb102e308, v35
	v_ldexp_f32 v39, v30, 1
	v_add_f32_e32 v33, v34, v36
	v_pk_add_f32 v[30:31], v[32:33], v[38:39]
	v_ldexp_f32 v42, v40, 1
	v_mov_b32_e32 v40, v33
	v_mov_b32_e32 v41, v31
	;; [unrolled: 1-line block ×3, first 2 shown]
	v_pk_add_f32 v[34:35], v[40:41], v[34:35] neg_lo:[0,1] neg_hi:[0,1]
	v_mov_b32_e32 v37, v33
	v_pk_add_f32 v[34:35], v[36:37], v[34:35] neg_lo:[0,1] neg_hi:[0,1]
	v_add_f32_e32 v33, v42, v34
	v_add_f32_e32 v33, v33, v35
	v_pk_add_f32 v[34:35], v[30:31], v[32:33] neg_lo:[0,1] neg_hi:[0,1]
	v_pk_add_f32 v[36:37], v[30:31], v[32:33]
	v_mov_b32_e32 v40, v34
	v_mov_b32_e32 v41, v37
	;; [unrolled: 1-line block ×3, first 2 shown]
	v_pk_add_f32 v[40:41], v[38:39], v[40:41]
	v_mov_b32_e32 v32, v41
	v_pk_add_f32 v[42:43], v[32:33], v[30:31] neg_lo:[0,1] neg_hi:[0,1]
	v_mov_b32_e32 v43, v42
	v_mov_b32_e32 v40, v37
	v_mov_b32_e32 v30, v31
	v_mov_b32_e32 v31, v42
	v_pk_add_f32 v[34:35], v[38:39], v[34:35] neg_lo:[0,1] neg_hi:[0,1]
	v_pk_add_f32 v[44:45], v[36:37], v[42:43] neg_lo:[0,1] neg_hi:[0,1]
	v_pk_add_f32 v[30:31], v[40:41], v[30:31] neg_lo:[0,1] neg_hi:[0,1]
	v_mov_b32_e32 v38, v33
	v_pk_add_f32 v[30:31], v[38:39], v[30:31] neg_lo:[0,1] neg_hi:[0,1]
	v_mov_b32_e32 v44, v34
	v_pk_add_f32 v[36:37], v[44:45], v[30:31]
	v_mov_b32_e32 v38, v37
	v_pk_add_f32 v[38:39], v[36:37], v[38:39]
	v_pk_add_f32 v[32:33], v[32:33], v[38:39]
	v_mov_b32_e32 v35, v41
	v_mov_b32_e32 v37, v32
	v_pk_add_f32 v[40:41], v[36:37], v[34:35] neg_lo:[0,1] neg_hi:[0,1]
	v_mov_b32_e32 v31, v38
	v_sub_f32_e32 v33, v36, v40
	v_pk_add_f32 v[30:31], v[30:31], v[40:41] neg_lo:[0,1] neg_hi:[0,1]
	v_sub_f32_e32 v33, v34, v33
	v_add_f32_e32 v30, v30, v33
	v_add_f32_e32 v30, v30, v31
	;; [unrolled: 1-line block ×3, first 2 shown]
	v_sub_f32_e32 v32, v31, v32
	v_sub_f32_e32 v30, v30, v32
	v_mul_f32_e32 v32, v47, v31
	v_fma_f32 v31, v47, v31, -v32
	v_fmac_f32_e32 v31, v47, v30
	v_add_f32_e32 v30, v32, v31
	v_cmp_class_f32_e64 s[8:9], v32, s43
	v_sub_f32_e32 v33, v30, v32
	v_cndmask_b32_e64 v30, v30, v32, s[8:9]
	v_cmp_eq_f32_e64 s[8:9], s44, v30
	v_cndmask_b32_e64 v32, 0, v25, s[8:9]
	v_sub_f32_e32 v31, v31, v33
	v_sub_f32_e32 v33, v30, v32
	v_mul_f32_e32 v34, 0x3fb8aa3b, v33
	v_fma_f32 v35, v33, s45, -v34
	v_rndne_f32_e32 v36, v34
	v_fmac_f32_e32 v35, 0x32a5705f, v33
	v_sub_f32_e32 v34, v34, v36
	v_add_f32_e32 v34, v34, v35
	v_exp_f32_e32 v34, v34
	v_cvt_i32_f32_e32 v35, v36
	v_cmp_neq_f32_e64 s[8:9], |v30|, s39
	v_cndmask_b32_e64 v30, 0, v31, s[8:9]
	v_cmp_ngt_f32_e64 s[8:9], s46, v33
	v_ldexp_f32 v31, v34, v35
	v_cndmask_b32_e64 v31, 0, v31, s[8:9]
	v_cmp_nlt_f32_e64 s[8:9], s44, v33
	v_add_f32_e32 v30, v32, v30
	v_cndmask_b32_e64 v31, v24, v31, s[8:9]
	v_fma_f32 v30, v31, v30, v31
	v_cmp_class_f32_e64 s[8:9], v31, s43
	v_cndmask_b32_e64 v30, v30, v31, s[8:9]
	v_trunc_f32_e32 v31, v47
	v_cndmask_b32_e64 v29, v29, 1.0, s[6:7]
	v_cmp_eq_f32_e64 s[6:7], v31, v47
	v_mul_f32_e32 v31, 0.5, v47
	v_trunc_f32_e32 v32, v31
	v_cmp_neq_f32_e64 s[8:9], v32, v31
	s_and_b64 s[8:9], s[6:7], s[8:9]
	v_cndmask_b32_e64 v31, 1.0, v29, s[8:9]
	v_bfi_b32 v30, s40, v30, v31
	v_cndmask_b32_e64 v31, v26, v30, s[6:7]
	v_cmp_gt_f32_e64 s[6:7], 0, v29
	v_cndmask_b32_e64 v30, v30, v31, s[6:7]
	v_cndmask_b32_e64 v31, |v46|, 1.0, s[2:3]
	v_cmp_neq_f32_e64 s[2:3], v47, v31
	v_cmp_gt_f32_e64 s[6:7], 1.0, v48
	s_xor_b64 s[2:3], s[2:3], s[6:7]
	v_cndmask_b32_e64 v32, v31, 0, s[2:3]
	v_cmp_eq_f32_e64 s[2:3], 1.0, v48
	v_cmp_eq_f32_e64 s[6:7], 0, v29
	v_cmp_gt_f32_e64 s[10:11], 0, v47
	v_cndmask_b32_e64 v32, v32, v48, s[2:3]
	v_cmp_eq_f32_e64 s[2:3], s39, v31
	s_xor_b64 s[10:11], s[10:11], s[6:7]
	v_cndmask_b32_e64 v30, v30, v32, s[2:3]
	v_cmp_eq_f32_e64 s[2:3], s39, v48
	v_cndmask_b32_e64 v31, v24, 0, s[10:11]
	v_cndmask_b32_e64 v32, 0, v29, s[8:9]
	v_bfi_b32 v31, s40, v31, v32
	s_or_b64 s[2:3], s[2:3], s[6:7]
	v_cndmask_b32_e64 v30, v30, v31, s[2:3]
	v_cmp_o_f32_e64 s[2:3], v29, v47
	v_cndmask_b32_e64 v29, v26, v30, s[2:3]
	v_mov_b32_e32 v31, s27
	v_add_co_u32_e64 v30, s[2:3], s26, v16
	v_addc_co_u32_e64 v31, s[2:3], v15, v31, s[2:3]
	global_store_dword v[30:31], v29, off
	s_or_b64 exec, exec, s[12:13]
	s_and_saveexec_b64 s[10:11], s[0:1]
	s_cbranch_execz .LBB67_14
.LBB67_18:                              ;   in Loop: Header=BB67_4 Depth=1
	v_mov_b32_e32 v46, s36
	s_waitcnt vmcnt(0)
	v_cmp_eq_f32_e64 s[0:1], 1.0, v28
	v_cndmask_b32_e64 v47, v46, 1.0, s[0:1]
	v_cmp_eq_f32_e64 s[2:3], 0, v47
	v_cndmask_b32_e64 v48, |v28|, 1.0, s[2:3]
	v_frexp_mant_f32_e32 v29, v48
	v_cmp_gt_f32_e64 s[6:7], s41, v29
	v_cndmask_b32_e64 v30, 1.0, 2.0, s[6:7]
	v_mul_f32_e32 v29, v29, v30
	v_add_f32_e32 v30, 1.0, v29
	v_rcp_f32_e32 v38, v30
	v_add_f32_e32 v31, -1.0, v30
	v_sub_f32_e32 v33, v29, v31
	v_add_f32_e32 v31, -1.0, v29
	v_mul_f32_e32 v29, v31, v38
	v_mul_f32_e32 v32, v30, v29
	v_fma_f32 v34, v29, v30, -v32
	v_fmac_f32_e32 v34, v29, v33
	v_add_f32_e32 v30, v32, v34
	v_sub_f32_e32 v33, v31, v30
	v_pk_add_f32 v[36:37], v[30:31], v[32:33] neg_lo:[0,1] neg_hi:[0,1]
	v_mov_b32_e32 v35, v30
	v_pk_add_f32 v[30:31], v[36:37], v[34:35] neg_lo:[0,1] neg_hi:[0,1]
	v_add_f32_e32 v30, v30, v31
	v_add_f32_e32 v30, v33, v30
	v_mul_f32_e32 v31, v38, v30
	v_add_f32_e32 v30, v29, v31
	v_sub_f32_e32 v29, v30, v29
	v_sub_f32_e32 v29, v31, v29
	v_mul_f32_e32 v31, v30, v30
	v_fma_f32 v33, v30, v30, -v31
	v_add_f32_e32 v32, v29, v29
	v_fmac_f32_e32 v33, v30, v32
	v_add_f32_e32 v32, v31, v33
	v_mov_b32_e32 v34, 0x3e91f4c4
	v_fmac_f32_e32 v34, 0x3e76c4e1, v32
	v_fma_f32 v34, v32, v34, v23
	v_sub_f32_e32 v31, v32, v31
	v_sub_f32_e32 v40, v33, v31
	v_mul_f32_e32 v31, v32, v34
	v_fma_f32 v33, v32, v34, -v31
	v_fmac_f32_e32 v33, v40, v34
	v_add_f32_e32 v34, v31, v33
	v_add_f32_e32 v35, 0x3f2aaaaa, v34
	v_sub_f32_e32 v31, v34, v31
	v_sub_f32_e32 v31, v33, v31
	v_add_f32_e32 v33, 0xbf2aaaaa, v35
	v_add_f32_e32 v31, 0x31739010, v31
	v_sub_f32_e32 v33, v34, v33
	v_pk_mul_f32 v[36:37], v[30:31], v[32:33]
	v_fma_f32 v34, v32, v30, -v36
	v_pk_add_f32 v[38:39], v[30:31], v[32:33]
	v_fmac_f32_e32 v34, v32, v29
	v_mov_b32_e32 v37, v39
	v_fmac_f32_e32 v34, v40, v30
	v_pk_add_f32 v[32:33], v[36:37], v[34:35]
	v_sub_f32_e32 v31, v32, v36
	v_sub_f32_e32 v31, v34, v31
	;; [unrolled: 1-line block ×3, first 2 shown]
	v_add_f32_e32 v38, v39, v34
	v_mov_b32_e32 v34, v33
	v_pk_mul_f32 v[34:35], v[32:33], v[34:35]
	v_cvt_f64_f32_e32 v[36:37], v48
	v_frexp_exp_i32_f64_e32 v35, v[36:37]
	v_subbrev_co_u32_e64 v35, s[6:7], 0, v35, s[6:7]
	v_cvt_f32_i32_e32 v35, v35
	v_fma_f32 v36, v32, v33, -v34
	v_fmac_f32_e32 v36, v32, v38
	v_fmac_f32_e32 v36, v31, v33
	v_mul_f32_e32 v32, 0x3f317218, v35
	v_fma_f32 v38, v35, s42, -v32
	v_fmac_f32_e32 v38, 0xb102e308, v35
	v_ldexp_f32 v39, v30, 1
	v_add_f32_e32 v33, v34, v36
	v_pk_add_f32 v[30:31], v[32:33], v[38:39]
	v_mov_b32_e32 v40, v33
	v_mov_b32_e32 v41, v31
	;; [unrolled: 1-line block ×3, first 2 shown]
	v_pk_add_f32 v[34:35], v[40:41], v[34:35] neg_lo:[0,1] neg_hi:[0,1]
	v_mov_b32_e32 v37, v33
	v_ldexp_f32 v29, v29, 1
	v_pk_add_f32 v[34:35], v[36:37], v[34:35] neg_lo:[0,1] neg_hi:[0,1]
	v_add_f32_e32 v29, v29, v34
	v_add_f32_e32 v33, v29, v35
	v_pk_add_f32 v[34:35], v[30:31], v[32:33] neg_lo:[0,1] neg_hi:[0,1]
	v_pk_add_f32 v[36:37], v[30:31], v[32:33]
	v_mov_b32_e32 v40, v34
	v_mov_b32_e32 v41, v37
	;; [unrolled: 1-line block ×3, first 2 shown]
	v_pk_add_f32 v[40:41], v[38:39], v[40:41]
	v_mov_b32_e32 v32, v41
	v_pk_add_f32 v[42:43], v[32:33], v[30:31] neg_lo:[0,1] neg_hi:[0,1]
	v_mov_b32_e32 v29, v42
	v_mov_b32_e32 v40, v37
	;; [unrolled: 1-line block ×4, first 2 shown]
	v_pk_add_f32 v[34:35], v[38:39], v[34:35] neg_lo:[0,1] neg_hi:[0,1]
	v_pk_add_f32 v[44:45], v[36:37], v[28:29] neg_lo:[0,1] neg_hi:[0,1]
	;; [unrolled: 1-line block ×3, first 2 shown]
	v_mov_b32_e32 v38, v33
	v_pk_add_f32 v[30:31], v[38:39], v[30:31] neg_lo:[0,1] neg_hi:[0,1]
	v_mov_b32_e32 v44, v34
	v_pk_add_f32 v[36:37], v[44:45], v[30:31]
	v_mov_b32_e32 v38, v37
	v_pk_add_f32 v[38:39], v[36:37], v[38:39]
	v_pk_add_f32 v[32:33], v[32:33], v[38:39]
	v_mov_b32_e32 v35, v41
	v_mov_b32_e32 v37, v32
	v_pk_add_f32 v[40:41], v[36:37], v[34:35] neg_lo:[0,1] neg_hi:[0,1]
	v_mov_b32_e32 v31, v38
	v_sub_f32_e32 v29, v36, v40
	v_pk_add_f32 v[30:31], v[30:31], v[40:41] neg_lo:[0,1] neg_hi:[0,1]
	v_sub_f32_e32 v29, v34, v29
	v_add_f32_e32 v29, v30, v29
	v_add_f32_e32 v29, v29, v31
	;; [unrolled: 1-line block ×3, first 2 shown]
	v_sub_f32_e32 v31, v30, v32
	v_sub_f32_e32 v29, v29, v31
	v_mul_f32_e32 v31, v47, v30
	v_fma_f32 v30, v47, v30, -v31
	v_fmac_f32_e32 v30, v47, v29
	v_add_f32_e32 v29, v31, v30
	v_cmp_class_f32_e64 s[6:7], v31, s43
	v_sub_f32_e32 v32, v29, v31
	v_cndmask_b32_e64 v29, v29, v31, s[6:7]
	v_cmp_eq_f32_e64 s[6:7], s44, v29
	v_cndmask_b32_e64 v31, 0, v25, s[6:7]
	v_sub_f32_e32 v30, v30, v32
	v_sub_f32_e32 v32, v29, v31
	v_mul_f32_e32 v33, 0x3fb8aa3b, v32
	v_fma_f32 v34, v32, s45, -v33
	v_rndne_f32_e32 v35, v33
	v_fmac_f32_e32 v34, 0x32a5705f, v32
	v_sub_f32_e32 v33, v33, v35
	v_add_f32_e32 v33, v33, v34
	v_exp_f32_e32 v33, v33
	v_cvt_i32_f32_e32 v34, v35
	v_cmp_neq_f32_e64 s[6:7], |v29|, s39
	v_cndmask_b32_e64 v29, 0, v30, s[6:7]
	v_cmp_ngt_f32_e64 s[6:7], s46, v32
	v_ldexp_f32 v30, v33, v34
	v_cndmask_b32_e64 v30, 0, v30, s[6:7]
	v_cmp_nlt_f32_e64 s[6:7], s44, v32
	v_add_f32_e32 v29, v31, v29
	v_cndmask_b32_e64 v30, v24, v30, s[6:7]
	v_fma_f32 v29, v30, v29, v30
	v_cmp_class_f32_e64 s[6:7], v30, s43
	v_cndmask_b32_e64 v29, v29, v30, s[6:7]
	v_trunc_f32_e32 v30, v47
	v_cndmask_b32_e64 v28, v28, 1.0, s[2:3]
	v_cmp_eq_f32_e64 s[2:3], v30, v47
	v_mul_f32_e32 v30, 0.5, v47
	v_trunc_f32_e32 v31, v30
	v_cmp_neq_f32_e64 s[6:7], v31, v30
	s_and_b64 s[6:7], s[2:3], s[6:7]
	v_cndmask_b32_e64 v30, 1.0, v28, s[6:7]
	v_bfi_b32 v29, s40, v29, v30
	v_cndmask_b32_e64 v30, v26, v29, s[2:3]
	v_cmp_gt_f32_e64 s[2:3], 0, v28
	v_cndmask_b32_e64 v29, v29, v30, s[2:3]
	v_cndmask_b32_e64 v30, |v46|, 1.0, s[0:1]
	v_cmp_neq_f32_e64 s[0:1], v47, v30
	v_cmp_gt_f32_e64 s[2:3], 1.0, v48
	s_xor_b64 s[0:1], s[0:1], s[2:3]
	v_cndmask_b32_e64 v31, v30, 0, s[0:1]
	v_cmp_eq_f32_e64 s[0:1], 1.0, v48
	v_cmp_eq_f32_e64 s[2:3], 0, v28
	v_cmp_gt_f32_e64 s[8:9], 0, v47
	v_cndmask_b32_e64 v31, v31, v48, s[0:1]
	v_cmp_eq_f32_e64 s[0:1], s39, v30
	s_xor_b64 s[8:9], s[8:9], s[2:3]
	v_cndmask_b32_e64 v29, v29, v31, s[0:1]
	v_cmp_eq_f32_e64 s[0:1], s39, v48
	v_cndmask_b32_e64 v30, v24, 0, s[8:9]
	v_cndmask_b32_e64 v31, 0, v28, s[6:7]
	v_bfi_b32 v30, s40, v30, v31
	s_or_b64 s[0:1], s[0:1], s[2:3]
	v_cndmask_b32_e64 v29, v29, v30, s[0:1]
	v_cmp_o_f32_e64 s[0:1], v28, v47
	v_cndmask_b32_e64 v30, v26, v29, s[0:1]
	v_mov_b32_e32 v29, s27
	v_add_co_u32_e64 v28, s[0:1], s26, v12
	v_addc_co_u32_e64 v29, s[0:1], v11, v29, s[0:1]
	global_store_dword v[28:29], v30, off
	s_or_b64 exec, exec, s[10:11]
	s_and_saveexec_b64 s[8:9], vcc
	s_cbranch_execz .LBB67_3
.LBB67_19:                              ;   in Loop: Header=BB67_4 Depth=1
	v_mov_b32_e32 v44, s36
	s_waitcnt vmcnt(0)
	v_cmp_eq_f32_e32 vcc, 1.0, v27
	v_cndmask_b32_e64 v45, v44, 1.0, vcc
	v_cmp_eq_f32_e64 s[0:1], 0, v45
	v_cndmask_b32_e64 v46, |v27|, 1.0, s[0:1]
	v_frexp_mant_f32_e32 v28, v46
	v_cmp_gt_f32_e64 s[2:3], s41, v28
	v_cndmask_b32_e64 v29, 1.0, 2.0, s[2:3]
	v_mul_f32_e32 v28, v28, v29
	v_add_f32_e32 v31, 1.0, v28
	v_rcp_f32_e32 v36, v31
	v_add_f32_e32 v29, -1.0, v31
	v_sub_f32_e32 v33, v28, v29
	v_add_f32_e32 v29, -1.0, v28
	v_mul_f32_e32 v37, v29, v36
	v_mul_f32_e32 v30, v31, v37
	v_fma_f32 v32, v37, v31, -v30
	v_fmac_f32_e32 v32, v37, v33
	v_add_f32_e32 v28, v30, v32
	v_sub_f32_e32 v31, v29, v28
	v_pk_add_f32 v[34:35], v[28:29], v[30:31] neg_lo:[0,1] neg_hi:[0,1]
	v_mov_b32_e32 v33, v28
	v_pk_add_f32 v[28:29], v[34:35], v[32:33] neg_lo:[0,1] neg_hi:[0,1]
	v_add_f32_e32 v28, v28, v29
	v_add_f32_e32 v28, v31, v28
	v_mul_f32_e32 v29, v36, v28
	v_add_f32_e32 v28, v37, v29
	v_sub_f32_e32 v30, v28, v37
	v_sub_f32_e32 v38, v29, v30
	v_mul_f32_e32 v29, v28, v28
	v_fma_f32 v31, v28, v28, -v29
	v_add_f32_e32 v30, v38, v38
	v_fmac_f32_e32 v31, v28, v30
	v_add_f32_e32 v30, v29, v31
	v_mov_b32_e32 v32, 0x3e91f4c4
	v_fmac_f32_e32 v32, 0x3e76c4e1, v30
	v_fma_f32 v32, v30, v32, v23
	v_sub_f32_e32 v29, v30, v29
	v_sub_f32_e32 v39, v31, v29
	v_mul_f32_e32 v29, v30, v32
	v_fma_f32 v31, v30, v32, -v29
	v_fmac_f32_e32 v31, v39, v32
	v_add_f32_e32 v32, v29, v31
	v_add_f32_e32 v33, 0x3f2aaaaa, v32
	v_sub_f32_e32 v29, v32, v29
	v_sub_f32_e32 v29, v31, v29
	v_add_f32_e32 v31, 0xbf2aaaaa, v33
	v_add_f32_e32 v29, 0x31739010, v29
	v_sub_f32_e32 v31, v32, v31
	v_pk_mul_f32 v[34:35], v[28:29], v[30:31]
	v_fma_f32 v32, v30, v28, -v34
	v_pk_add_f32 v[36:37], v[28:29], v[30:31]
	v_fmac_f32_e32 v32, v30, v38
	v_mov_b32_e32 v35, v37
	v_fmac_f32_e32 v32, v39, v28
	v_pk_add_f32 v[30:31], v[34:35], v[32:33]
	v_sub_f32_e32 v29, v30, v34
	v_sub_f32_e32 v29, v32, v29
	;; [unrolled: 1-line block ×3, first 2 shown]
	v_add_f32_e32 v36, v37, v32
	v_mov_b32_e32 v32, v31
	v_pk_mul_f32 v[32:33], v[30:31], v[32:33]
	v_cvt_f64_f32_e32 v[34:35], v46
	v_frexp_exp_i32_f64_e32 v33, v[34:35]
	v_subbrev_co_u32_e64 v33, s[2:3], 0, v33, s[2:3]
	v_cvt_f32_i32_e32 v33, v33
	v_fma_f32 v34, v30, v31, -v32
	v_fmac_f32_e32 v34, v30, v36
	v_fmac_f32_e32 v34, v29, v31
	v_mul_f32_e32 v30, 0x3f317218, v33
	v_fma_f32 v36, v33, s42, -v30
	v_fmac_f32_e32 v36, 0xb102e308, v33
	v_ldexp_f32 v37, v28, 1
	v_add_f32_e32 v31, v32, v34
	v_pk_add_f32 v[28:29], v[30:31], v[36:37]
	v_ldexp_f32 v40, v38, 1
	v_mov_b32_e32 v38, v31
	v_mov_b32_e32 v39, v29
	;; [unrolled: 1-line block ×3, first 2 shown]
	v_pk_add_f32 v[32:33], v[38:39], v[32:33] neg_lo:[0,1] neg_hi:[0,1]
	v_mov_b32_e32 v35, v31
	v_pk_add_f32 v[32:33], v[34:35], v[32:33] neg_lo:[0,1] neg_hi:[0,1]
	v_add_f32_e32 v31, v40, v32
	v_add_f32_e32 v31, v31, v33
	v_pk_add_f32 v[32:33], v[28:29], v[30:31] neg_lo:[0,1] neg_hi:[0,1]
	v_pk_add_f32 v[34:35], v[28:29], v[30:31]
	v_mov_b32_e32 v38, v32
	v_mov_b32_e32 v39, v35
	;; [unrolled: 1-line block ×3, first 2 shown]
	v_pk_add_f32 v[38:39], v[36:37], v[38:39]
	v_mov_b32_e32 v30, v39
	v_pk_add_f32 v[40:41], v[30:31], v[28:29] neg_lo:[0,1] neg_hi:[0,1]
	v_mov_b32_e32 v41, v40
	v_mov_b32_e32 v38, v35
	;; [unrolled: 1-line block ×4, first 2 shown]
	v_pk_add_f32 v[32:33], v[36:37], v[32:33] neg_lo:[0,1] neg_hi:[0,1]
	v_pk_add_f32 v[42:43], v[34:35], v[40:41] neg_lo:[0,1] neg_hi:[0,1]
	;; [unrolled: 1-line block ×3, first 2 shown]
	v_mov_b32_e32 v36, v31
	v_pk_add_f32 v[28:29], v[36:37], v[28:29] neg_lo:[0,1] neg_hi:[0,1]
	v_mov_b32_e32 v42, v32
	v_pk_add_f32 v[34:35], v[42:43], v[28:29]
	v_mov_b32_e32 v36, v35
	v_pk_add_f32 v[36:37], v[34:35], v[36:37]
	v_pk_add_f32 v[30:31], v[30:31], v[36:37]
	v_mov_b32_e32 v33, v39
	v_mov_b32_e32 v35, v30
	v_pk_add_f32 v[38:39], v[34:35], v[32:33] neg_lo:[0,1] neg_hi:[0,1]
	v_mov_b32_e32 v29, v36
	v_sub_f32_e32 v31, v34, v38
	v_pk_add_f32 v[28:29], v[28:29], v[38:39] neg_lo:[0,1] neg_hi:[0,1]
	v_sub_f32_e32 v31, v32, v31
	v_add_f32_e32 v28, v28, v31
	v_add_f32_e32 v28, v28, v29
	;; [unrolled: 1-line block ×3, first 2 shown]
	v_sub_f32_e32 v30, v29, v30
	v_sub_f32_e32 v28, v28, v30
	v_mul_f32_e32 v30, v45, v29
	v_fma_f32 v29, v45, v29, -v30
	v_fmac_f32_e32 v29, v45, v28
	v_add_f32_e32 v28, v30, v29
	v_cmp_class_f32_e64 s[2:3], v30, s43
	v_sub_f32_e32 v31, v28, v30
	v_cndmask_b32_e64 v28, v28, v30, s[2:3]
	v_cmp_eq_f32_e64 s[2:3], s44, v28
	v_cndmask_b32_e64 v30, 0, v25, s[2:3]
	v_sub_f32_e32 v29, v29, v31
	v_sub_f32_e32 v31, v28, v30
	v_mul_f32_e32 v32, 0x3fb8aa3b, v31
	v_fma_f32 v33, v31, s45, -v32
	v_rndne_f32_e32 v34, v32
	v_fmac_f32_e32 v33, 0x32a5705f, v31
	v_sub_f32_e32 v32, v32, v34
	v_add_f32_e32 v32, v32, v33
	v_exp_f32_e32 v32, v32
	v_cvt_i32_f32_e32 v33, v34
	v_cmp_neq_f32_e64 s[2:3], |v28|, s39
	v_cndmask_b32_e64 v28, 0, v29, s[2:3]
	v_cmp_ngt_f32_e64 s[2:3], s46, v31
	v_ldexp_f32 v29, v32, v33
	v_cndmask_b32_e64 v29, 0, v29, s[2:3]
	v_cmp_nlt_f32_e64 s[2:3], s44, v31
	v_add_f32_e32 v28, v30, v28
	v_cndmask_b32_e64 v29, v24, v29, s[2:3]
	v_fma_f32 v28, v29, v28, v29
	v_cmp_class_f32_e64 s[2:3], v29, s43
	v_cndmask_b32_e64 v28, v28, v29, s[2:3]
	v_trunc_f32_e32 v29, v45
	v_cndmask_b32_e64 v27, v27, 1.0, s[0:1]
	v_cmp_eq_f32_e64 s[0:1], v29, v45
	v_mul_f32_e32 v29, 0.5, v45
	v_trunc_f32_e32 v30, v29
	v_cmp_neq_f32_e64 s[2:3], v30, v29
	s_and_b64 s[2:3], s[0:1], s[2:3]
	v_cndmask_b32_e64 v29, 1.0, v27, s[2:3]
	v_bfi_b32 v28, s40, v28, v29
	v_cndmask_b32_e64 v29, v26, v28, s[0:1]
	v_cmp_gt_f32_e64 s[0:1], 0, v27
	v_cndmask_b32_e64 v28, v28, v29, s[0:1]
	v_cndmask_b32_e64 v29, |v44|, 1.0, vcc
	v_cmp_neq_f32_e32 vcc, v45, v29
	v_cmp_gt_f32_e64 s[0:1], 1.0, v46
	s_xor_b64 s[0:1], vcc, s[0:1]
	v_cndmask_b32_e64 v30, v29, 0, s[0:1]
	v_cmp_eq_f32_e32 vcc, 1.0, v46
	v_cmp_eq_f32_e64 s[0:1], 0, v27
	v_cmp_gt_f32_e64 s[6:7], 0, v45
	v_cndmask_b32_e32 v30, v30, v46, vcc
	v_cmp_eq_f32_e32 vcc, s39, v29
	s_xor_b64 s[6:7], s[6:7], s[0:1]
	v_cndmask_b32_e32 v28, v28, v30, vcc
	v_cmp_eq_f32_e32 vcc, s39, v46
	v_cndmask_b32_e64 v29, v24, 0, s[6:7]
	v_cndmask_b32_e64 v30, 0, v27, s[2:3]
	v_bfi_b32 v29, s40, v29, v30
	s_or_b64 vcc, vcc, s[0:1]
	v_cndmask_b32_e32 v28, v28, v29, vcc
	v_cmp_o_f32_e32 vcc, v27, v45
	v_cndmask_b32_e32 v27, v26, v28, vcc
	v_mov_b32_e32 v29, s27
	v_add_co_u32_e32 v28, vcc, s26, v8
	v_addc_co_u32_e32 v29, vcc, v7, v29, vcc
	global_store_dword v[28:29], v27, off
	s_branch .LBB67_3
.LBB67_20:
	s_mov_b64 s[0:1], 0
.LBB67_21:
	s_andn2_b64 vcc, exec, s[0:1]
	s_cbranch_vccnz .LBB67_25
; %bb.22:
	v_mov_b32_e32 v5, 0
	v_lshlrev_b32_e32 v4, 2, v0
	s_mov_b32 s0, 0
	v_cmp_gt_i64_e32 vcc, s[24:25], v[4:5]
	s_and_saveexec_b64 s[2:3], vcc
	s_cbranch_execz .LBB67_25
; %bb.23:
	s_load_dword s1, s[4:5], 0xc5c
	v_mov_b32_e32 v1, s27
	s_and_b32 s3, s36, 0x7fffffff
	v_mov_b32_e32 v16, s21
	s_mov_b32 s2, 0x3e91f4c4
	s_waitcnt lgkmcnt(0)
	s_and_b32 s1, s1, 0xffff
	v_add_lshl_u32 v4, v0, s1, 2
	v_lshlrev_b32_e32 v0, 4, v0
	v_add_co_u32_e32 v0, vcc, s26, v0
	v_addc_co_u32_e32 v1, vcc, 0, v1, vcc
	v_add_co_u32_e32 v6, vcc, 8, v0
	s_mov_b32 s21, 0x3f2aaaaa
	s_mov_b32 s30, 0x31739010
	s_brev_b32 s29, -2
	s_lshl_b32 s33, s1, 2
	v_addc_co_u32_e32 v7, vcc, 0, v1, vcc
	s_lshl_b32 s27, s1, 4
	s_mov_b64 s[18:19], 0
	v_mov_b32_e32 v17, s23
	v_mov_b32_e32 v18, s36
	;; [unrolled: 1-line block ×3, first 2 shown]
	s_mov_b32 s23, 0x3f2aaaab
	s_mov_b32 s26, 0x3e76c4e1
	v_pk_mov_b32 v[8:9], s[2:3], s[2:3] op_sel:[0,1]
	s_mov_b32 s28, 0x3ecccdef
	s_mov_b32 s31, 0xbf2aaaaa
	;; [unrolled: 1-line block ×5, first 2 shown]
	v_mov_b32_e32 v20, 0x204
	s_movk_i32 s35, 0x204
	s_mov_b32 s37, 0x42b17218
	v_mov_b32_e32 v21, 0x37000000
	s_mov_b32 s39, 0x3fb8aa3b
	s_mov_b32 s42, 0xc2ce8ed0
	;; [unrolled: 1-line block ×3, first 2 shown]
	v_mov_b32_e32 v22, 0x7f800000
	v_mov_b32_e32 v23, 0x7fc00000
	v_mov_b32_e32 v24, s3
	v_mov_b32_e32 v25, s3
	s_mov_b64 s[40:41], 0xffff
	v_mov_b32_e32 v26, s0
	v_mov_b32_e32 v27, s0
	;; [unrolled: 1-line block ×3, first 2 shown]
.LBB67_24:                              ; =>This Inner Loop Header: Depth=1
	v_add_co_u32_e32 v0, vcc, s20, v6
	v_addc_co_u32_e32 v1, vcc, v16, v7, vcc
	global_load_dwordx4 v[0:3], v[0:1], off offset:-8
	v_add_co_u32_e32 v12, vcc, s22, v6
	v_addc_co_u32_e32 v13, vcc, v17, v7, vcc
	s_waitcnt vmcnt(0)
	v_cmp_eq_f32_e32 vcc, 1.0, v0
	v_cmp_eq_f32_e64 s[0:1], 1.0, v1
	v_cndmask_b32_e64 v15, v18, 1.0, s[0:1]
	v_cndmask_b32_e64 v14, v19, 1.0, vcc
	v_cmp_eq_f32_e64 s[2:3], 0, v14
	v_cmp_eq_f32_e64 s[4:5], 0, v15
	v_cndmask_b32_e64 v48, |v1|, 1.0, s[4:5]
	v_cndmask_b32_e64 v49, |v0|, 1.0, s[2:3]
	v_frexp_mant_f32_e32 v28, v49
	v_cvt_f64_f32_e32 v[30:31], v49
	v_frexp_mant_f32_e32 v29, v48
	v_frexp_exp_i32_f64_e32 v50, v[30:31]
	v_cvt_f64_f32_e32 v[30:31], v48
	v_cmp_gt_f32_e64 s[6:7], s23, v28
	v_cmp_gt_f32_e64 s[8:9], s23, v29
	v_frexp_exp_i32_f64_e32 v51, v[30:31]
	v_cndmask_b32_e64 v31, 1.0, 2.0, s[8:9]
	v_cndmask_b32_e64 v30, 1.0, 2.0, s[6:7]
	v_pk_mul_f32 v[28:29], v[28:29], v[30:31]
	v_pk_add_f32 v[30:31], v[28:29], 1.0 op_sel_hi:[1,0]
	v_rcp_f32_e32 v32, v30
	v_rcp_f32_e32 v33, v31
	v_pk_add_f32 v[34:35], -1.0, v[28:29] op_sel_hi:[0,1]
	v_pk_add_f32 v[36:37], -1.0, v[30:31] op_sel_hi:[0,1]
	v_pk_add_f32 v[28:29], v[28:29], v[36:37] neg_lo:[0,1] neg_hi:[0,1]
	v_pk_mul_f32 v[36:37], v[34:35], v[32:33]
	v_pk_mul_f32 v[38:39], v[30:31], v[36:37]
	v_pk_fma_f32 v[30:31], v[36:37], v[30:31], v[38:39] neg_lo:[0,0,1] neg_hi:[0,0,1]
	v_pk_fma_f32 v[28:29], v[36:37], v[28:29], v[30:31]
	v_pk_add_f32 v[30:31], v[38:39], v[28:29]
	v_pk_add_f32 v[40:41], v[34:35], v[30:31] neg_lo:[0,1] neg_hi:[0,1]
	v_pk_add_f32 v[38:39], v[30:31], v[38:39] neg_lo:[0,1] neg_hi:[0,1]
	;; [unrolled: 1-line block ×5, first 2 shown]
	v_pk_add_f32 v[28:29], v[28:29], v[30:31]
	v_pk_add_f32 v[28:29], v[40:41], v[28:29]
	v_pk_mul_f32 v[28:29], v[32:33], v[28:29]
	v_pk_add_f32 v[30:31], v[36:37], v[28:29]
	v_pk_add_f32 v[32:33], v[30:31], v[36:37] neg_lo:[0,1] neg_hi:[0,1]
	v_pk_add_f32 v[28:29], v[28:29], v[32:33] neg_lo:[0,1] neg_hi:[0,1]
	v_pk_mul_f32 v[32:33], v[30:31], v[30:31]
	v_pk_fma_f32 v[34:35], v[30:31], v[30:31], v[32:33] neg_lo:[0,0,1] neg_hi:[0,0,1]
	v_pk_add_f32 v[36:37], v[28:29], v[28:29]
	v_pk_fma_f32 v[34:35], v[30:31], v[36:37], v[34:35]
	v_pk_add_f32 v[36:37], v[32:33], v[34:35]
	v_pk_add_f32 v[32:33], v[36:37], v[32:33] neg_lo:[0,1] neg_hi:[0,1]
	v_pk_fma_f32 v[42:43], v[36:37], s[26:27], v[8:9] op_sel_hi:[1,0,0]
	v_pk_add_f32 v[32:33], v[34:35], v[32:33] neg_lo:[0,1] neg_hi:[0,1]
	v_pk_mul_f32 v[34:35], v[30:31], v[36:37]
	v_pk_fma_f32 v[42:43], v[36:37], v[42:43], s[28:29] op_sel_hi:[1,1,0]
	v_pk_fma_f32 v[38:39], v[36:37], v[30:31], v[34:35] neg_lo:[0,0,1] neg_hi:[0,0,1]
	v_pk_mul_f32 v[44:45], v[36:37], v[42:43]
	v_pk_fma_f32 v[38:39], v[36:37], v[28:29], v[38:39]
	v_pk_fma_f32 v[36:37], v[36:37], v[42:43], v[44:45] neg_lo:[0,0,1] neg_hi:[0,0,1]
	v_pk_fma_f32 v[38:39], v[32:33], v[30:31], v[38:39]
	v_pk_fma_f32 v[32:33], v[32:33], v[42:43], v[36:37]
	v_pk_add_f32 v[36:37], v[44:45], v[32:33]
	v_pk_add_f32 v[40:41], v[34:35], v[38:39]
	v_pk_add_f32 v[42:43], v[36:37], v[44:45] neg_lo:[0,1] neg_hi:[0,1]
	v_mov_b32_e32 v10, v32
	v_mov_b32_e32 v45, v36
	v_pk_add_f32 v[46:47], v[32:33], v[42:43] neg_lo:[0,1] neg_hi:[0,1]
	v_pk_add_f32 v[44:45], v[10:11], v[44:45]
	v_pk_add_f32 v[34:35], v[40:41], v[34:35] neg_lo:[0,1] neg_hi:[0,1]
	v_mov_b32_e32 v10, v33
	v_mov_b32_e32 v32, v43
	v_pk_add_f32 v[34:35], v[38:39], v[34:35] neg_lo:[0,1] neg_hi:[0,1]
	v_pk_add_f32 v[32:33], v[10:11], v[32:33] neg_lo:[0,1] neg_hi:[0,1]
	v_pk_add_f32 v[38:39], v[36:37], s[20:21]
	v_mov_b32_e32 v47, v45
	v_mov_b32_e32 v33, v39
	v_pk_add_f32 v[44:45], v[46:47], s[30:31]
	v_pk_add_f32 v[32:33], v[32:33], s[30:31]
	v_mov_b32_e32 v38, v45
	v_mov_b32_e32 v39, v33
	v_pk_add_f32 v[38:39], v[36:37], v[38:39] neg_lo:[0,1] neg_hi:[0,1]
	v_mov_b32_e32 v45, v32
	v_pk_add_f32 v[32:33], v[44:45], v[38:39]
	v_pk_add_f32 v[36:37], v[36:37], s[34:35] op_sel_hi:[1,0]
	v_pk_add_f32 v[38:39], v[36:37], v[32:33]
	v_pk_add_f32 v[36:37], v[36:37], v[38:39] neg_lo:[0,1] neg_hi:[0,1]
	v_pk_add_f32 v[32:33], v[32:33], v[36:37]
	v_pk_mul_f32 v[36:37], v[40:41], v[38:39]
	v_pk_fma_f32 v[42:43], v[40:41], v[38:39], v[36:37] neg_lo:[0,0,1] neg_hi:[0,0,1]
	v_pk_fma_f32 v[32:33], v[40:41], v[32:33], v[42:43]
	v_pk_fma_f32 v[32:33], v[34:35], v[38:39], v[32:33]
	v_subbrev_co_u32_e64 v10, s[6:7], 0, v50, s[6:7]
	v_subbrev_co_u32_e64 v38, s[6:7], 0, v51, s[8:9]
	v_cvt_f32_i32_e32 v39, v38
	v_cvt_f32_i32_e32 v38, v10
	v_pk_add_f32 v[34:35], v[36:37], v[32:33]
	v_ldexp_f32 v30, v30, 1
	v_ldexp_f32 v31, v31, 1
	v_pk_add_f32 v[36:37], v[34:35], v[36:37] neg_lo:[0,1] neg_hi:[0,1]
	v_pk_add_f32 v[32:33], v[32:33], v[36:37] neg_lo:[0,1] neg_hi:[0,1]
	v_pk_add_f32 v[36:37], v[30:31], v[34:35]
	v_ldexp_f32 v28, v28, 1
	v_ldexp_f32 v29, v29, 1
	v_pk_mul_f32 v[40:41], v[38:39], s[36:37] op_sel_hi:[1,0]
	v_pk_add_f32 v[30:31], v[36:37], v[30:31] neg_lo:[0,1] neg_hi:[0,1]
	v_pk_fma_f32 v[42:43], v[38:39], s[36:37], v[40:41] op_sel_hi:[1,0,1] neg_lo:[0,0,1] neg_hi:[0,0,1]
	v_pk_add_f32 v[30:31], v[34:35], v[30:31] neg_lo:[0,1] neg_hi:[0,1]
	v_pk_add_f32 v[28:29], v[28:29], v[32:33]
	v_pk_fma_f32 v[38:39], v[38:39], s[38:39], v[42:43] op_sel_hi:[1,0,1]
	v_pk_add_f32 v[28:29], v[28:29], v[30:31]
	v_pk_add_f32 v[42:43], v[40:41], v[38:39]
	;; [unrolled: 1-line block ×4, first 2 shown]
	v_mov_b32_e32 v34, v32
	v_mov_b32_e32 v35, v43
	;; [unrolled: 1-line block ×4, first 2 shown]
	v_pk_add_f32 v[34:35], v[34:35], v[44:45] neg_lo:[0,1] neg_hi:[0,1]
	v_mov_b32_e32 v44, v30
	v_mov_b32_e32 v45, v39
	v_pk_add_f32 v[44:45], v[44:45], v[34:35] neg_lo:[0,1] neg_hi:[0,1]
	v_mov_b32_e32 v46, v32
	v_mov_b32_e32 v47, v31
	;; [unrolled: 1-line block ×3, first 2 shown]
	v_pk_add_f32 v[34:35], v[46:47], v[34:35] neg_lo:[0,1] neg_hi:[0,1]
	v_mov_b32_e32 v46, v42
	v_mov_b32_e32 v47, v29
	v_pk_add_f32 v[34:35], v[46:47], v[34:35] neg_lo:[0,1] neg_hi:[0,1]
	v_mov_b32_e32 v46, v30
	v_mov_b32_e32 v47, v33
	;; [unrolled: 1-line block ×3, first 2 shown]
	v_pk_add_f32 v[36:37], v[46:47], v[36:37] neg_lo:[0,1] neg_hi:[0,1]
	v_mov_b32_e32 v46, v42
	v_mov_b32_e32 v41, v37
	v_pk_add_f32 v[40:41], v[46:47], v[40:41] neg_lo:[0,1] neg_hi:[0,1]
	v_mov_b32_e32 v39, v43
	v_mov_b32_e32 v29, v31
	v_pk_add_f32 v[38:39], v[38:39], v[40:41] neg_lo:[0,1] neg_hi:[0,1]
	v_pk_add_f32 v[28:29], v[28:29], v[36:37] neg_lo:[0,1] neg_hi:[0,1]
	v_pk_add_f32 v[30:31], v[28:29], v[38:39]
	v_pk_add_f32 v[36:37], v[44:45], v[34:35]
	v_mov_b32_e32 v40, v30
	v_mov_b32_e32 v41, v37
	;; [unrolled: 1-line block ×3, first 2 shown]
	v_pk_add_f32 v[42:43], v[40:41], v[38:39] neg_lo:[0,1] neg_hi:[0,1]
	v_pk_add_f32 v[30:31], v[36:37], v[30:31]
	v_pk_add_f32 v[40:41], v[40:41], v[42:43] neg_lo:[0,1] neg_hi:[0,1]
	v_mov_b32_e32 v29, v35
	v_pk_add_f32 v[34:35], v[32:33], v[30:31]
	v_pk_add_f32 v[38:39], v[38:39], v[40:41] neg_lo:[0,1] neg_hi:[0,1]
	v_pk_add_f32 v[28:29], v[28:29], v[42:43] neg_lo:[0,1] neg_hi:[0,1]
	;; [unrolled: 1-line block ×3, first 2 shown]
	v_pk_add_f32 v[28:29], v[28:29], v[38:39]
	v_pk_add_f32 v[30:31], v[30:31], v[32:33] neg_lo:[0,1] neg_hi:[0,1]
	v_pk_add_f32 v[28:29], v[28:29], v[30:31]
	v_pk_add_f32 v[30:31], v[34:35], v[28:29]
	v_pk_add_f32 v[32:33], v[30:31], v[34:35] neg_lo:[0,1] neg_hi:[0,1]
	v_pk_add_f32 v[28:29], v[28:29], v[32:33] neg_lo:[0,1] neg_hi:[0,1]
	v_pk_mul_f32 v[32:33], v[14:15], v[30:31]
	v_pk_fma_f32 v[30:31], v[14:15], v[30:31], v[32:33] neg_lo:[0,0,1] neg_hi:[0,0,1]
	v_pk_fma_f32 v[28:29], v[14:15], v[28:29], v[30:31]
	v_pk_add_f32 v[30:31], v[32:33], v[28:29]
	v_cmp_class_f32_e64 s[6:7], v32, v20
	v_cmp_class_f32_e64 s[8:9], v33, v20
	v_cndmask_b32_e64 v35, v31, v33, s[8:9]
	v_cndmask_b32_e64 v34, v30, v32, s[6:7]
	v_pk_add_f32 v[30:31], v[30:31], v[32:33] neg_lo:[0,1] neg_hi:[0,1]
	v_pk_add_f32 v[28:29], v[28:29], v[30:31] neg_lo:[0,1] neg_hi:[0,1]
	v_cmp_class_f32_e64 s[6:7], v34, s35
	v_cmp_class_f32_e64 s[8:9], v35, s35
	v_cndmask_b32_e64 v29, v29, 0, s[8:9]
	v_cndmask_b32_e64 v28, v28, 0, s[6:7]
	v_cmp_eq_f32_e64 s[6:7], s37, v34
	v_cmp_eq_f32_e64 s[8:9], s37, v35
	v_cndmask_b32_e64 v31, 0, v21, s[8:9]
	v_cndmask_b32_e64 v30, 0, v21, s[6:7]
	v_pk_add_f32 v[32:33], v[34:35], v[30:31] neg_lo:[0,1] neg_hi:[0,1]
	v_mul_f32_e32 v10, 0x3fb8aa3b, v33
	v_pk_add_f32 v[28:29], v[30:31], v[28:29]
	v_fma_f32 v30, v33, s39, -v10
	v_rndne_f32_e32 v31, v10
	v_fmac_f32_e32 v30, 0x32a5705f, v33
	v_sub_f32_e32 v10, v10, v31
	v_add_f32_e32 v10, v10, v30
	v_exp_f32_e32 v10, v10
	v_cvt_i32_f32_e32 v30, v31
	v_cmp_ngt_f32_e64 s[6:7], s42, v33
	v_cmp_gt_f32_e64 s[14:15], 1.0, v48
	v_cmp_gt_f32_e64 s[16:17], 1.0, v49
	v_ldexp_f32 v10, v10, v30
	v_cndmask_b32_e64 v10, 0, v10, s[6:7]
	v_cmp_nlt_f32_e64 s[6:7], s37, v33
	v_cndmask_b32_e64 v31, v22, v10, s[6:7]
	v_mul_f32_e32 v10, 0x3fb8aa3b, v32
	v_fma_f32 v30, v32, s39, -v10
	v_rndne_f32_e32 v33, v10
	v_fmac_f32_e32 v30, 0x32a5705f, v32
	v_sub_f32_e32 v10, v10, v33
	v_add_f32_e32 v10, v10, v30
	v_exp_f32_e32 v10, v10
	v_cvt_i32_f32_e32 v30, v33
	v_cmp_ngt_f32_e64 s[6:7], s42, v32
	v_cmp_class_f32_e64 s[8:9], v31, v20
	v_ldexp_f32 v10, v10, v30
	v_cndmask_b32_e64 v10, 0, v10, s[6:7]
	v_cmp_nlt_f32_e64 s[6:7], s37, v32
	v_cndmask_b32_e64 v30, v22, v10, s[6:7]
	v_pk_fma_f32 v[28:29], v[30:31], v[28:29], v[30:31]
	v_cmp_class_f32_e64 s[6:7], v30, v20
	v_cndmask_b32_e64 v10, v29, v31, s[8:9]
	v_cndmask_b32_e64 v28, v28, v30, s[6:7]
	v_cndmask_b32_e64 v29, v0, 1.0, s[2:3]
	v_cndmask_b32_e64 v30, v1, 1.0, s[4:5]
	v_trunc_f32_e32 v0, v14
	v_trunc_f32_e32 v1, v15
	v_cmp_eq_f32_e64 s[2:3], v1, v15
	v_cmp_eq_f32_e64 s[4:5], v0, v14
	v_pk_mul_f32 v[0:1], v[14:15], 0.5 op_sel_hi:[1,0]
	v_trunc_f32_e32 v32, v1
	v_trunc_f32_e32 v31, v0
	v_cmp_neq_f32_e64 s[6:7], v32, v1
	v_cmp_neq_f32_e64 s[8:9], v31, v0
	s_and_b64 s[6:7], s[2:3], s[6:7]
	s_and_b64 s[8:9], s[4:5], s[8:9]
	v_cndmask_b32_e64 v0, 1.0, v30, s[6:7]
	v_cndmask_b32_e64 v1, 1.0, v29, s[8:9]
	v_bfi_b32 v0, s29, v10, v0
	v_bfi_b32 v1, s29, v28, v1
	v_cmp_gt_f32_e64 s[10:11], 0, v30
	v_cndmask_b32_e64 v10, v23, v0, s[2:3]
	v_cmp_gt_f32_e64 s[12:13], 0, v29
	v_cndmask_b32_e64 v28, v23, v1, s[4:5]
	v_cndmask_b32_e64 v0, v0, v10, s[10:11]
	v_cndmask_b32_e64 v10, v24, 1.0, s[0:1]
	v_cndmask_b32_e64 v1, v1, v28, s[12:13]
	v_cndmask_b32_e64 v28, v25, 1.0, vcc
	v_cmp_neq_f32_e64 s[10:11], v15, v10
	v_cmp_neq_f32_e64 s[12:13], v28, v14
	s_xor_b64 s[10:11], s[10:11], s[14:15]
	v_cmp_eq_f32_e64 s[0:1], s43, v10
	v_cmp_eq_f32_e64 s[2:3], 1.0, v48
	s_xor_b64 s[12:13], s[12:13], s[16:17]
	v_cndmask_b32_e64 v10, v10, 0, s[10:11]
	v_cmp_eq_f32_e32 vcc, s43, v28
	v_cmp_eq_f32_e64 s[4:5], 1.0, v49
	v_cndmask_b32_e64 v28, v28, 0, s[12:13]
	v_cndmask_b32_e64 v10, v10, v48, s[2:3]
	;; [unrolled: 1-line block ×4, first 2 shown]
	v_cmp_eq_f32_e64 s[0:1], s43, v48
	v_cmp_eq_f32_e64 s[4:5], 0, v30
	v_cmp_gt_f32_e64 s[12:13], 0, v15
	v_cndmask_b32_e32 v1, v1, v28, vcc
	v_cmp_eq_f32_e32 vcc, 0, v29
	s_or_b64 s[0:1], s[0:1], s[4:5]
	v_cmp_gt_f32_e64 s[10:11], 0, v14
	s_xor_b64 s[4:5], s[12:13], s[4:5]
	s_xor_b64 s[10:11], s[10:11], vcc
	v_cndmask_b32_e64 v28, v22, 0, s[4:5]
	v_cndmask_b32_e64 v32, 0, v30, s[6:7]
	v_cmp_eq_f32_e64 s[2:3], s43, v49
	v_cndmask_b32_e64 v10, v22, 0, s[10:11]
	v_cndmask_b32_e64 v31, 0, v29, s[8:9]
	v_bfi_b32 v28, s29, v28, v32
	s_or_b64 s[2:3], vcc, s[2:3]
	v_bfi_b32 v10, s29, v10, v31
	v_cndmask_b32_e64 v0, v0, v28, s[0:1]
	v_cmp_o_f32_e32 vcc, v30, v15
	v_cndmask_b32_e64 v10, v1, v10, s[2:3]
	v_cndmask_b32_e32 v1, v23, v0, vcc
	v_cmp_o_f32_e32 vcc, v29, v14
	v_cndmask_b32_e32 v0, v23, v10, vcc
	v_cmp_eq_f32_e32 vcc, 1.0, v2
	v_cmp_eq_f32_e64 s[0:1], 1.0, v3
	v_cndmask_b32_e64 v15, v18, 1.0, s[0:1]
	v_cndmask_b32_e64 v14, v19, 1.0, vcc
	v_cmp_eq_f32_e64 s[2:3], 0, v14
	v_cmp_eq_f32_e64 s[4:5], 0, v15
	v_cndmask_b32_e64 v28, |v3|, 1.0, s[4:5]
	v_cndmask_b32_e64 v29, |v2|, 1.0, s[2:3]
	v_frexp_mant_f32_e32 v30, v29
	v_cvt_f64_f32_e32 v[32:33], v29
	v_frexp_mant_f32_e32 v31, v28
	v_frexp_exp_i32_f64_e32 v50, v[32:33]
	v_cvt_f64_f32_e32 v[32:33], v28
	v_cmp_gt_f32_e64 s[6:7], s23, v30
	v_cmp_gt_f32_e64 s[8:9], s23, v31
	v_frexp_exp_i32_f64_e32 v51, v[32:33]
	v_cndmask_b32_e64 v33, 1.0, 2.0, s[8:9]
	v_cndmask_b32_e64 v32, 1.0, 2.0, s[6:7]
	v_pk_mul_f32 v[30:31], v[30:31], v[32:33]
	v_pk_add_f32 v[32:33], v[30:31], 1.0 op_sel_hi:[1,0]
	v_rcp_f32_e32 v34, v32
	v_rcp_f32_e32 v35, v33
	v_pk_add_f32 v[36:37], -1.0, v[30:31] op_sel_hi:[0,1]
	v_pk_add_f32 v[38:39], -1.0, v[32:33] op_sel_hi:[0,1]
	v_pk_add_f32 v[30:31], v[30:31], v[38:39] neg_lo:[0,1] neg_hi:[0,1]
	v_pk_mul_f32 v[38:39], v[36:37], v[34:35]
	v_pk_mul_f32 v[40:41], v[32:33], v[38:39]
	v_pk_fma_f32 v[32:33], v[38:39], v[32:33], v[40:41] neg_lo:[0,0,1] neg_hi:[0,0,1]
	v_pk_fma_f32 v[30:31], v[38:39], v[30:31], v[32:33]
	v_pk_add_f32 v[32:33], v[40:41], v[30:31]
	v_pk_add_f32 v[42:43], v[36:37], v[32:33] neg_lo:[0,1] neg_hi:[0,1]
	v_pk_add_f32 v[40:41], v[32:33], v[40:41] neg_lo:[0,1] neg_hi:[0,1]
	;; [unrolled: 1-line block ×5, first 2 shown]
	v_pk_add_f32 v[30:31], v[30:31], v[32:33]
	v_pk_add_f32 v[30:31], v[42:43], v[30:31]
	v_pk_mul_f32 v[30:31], v[34:35], v[30:31]
	v_pk_add_f32 v[32:33], v[38:39], v[30:31]
	v_pk_add_f32 v[34:35], v[32:33], v[38:39] neg_lo:[0,1] neg_hi:[0,1]
	v_pk_add_f32 v[30:31], v[30:31], v[34:35] neg_lo:[0,1] neg_hi:[0,1]
	v_pk_mul_f32 v[34:35], v[32:33], v[32:33]
	v_pk_fma_f32 v[36:37], v[32:33], v[32:33], v[34:35] neg_lo:[0,0,1] neg_hi:[0,0,1]
	v_pk_add_f32 v[38:39], v[30:31], v[30:31]
	v_pk_fma_f32 v[36:37], v[32:33], v[38:39], v[36:37]
	v_pk_add_f32 v[38:39], v[34:35], v[36:37]
	v_pk_add_f32 v[34:35], v[38:39], v[34:35] neg_lo:[0,1] neg_hi:[0,1]
	v_pk_fma_f32 v[44:45], v[38:39], s[26:27], v[8:9] op_sel_hi:[1,0,0]
	v_pk_add_f32 v[34:35], v[36:37], v[34:35] neg_lo:[0,1] neg_hi:[0,1]
	v_pk_mul_f32 v[36:37], v[32:33], v[38:39]
	v_pk_fma_f32 v[44:45], v[38:39], v[44:45], s[28:29] op_sel_hi:[1,1,0]
	v_pk_fma_f32 v[40:41], v[38:39], v[32:33], v[36:37] neg_lo:[0,0,1] neg_hi:[0,0,1]
	v_pk_mul_f32 v[46:47], v[38:39], v[44:45]
	v_pk_fma_f32 v[40:41], v[38:39], v[30:31], v[40:41]
	v_pk_fma_f32 v[38:39], v[38:39], v[44:45], v[46:47] neg_lo:[0,0,1] neg_hi:[0,0,1]
	v_pk_fma_f32 v[40:41], v[34:35], v[32:33], v[40:41]
	v_pk_fma_f32 v[34:35], v[34:35], v[44:45], v[38:39]
	v_pk_add_f32 v[38:39], v[46:47], v[34:35]
	v_pk_add_f32 v[42:43], v[36:37], v[40:41]
	v_pk_add_f32 v[44:45], v[38:39], v[46:47] neg_lo:[0,1] neg_hi:[0,1]
	v_mov_b32_e32 v10, v34
	v_mov_b32_e32 v47, v38
	v_pk_add_f32 v[48:49], v[34:35], v[44:45] neg_lo:[0,1] neg_hi:[0,1]
	v_pk_add_f32 v[46:47], v[10:11], v[46:47]
	v_pk_add_f32 v[36:37], v[42:43], v[36:37] neg_lo:[0,1] neg_hi:[0,1]
	v_mov_b32_e32 v10, v35
	v_mov_b32_e32 v34, v45
	v_pk_add_f32 v[36:37], v[40:41], v[36:37] neg_lo:[0,1] neg_hi:[0,1]
	v_pk_add_f32 v[34:35], v[10:11], v[34:35] neg_lo:[0,1] neg_hi:[0,1]
	v_pk_add_f32 v[40:41], v[38:39], s[20:21]
	v_mov_b32_e32 v49, v47
	v_mov_b32_e32 v35, v41
	v_pk_add_f32 v[46:47], v[48:49], s[30:31]
	v_pk_add_f32 v[34:35], v[34:35], s[30:31]
	v_mov_b32_e32 v40, v47
	v_mov_b32_e32 v41, v35
	v_pk_add_f32 v[40:41], v[38:39], v[40:41] neg_lo:[0,1] neg_hi:[0,1]
	v_mov_b32_e32 v47, v34
	v_pk_add_f32 v[34:35], v[46:47], v[40:41]
	v_pk_add_f32 v[38:39], v[38:39], s[34:35] op_sel_hi:[1,0]
	v_pk_add_f32 v[40:41], v[38:39], v[34:35]
	v_pk_add_f32 v[38:39], v[38:39], v[40:41] neg_lo:[0,1] neg_hi:[0,1]
	v_pk_add_f32 v[34:35], v[34:35], v[38:39]
	v_pk_mul_f32 v[38:39], v[42:43], v[40:41]
	v_pk_fma_f32 v[44:45], v[42:43], v[40:41], v[38:39] neg_lo:[0,0,1] neg_hi:[0,0,1]
	v_pk_fma_f32 v[34:35], v[42:43], v[34:35], v[44:45]
	v_pk_fma_f32 v[34:35], v[36:37], v[40:41], v[34:35]
	v_subbrev_co_u32_e64 v10, s[6:7], 0, v50, s[6:7]
	v_subbrev_co_u32_e64 v40, s[6:7], 0, v51, s[8:9]
	v_cvt_f32_i32_e32 v41, v40
	v_cvt_f32_i32_e32 v40, v10
	v_pk_add_f32 v[36:37], v[38:39], v[34:35]
	v_ldexp_f32 v32, v32, 1
	v_ldexp_f32 v33, v33, 1
	v_pk_add_f32 v[38:39], v[36:37], v[38:39] neg_lo:[0,1] neg_hi:[0,1]
	v_pk_add_f32 v[34:35], v[34:35], v[38:39] neg_lo:[0,1] neg_hi:[0,1]
	v_pk_add_f32 v[38:39], v[32:33], v[36:37]
	v_ldexp_f32 v30, v30, 1
	v_ldexp_f32 v31, v31, 1
	v_pk_mul_f32 v[42:43], v[40:41], s[36:37] op_sel_hi:[1,0]
	v_pk_add_f32 v[32:33], v[38:39], v[32:33] neg_lo:[0,1] neg_hi:[0,1]
	v_pk_fma_f32 v[44:45], v[40:41], s[36:37], v[42:43] op_sel_hi:[1,0,1] neg_lo:[0,0,1] neg_hi:[0,0,1]
	v_pk_add_f32 v[32:33], v[36:37], v[32:33] neg_lo:[0,1] neg_hi:[0,1]
	v_pk_add_f32 v[30:31], v[30:31], v[34:35]
	v_pk_fma_f32 v[40:41], v[40:41], s[38:39], v[44:45] op_sel_hi:[1,0,1]
	v_pk_add_f32 v[30:31], v[30:31], v[32:33]
	v_pk_add_f32 v[44:45], v[42:43], v[40:41]
	;; [unrolled: 1-line block ×4, first 2 shown]
	v_mov_b32_e32 v36, v34
	v_mov_b32_e32 v37, v45
	;; [unrolled: 1-line block ×4, first 2 shown]
	v_pk_add_f32 v[36:37], v[36:37], v[46:47] neg_lo:[0,1] neg_hi:[0,1]
	v_mov_b32_e32 v46, v32
	v_mov_b32_e32 v47, v41
	v_pk_add_f32 v[46:47], v[46:47], v[36:37] neg_lo:[0,1] neg_hi:[0,1]
	v_mov_b32_e32 v48, v34
	v_mov_b32_e32 v49, v33
	;; [unrolled: 1-line block ×3, first 2 shown]
	v_pk_add_f32 v[36:37], v[48:49], v[36:37] neg_lo:[0,1] neg_hi:[0,1]
	v_mov_b32_e32 v48, v44
	v_mov_b32_e32 v49, v31
	v_pk_add_f32 v[36:37], v[48:49], v[36:37] neg_lo:[0,1] neg_hi:[0,1]
	v_mov_b32_e32 v48, v32
	v_mov_b32_e32 v49, v35
	;; [unrolled: 1-line block ×3, first 2 shown]
	v_pk_add_f32 v[38:39], v[48:49], v[38:39] neg_lo:[0,1] neg_hi:[0,1]
	v_mov_b32_e32 v48, v44
	v_mov_b32_e32 v43, v39
	v_pk_add_f32 v[42:43], v[48:49], v[42:43] neg_lo:[0,1] neg_hi:[0,1]
	v_mov_b32_e32 v41, v45
	v_mov_b32_e32 v31, v33
	v_pk_add_f32 v[40:41], v[40:41], v[42:43] neg_lo:[0,1] neg_hi:[0,1]
	v_pk_add_f32 v[30:31], v[30:31], v[38:39] neg_lo:[0,1] neg_hi:[0,1]
	v_pk_add_f32 v[32:33], v[30:31], v[40:41]
	v_pk_add_f32 v[38:39], v[46:47], v[36:37]
	v_mov_b32_e32 v42, v32
	v_mov_b32_e32 v43, v39
	;; [unrolled: 1-line block ×3, first 2 shown]
	v_pk_add_f32 v[44:45], v[42:43], v[40:41] neg_lo:[0,1] neg_hi:[0,1]
	v_pk_add_f32 v[32:33], v[38:39], v[32:33]
	v_pk_add_f32 v[42:43], v[42:43], v[44:45] neg_lo:[0,1] neg_hi:[0,1]
	v_mov_b32_e32 v31, v37
	v_pk_add_f32 v[36:37], v[34:35], v[32:33]
	v_pk_add_f32 v[40:41], v[40:41], v[42:43] neg_lo:[0,1] neg_hi:[0,1]
	v_pk_add_f32 v[30:31], v[30:31], v[44:45] neg_lo:[0,1] neg_hi:[0,1]
	;; [unrolled: 1-line block ×3, first 2 shown]
	v_pk_add_f32 v[30:31], v[30:31], v[40:41]
	v_pk_add_f32 v[32:33], v[32:33], v[34:35] neg_lo:[0,1] neg_hi:[0,1]
	v_pk_add_f32 v[30:31], v[30:31], v[32:33]
	v_pk_add_f32 v[32:33], v[36:37], v[30:31]
	v_pk_add_f32 v[34:35], v[32:33], v[36:37] neg_lo:[0,1] neg_hi:[0,1]
	v_pk_add_f32 v[30:31], v[30:31], v[34:35] neg_lo:[0,1] neg_hi:[0,1]
	v_pk_mul_f32 v[34:35], v[14:15], v[32:33]
	v_pk_fma_f32 v[32:33], v[14:15], v[32:33], v[34:35] neg_lo:[0,0,1] neg_hi:[0,0,1]
	v_pk_fma_f32 v[30:31], v[14:15], v[30:31], v[32:33]
	v_pk_add_f32 v[32:33], v[34:35], v[30:31]
	v_cmp_class_f32_e64 s[6:7], v34, v20
	v_cmp_class_f32_e64 s[8:9], v35, v20
	v_cndmask_b32_e64 v37, v33, v35, s[8:9]
	v_cndmask_b32_e64 v36, v32, v34, s[6:7]
	v_pk_add_f32 v[32:33], v[32:33], v[34:35] neg_lo:[0,1] neg_hi:[0,1]
	v_pk_add_f32 v[30:31], v[30:31], v[32:33] neg_lo:[0,1] neg_hi:[0,1]
	v_cmp_class_f32_e64 s[6:7], v36, s35
	v_cmp_class_f32_e64 s[8:9], v37, s35
	v_cndmask_b32_e64 v31, v31, 0, s[8:9]
	v_cndmask_b32_e64 v30, v30, 0, s[6:7]
	v_cmp_eq_f32_e64 s[6:7], s37, v36
	v_cmp_eq_f32_e64 s[8:9], s37, v37
	v_cndmask_b32_e64 v33, 0, v21, s[8:9]
	v_cndmask_b32_e64 v32, 0, v21, s[6:7]
	v_pk_add_f32 v[34:35], v[36:37], v[32:33] neg_lo:[0,1] neg_hi:[0,1]
	v_mul_f32_e32 v10, 0x3fb8aa3b, v35
	v_pk_add_f32 v[30:31], v[32:33], v[30:31]
	v_fma_f32 v32, v35, s39, -v10
	v_rndne_f32_e32 v33, v10
	v_fmac_f32_e32 v32, 0x32a5705f, v35
	v_sub_f32_e32 v10, v10, v33
	v_add_f32_e32 v10, v10, v32
	v_exp_f32_e32 v10, v10
	v_cvt_i32_f32_e32 v32, v33
	v_cmp_ngt_f32_e64 s[6:7], s42, v35
	v_cndmask_b32_e64 v2, v2, 1.0, s[2:3]
	v_cndmask_b32_e64 v3, v3, 1.0, s[4:5]
	v_ldexp_f32 v10, v10, v32
	v_cndmask_b32_e64 v10, 0, v10, s[6:7]
	v_cmp_nlt_f32_e64 s[6:7], s37, v35
	v_cndmask_b32_e64 v33, v22, v10, s[6:7]
	v_mul_f32_e32 v10, 0x3fb8aa3b, v34
	v_fma_f32 v32, v34, s39, -v10
	v_rndne_f32_e32 v35, v10
	v_fmac_f32_e32 v32, 0x32a5705f, v34
	v_sub_f32_e32 v10, v10, v35
	v_add_f32_e32 v10, v10, v32
	v_exp_f32_e32 v10, v10
	v_cvt_i32_f32_e32 v32, v35
	v_cmp_ngt_f32_e64 s[6:7], s42, v34
	v_cmp_class_f32_e64 s[8:9], v33, v20
	v_cmp_gt_f32_e64 s[10:11], 0, v3
	v_ldexp_f32 v10, v10, v32
	v_cndmask_b32_e64 v10, 0, v10, s[6:7]
	v_cmp_nlt_f32_e64 s[6:7], s37, v34
	v_cndmask_b32_e64 v32, v22, v10, s[6:7]
	v_pk_fma_f32 v[30:31], v[32:33], v[30:31], v[32:33]
	v_cmp_class_f32_e64 s[6:7], v32, v20
	v_cndmask_b32_e64 v10, v31, v33, s[8:9]
	v_cndmask_b32_e64 v32, v30, v32, s[6:7]
	v_trunc_f32_e32 v30, v14
	v_trunc_f32_e32 v31, v15
	v_cmp_eq_f32_e64 s[6:7], v31, v15
	v_cmp_eq_f32_e64 s[8:9], v30, v14
	v_pk_mul_f32 v[30:31], v[14:15], 0.5 op_sel_hi:[1,0]
	v_trunc_f32_e32 v33, v30
	v_trunc_f32_e32 v34, v31
	v_cmp_neq_f32_e64 s[2:3], v34, v31
	v_cmp_neq_f32_e64 s[4:5], v33, v30
	s_and_b64 s[4:5], s[8:9], s[4:5]
	s_and_b64 s[2:3], s[6:7], s[2:3]
	v_cndmask_b32_e64 v30, 1.0, v3, s[2:3]
	v_cndmask_b32_e64 v31, 1.0, v2, s[4:5]
	v_bfi_b32 v31, s29, v32, v31
	v_bfi_b32 v10, s29, v10, v30
	v_cmp_gt_f32_e64 s[12:13], 0, v2
	v_cndmask_b32_e64 v30, v23, v10, s[6:7]
	v_cndmask_b32_e64 v32, v23, v31, s[8:9]
	;; [unrolled: 1-line block ×4, first 2 shown]
	v_cndmask_b32_e64 v30, v24, 1.0, s[0:1]
	v_cndmask_b32_e64 v32, v25, 1.0, vcc
	v_cmp_neq_f32_e64 s[10:11], v15, v30
	v_cmp_neq_f32_e64 s[12:13], v32, v14
	v_cmp_gt_f32_e64 s[14:15], 1.0, v28
	v_cmp_gt_f32_e64 s[16:17], 1.0, v29
	s_xor_b64 s[12:13], s[12:13], s[16:17]
	s_xor_b64 s[10:11], s[10:11], s[14:15]
	v_cmp_eq_f32_e32 vcc, s43, v32
	v_cmp_eq_f32_e64 s[0:1], s43, v30
	v_cmp_eq_f32_e64 s[6:7], 1.0, v28
	v_cmp_eq_f32_e64 s[8:9], 1.0, v29
	v_cndmask_b32_e64 v30, v30, 0, s[10:11]
	v_cndmask_b32_e64 v32, v32, 0, s[12:13]
	;; [unrolled: 1-line block ×5, first 2 shown]
	v_cndmask_b32_e32 v30, v31, v32, vcc
	v_cmp_eq_f32_e32 vcc, s43, v28
	v_cmp_eq_f32_e64 s[8:9], 0, v3
	v_cmp_gt_f32_e64 s[12:13], 0, v15
	v_cmp_eq_f32_e64 s[6:7], 0, v2
	v_cmp_eq_f32_e64 s[0:1], s43, v29
	s_or_b64 vcc, vcc, s[8:9]
	v_cmp_gt_f32_e64 s[10:11], 0, v14
	s_xor_b64 s[8:9], s[12:13], s[8:9]
	s_or_b64 s[0:1], s[6:7], s[0:1]
	s_xor_b64 s[6:7], s[10:11], s[6:7]
	v_cndmask_b32_e64 v29, v22, 0, s[8:9]
	v_cndmask_b32_e64 v32, 0, v3, s[2:3]
	;; [unrolled: 1-line block ×4, first 2 shown]
	v_bfi_b32 v29, s29, v29, v32
	v_bfi_b32 v28, s29, v28, v31
	v_cndmask_b32_e32 v10, v10, v29, vcc
	v_cmp_o_f32_e32 vcc, v3, v15
	v_cndmask_b32_e64 v28, v30, v28, s[0:1]
	v_cndmask_b32_e32 v3, v23, v10, vcc
	v_cmp_o_f32_e32 vcc, v2, v14
	v_cndmask_b32_e32 v2, v23, v28, vcc
	v_cmp_le_i64_e32 vcc, s[24:25], v[4:5]
	v_cmp_lt_u64_e64 s[0:1], s[40:41], v[4:5]
	s_or_b64 s[0:1], vcc, s[0:1]
	v_add_co_u32_e32 v4, vcc, s33, v4
	v_addc_co_u32_e32 v5, vcc, v5, v26, vcc
	v_add_co_u32_e32 v6, vcc, s27, v6
	s_and_b64 s[0:1], exec, s[0:1]
	v_addc_co_u32_e32 v7, vcc, v7, v27, vcc
	s_or_b64 s[18:19], s[0:1], s[18:19]
	global_store_dwordx4 v[12:13], v[0:3], off offset:-8
	s_andn2_b64 exec, exec, s[18:19]
	s_cbranch_execnz .LBB67_24
.LBB67_25:
	s_endpgm
	.section	.rodata,"a",@progbits
	.p2align	6, 0x0
	.amdhsa_kernel _ZN2at6native12_GLOBAL__N_125multi_tensor_apply_kernelINS1_18TensorListMetadataILi2EEENS1_21BinaryOpScalarFunctorIfLi2ELi1ELi1EEEJNS1_13power_functorIfEEfEEEvT_T0_DpT1_
		.amdhsa_group_segment_fixed_size 0
		.amdhsa_private_segment_fixed_size 0
		.amdhsa_kernarg_size 3408
		.amdhsa_user_sgpr_count 6
		.amdhsa_user_sgpr_private_segment_buffer 1
		.amdhsa_user_sgpr_dispatch_ptr 0
		.amdhsa_user_sgpr_queue_ptr 0
		.amdhsa_user_sgpr_kernarg_segment_ptr 1
		.amdhsa_user_sgpr_dispatch_id 0
		.amdhsa_user_sgpr_flat_scratch_init 0
		.amdhsa_user_sgpr_kernarg_preload_length 0
		.amdhsa_user_sgpr_kernarg_preload_offset 0
		.amdhsa_user_sgpr_private_segment_size 0
		.amdhsa_uses_dynamic_stack 0
		.amdhsa_system_sgpr_private_segment_wavefront_offset 0
		.amdhsa_system_sgpr_workgroup_id_x 1
		.amdhsa_system_sgpr_workgroup_id_y 0
		.amdhsa_system_sgpr_workgroup_id_z 0
		.amdhsa_system_sgpr_workgroup_info 0
		.amdhsa_system_vgpr_workitem_id 0
		.amdhsa_next_free_vgpr 53
		.amdhsa_next_free_sgpr 47
		.amdhsa_accum_offset 56
		.amdhsa_reserve_vcc 1
		.amdhsa_reserve_flat_scratch 0
		.amdhsa_float_round_mode_32 0
		.amdhsa_float_round_mode_16_64 0
		.amdhsa_float_denorm_mode_32 3
		.amdhsa_float_denorm_mode_16_64 3
		.amdhsa_dx10_clamp 1
		.amdhsa_ieee_mode 1
		.amdhsa_fp16_overflow 0
		.amdhsa_tg_split 0
		.amdhsa_exception_fp_ieee_invalid_op 0
		.amdhsa_exception_fp_denorm_src 0
		.amdhsa_exception_fp_ieee_div_zero 0
		.amdhsa_exception_fp_ieee_overflow 0
		.amdhsa_exception_fp_ieee_underflow 0
		.amdhsa_exception_fp_ieee_inexact 0
		.amdhsa_exception_int_div_zero 0
	.end_amdhsa_kernel
	.section	.text._ZN2at6native12_GLOBAL__N_125multi_tensor_apply_kernelINS1_18TensorListMetadataILi2EEENS1_21BinaryOpScalarFunctorIfLi2ELi1ELi1EEEJNS1_13power_functorIfEEfEEEvT_T0_DpT1_,"axG",@progbits,_ZN2at6native12_GLOBAL__N_125multi_tensor_apply_kernelINS1_18TensorListMetadataILi2EEENS1_21BinaryOpScalarFunctorIfLi2ELi1ELi1EEEJNS1_13power_functorIfEEfEEEvT_T0_DpT1_,comdat
.Lfunc_end67:
	.size	_ZN2at6native12_GLOBAL__N_125multi_tensor_apply_kernelINS1_18TensorListMetadataILi2EEENS1_21BinaryOpScalarFunctorIfLi2ELi1ELi1EEEJNS1_13power_functorIfEEfEEEvT_T0_DpT1_, .Lfunc_end67-_ZN2at6native12_GLOBAL__N_125multi_tensor_apply_kernelINS1_18TensorListMetadataILi2EEENS1_21BinaryOpScalarFunctorIfLi2ELi1ELi1EEEJNS1_13power_functorIfEEfEEEvT_T0_DpT1_
                                        ; -- End function
	.section	.AMDGPU.csdata,"",@progbits
; Kernel info:
; codeLenInByte = 9428
; NumSgprs: 51
; NumVgprs: 53
; NumAgprs: 0
; TotalNumVgprs: 53
; ScratchSize: 0
; MemoryBound: 0
; FloatMode: 240
; IeeeMode: 1
; LDSByteSize: 0 bytes/workgroup (compile time only)
; SGPRBlocks: 6
; VGPRBlocks: 6
; NumSGPRsForWavesPerEU: 51
; NumVGPRsForWavesPerEU: 53
; AccumOffset: 56
; Occupancy: 8
; WaveLimiterHint : 0
; COMPUTE_PGM_RSRC2:SCRATCH_EN: 0
; COMPUTE_PGM_RSRC2:USER_SGPR: 6
; COMPUTE_PGM_RSRC2:TRAP_HANDLER: 0
; COMPUTE_PGM_RSRC2:TGID_X_EN: 1
; COMPUTE_PGM_RSRC2:TGID_Y_EN: 0
; COMPUTE_PGM_RSRC2:TGID_Z_EN: 0
; COMPUTE_PGM_RSRC2:TIDIG_COMP_CNT: 0
; COMPUTE_PGM_RSRC3_GFX90A:ACCUM_OFFSET: 13
; COMPUTE_PGM_RSRC3_GFX90A:TG_SPLIT: 0
	.section	.text._ZN2at6native12_GLOBAL__N_125multi_tensor_apply_kernelINS1_18TensorListMetadataILi2EEENS1_21BinaryOpScalarFunctorIN3c107complexIdEELi2ELi1ELi1EEEJNS1_13power_functorIS8_EES8_EEEvT_T0_DpT1_,"axG",@progbits,_ZN2at6native12_GLOBAL__N_125multi_tensor_apply_kernelINS1_18TensorListMetadataILi2EEENS1_21BinaryOpScalarFunctorIN3c107complexIdEELi2ELi1ELi1EEEJNS1_13power_functorIS8_EES8_EEEvT_T0_DpT1_,comdat
	.globl	_ZN2at6native12_GLOBAL__N_125multi_tensor_apply_kernelINS1_18TensorListMetadataILi2EEENS1_21BinaryOpScalarFunctorIN3c107complexIdEELi2ELi1ELi1EEEJNS1_13power_functorIS8_EES8_EEEvT_T0_DpT1_ ; -- Begin function _ZN2at6native12_GLOBAL__N_125multi_tensor_apply_kernelINS1_18TensorListMetadataILi2EEENS1_21BinaryOpScalarFunctorIN3c107complexIdEELi2ELi1ELi1EEEJNS1_13power_functorIS8_EES8_EEEvT_T0_DpT1_
	.p2align	8
	.type	_ZN2at6native12_GLOBAL__N_125multi_tensor_apply_kernelINS1_18TensorListMetadataILi2EEENS1_21BinaryOpScalarFunctorIN3c107complexIdEELi2ELi1ELi1EEEJNS1_13power_functorIS8_EES8_EEEvT_T0_DpT1_,@function
_ZN2at6native12_GLOBAL__N_125multi_tensor_apply_kernelINS1_18TensorListMetadataILi2EEENS1_21BinaryOpScalarFunctorIN3c107complexIdEELi2ELi1ELi1EEEJNS1_13power_functorIS8_EES8_EEEvT_T0_DpT1_: ; @_ZN2at6native12_GLOBAL__N_125multi_tensor_apply_kernelINS1_18TensorListMetadataILi2EEENS1_21BinaryOpScalarFunctorIN3c107complexIdEELi2ELi1ELi1EEEJNS1_13power_functorIS8_EES8_EEEvT_T0_DpT1_
; %bb.0:
	v_mov_b32_e32 v50, v0
	v_mov_b32_e32 v0, s8
	global_load_ubyte v0, v0, s[4:5] offset:1536
	s_load_dwordx4 s[48:51], s[4:5], 0xc50
	s_add_u32 flat_scratch_lo, s6, s9
	s_addc_u32 flat_scratch_hi, s7, 0
	s_add_u32 s0, s0, s9
	s_addc_u32 s1, s1, 0
	s_mov_b64 s[38:39], s[4:5]
	s_add_u32 s4, s38, s8
	s_mul_hi_u32 s5, s8, 3
	s_mul_i32 s8, s8, 3
	s_addc_u32 s6, s39, 0
	s_add_u32 s4, s4, s8
	s_addc_u32 s5, s6, s5
	s_load_dword s14, s[4:5], 0x740
	s_mov_b32 s9, 0
	s_mov_b32 s11, s9
	;; [unrolled: 1-line block ×4, first 2 shown]
	s_waitcnt lgkmcnt(0)
	s_ashr_i32 s15, s14, 31
	s_lshl_b64 s[52:53], s[14:15], 20
	s_waitcnt vmcnt(0)
	v_readfirstlane_b32 s4, v0
	s_lshl_b32 s8, s4, 3
	s_load_dwordx2 s[6:7], s[38:39], s8 offset:0x0
	s_load_dwordx2 s[16:17], s[38:39], s8 offset:0x400
	;; [unrolled: 1-line block ×3, first 2 shown]
	s_waitcnt lgkmcnt(0)
	s_add_u32 s33, s6, s52
	s_addc_u32 s62, s7, s53
	s_add_u32 s63, s4, s52
	s_addc_u32 s64, s5, s53
	s_and_b32 s10, s33, 63
	s_and_b32 s12, s16, 3
	;; [unrolled: 1-line block ×3, first 2 shown]
	s_or_b64 s[10:11], s[10:11], s[12:13]
	s_or_b64 s[8:9], s[8:9], s[10:11]
	s_lshl_b64 s[10:11], s[14:15], 16
	s_sub_u32 s46, s16, s10
	s_subb_u32 s47, s17, s11
	s_cmp_eq_u64 s[8:9], 0
	s_mov_b64 s[8:9], -1
	s_cbranch_scc1 .LBB68_21
; %bb.1:
	v_cmp_lt_i64_e64 s[8:9], s[46:47], 1
	s_and_b64 vcc, exec, s[8:9]
	s_cbranch_vccnz .LBB68_20
; %bb.2:
	s_load_dword s8, s[38:39], 0xc6c
	v_mov_b32_e32 v0, 0x10000
	v_mov_b32_e32 v1, 0
	v_cmp_lt_u64_e32 vcc, s[46:47], v[0:1]
	v_lshl_or_b32 v0, v50, 4, 8
	s_waitcnt lgkmcnt(0)
	s_and_b32 s66, s8, 0xffff
	s_and_b64 s[8:9], vcc, exec
	v_mov_b32_e32 v4, s7
	v_add_co_u32_e32 v52, vcc, s6, v0
	v_addc_co_u32_e32 v53, vcc, 0, v4, vcc
	v_mov_b32_e32 v5, s5
	v_add_co_u32_e32 v54, vcc, s4, v0
	v_mov_b32_e32 v51, 0
	v_addc_co_u32_e32 v55, vcc, 0, v5, vcc
	v_add_lshl_u32 v6, v50, s66, 4
	v_mov_b32_e32 v1, v51
	v_add_co_u32_e32 v56, vcc, s4, v6
	v_addc_co_u32_e32 v57, vcc, 0, v5, vcc
	v_mad_u64_u32 v[2:3], s[8:9], s66, 48, v[0:1]
	v_add_co_u32_e32 v58, vcc, s6, v2
	v_addc_co_u32_e32 v59, vcc, v4, v3, vcc
	v_add_co_u32_e32 v60, vcc, s6, v6
	v_addc_co_u32_e32 v61, vcc, 0, v4, vcc
	v_add_co_u32_e32 v62, vcc, s4, v2
	s_cselect_b32 s55, s47, 0
	s_cselect_b32 s54, s46, 0x10000
	v_addc_co_u32_e32 v63, vcc, v5, v3, vcc
	s_lshl_b32 s5, s66, 5
	v_add_co_u32_e32 v0, vcc, s5, v0
	v_addc_co_u32_e64 v1, s[8:9], 0, 0, vcc
	v_add_co_u32_e32 v64, vcc, s6, v0
	s_mov_b32 s65, 0
	v_addc_co_u32_e32 v65, vcc, v4, v1, vcc
	s_lshl_b32 s56, s66, 2
	s_mov_b32 s57, s65
	v_add_co_u32_e32 v66, vcc, s4, v0
	s_lshl_b32 s67, s66, 1
	s_mov_b32 s68, s65
	s_mul_i32 s69, s66, 3
	s_mov_b32 s70, s65
	s_lshl_b32 s71, s66, 6
	s_mov_b32 s72, s65
	v_addc_co_u32_e32 v67, vcc, v5, v1, vcc
	v_pk_mov_b32 v[68:69], v[50:51], v[50:51] op_sel:[0,1]
	s_mov_b64 s[58:59], s[56:57]
	s_branch .LBB68_4
.LBB68_3:                               ;   in Loop: Header=BB68_4 Depth=1
	s_or_b64 exec, exec, s[42:43]
	s_waitcnt vmcnt(0)
	v_pk_mov_b32 v[0:1], s[46:47], s[46:47] op_sel:[0,1]
	v_cmp_lt_i64_e32 vcc, s[58:59], v[0:1]
	v_mov_b32_e32 v0, 0x10000
	v_mov_b32_e32 v1, 0
	v_cmp_lt_u64_e64 s[4:5], s[58:59], v[0:1]
	s_and_b64 s[4:5], vcc, s[4:5]
	v_mov_b32_e32 v0, s57
	v_add_co_u32_e32 v68, vcc, s56, v68
	v_addc_co_u32_e32 v69, vcc, v69, v0, vcc
	v_mov_b32_e32 v0, s72
	v_add_co_u32_e32 v52, vcc, s71, v52
	v_addc_co_u32_e32 v53, vcc, v53, v0, vcc
	v_add_co_u32_e32 v54, vcc, s71, v54
	v_addc_co_u32_e32 v55, vcc, v55, v0, vcc
	;; [unrolled: 2-line block ×7, first 2 shown]
	v_add_co_u32_e32 v66, vcc, s71, v66
	s_add_u32 s58, s58, s56
	v_addc_co_u32_e32 v67, vcc, v67, v0, vcc
	s_addc_u32 s59, s59, 0
	s_and_b64 vcc, exec, s[4:5]
	s_cbranch_vccz .LBB68_20
.LBB68_4:                               ; =>This Inner Loop Header: Depth=1
	v_pk_mov_b32 v[44:45], 0, 0
	v_cmp_gt_u64_e32 vcc, s[54:55], v[68:69]
	v_pk_mov_b32 v[2:3], v[44:45], v[44:45] op_sel:[0,1]
	v_pk_mov_b32 v[0:1], v[44:45], v[44:45] op_sel:[0,1]
	s_and_saveexec_b64 s[6:7], vcc
	s_cbranch_execz .LBB68_6
; %bb.5:                                ;   in Loop: Header=BB68_4 Depth=1
	v_mov_b32_e32 v1, s53
	v_add_co_u32_e64 v0, s[4:5], s52, v52
	v_addc_co_u32_e64 v1, s[4:5], v53, v1, s[4:5]
	global_load_dwordx4 v[0:3], v[0:1], off offset:-8
.LBB68_6:                               ;   in Loop: Header=BB68_4 Depth=1
	s_or_b64 exec, exec, s[6:7]
	v_mov_b32_e32 v5, s65
	v_add_co_u32_e64 v4, s[4:5], s66, v68
	v_addc_co_u32_e64 v5, s[4:5], v5, v69, s[4:5]
	v_cmp_gt_u64_e64 s[44:45], s[54:55], v[4:5]
	v_pk_mov_b32 v[42:43], v[44:45], v[44:45] op_sel:[0,1]
	s_and_saveexec_b64 s[6:7], s[44:45]
	s_cbranch_execz .LBB68_8
; %bb.7:                                ;   in Loop: Header=BB68_4 Depth=1
	v_mov_b32_e32 v5, s53
	v_add_co_u32_e64 v4, s[4:5], s52, v60
	v_addc_co_u32_e64 v5, s[4:5], v61, v5, s[4:5]
	global_load_dwordx4 v[42:45], v[4:5], off
.LBB68_8:                               ;   in Loop: Header=BB68_4 Depth=1
	s_or_b64 exec, exec, s[6:7]
	v_mov_b32_e32 v5, s68
	v_add_co_u32_e64 v4, s[4:5], s67, v68
	v_addc_co_u32_e64 v5, s[4:5], v5, v69, s[4:5]
	v_pk_mov_b32 v[40:41], 0, 0
	v_cmp_gt_u64_e64 s[42:43], s[54:55], v[4:5]
	v_pk_mov_b32 v[48:49], v[40:41], v[40:41] op_sel:[0,1]
	v_pk_mov_b32 v[46:47], v[40:41], v[40:41] op_sel:[0,1]
	s_and_saveexec_b64 s[6:7], s[42:43]
	s_cbranch_execz .LBB68_10
; %bb.9:                                ;   in Loop: Header=BB68_4 Depth=1
	v_mov_b32_e32 v5, s53
	v_add_co_u32_e64 v4, s[4:5], s52, v64
	v_addc_co_u32_e64 v5, s[4:5], v65, v5, s[4:5]
	global_load_dwordx4 v[46:49], v[4:5], off offset:-8
.LBB68_10:                              ;   in Loop: Header=BB68_4 Depth=1
	s_or_b64 exec, exec, s[6:7]
	v_mov_b32_e32 v5, s70
	v_add_co_u32_e64 v4, s[4:5], s69, v68
	v_addc_co_u32_e64 v5, s[4:5], v5, v69, s[4:5]
	v_cmp_gt_u64_e64 s[40:41], s[54:55], v[4:5]
	v_pk_mov_b32 v[38:39], v[40:41], v[40:41] op_sel:[0,1]
	s_and_saveexec_b64 s[6:7], s[40:41]
	s_cbranch_execnz .LBB68_15
; %bb.11:                               ;   in Loop: Header=BB68_4 Depth=1
	s_or_b64 exec, exec, s[6:7]
	s_and_saveexec_b64 s[60:61], vcc
	s_cbranch_execnz .LBB68_16
.LBB68_12:                              ;   in Loop: Header=BB68_4 Depth=1
	s_or_b64 exec, exec, s[60:61]
	s_and_saveexec_b64 s[60:61], s[44:45]
	s_cbranch_execnz .LBB68_17
.LBB68_13:                              ;   in Loop: Header=BB68_4 Depth=1
	s_or_b64 exec, exec, s[60:61]
	s_and_saveexec_b64 s[44:45], s[42:43]
	s_cbranch_execnz .LBB68_18
.LBB68_14:                              ;   in Loop: Header=BB68_4 Depth=1
	s_or_b64 exec, exec, s[44:45]
	s_and_saveexec_b64 s[42:43], s[40:41]
	s_cbranch_execz .LBB68_3
	s_branch .LBB68_19
.LBB68_15:                              ;   in Loop: Header=BB68_4 Depth=1
	v_mov_b32_e32 v5, s53
	v_add_co_u32_e64 v4, s[4:5], s52, v58
	v_addc_co_u32_e64 v5, s[4:5], v59, v5, s[4:5]
	global_load_dwordx4 v[38:41], v[4:5], off offset:-8
	s_or_b64 exec, exec, s[6:7]
	s_and_saveexec_b64 s[60:61], vcc
	s_cbranch_execz .LBB68_12
.LBB68_16:                              ;   in Loop: Header=BB68_4 Depth=1
	v_mov_b32_e32 v4, s48
	v_mov_b32_e32 v5, s49
	;; [unrolled: 1-line block ×4, first 2 shown]
	s_getpc_b64 s[4:5]
	s_add_u32 s4, s4, _ZN2at6native12_GLOBAL__N_14pow_IdEEN3c107complexIT_EES6_S6_@rel32@lo+4
	s_addc_u32 s5, s5, _ZN2at6native12_GLOBAL__N_14pow_IdEEN3c107complexIT_EES6_S6_@rel32@hi+12
	s_swappc_b64 s[30:31], s[4:5]
	v_mov_b32_e32 v5, s53
	v_add_co_u32_e32 v4, vcc, s52, v54
	v_addc_co_u32_e32 v5, vcc, v55, v5, vcc
	global_store_dwordx4 v[4:5], v[0:3], off offset:-8
	s_or_b64 exec, exec, s[60:61]
	s_and_saveexec_b64 s[60:61], s[44:45]
	s_cbranch_execz .LBB68_13
.LBB68_17:                              ;   in Loop: Header=BB68_4 Depth=1
	s_waitcnt vmcnt(0)
	v_mov_b32_e32 v0, v42
	v_mov_b32_e32 v1, v43
	;; [unrolled: 1-line block ×8, first 2 shown]
	s_getpc_b64 s[4:5]
	s_add_u32 s4, s4, _ZN2at6native12_GLOBAL__N_14pow_IdEEN3c107complexIT_EES6_S6_@rel32@lo+4
	s_addc_u32 s5, s5, _ZN2at6native12_GLOBAL__N_14pow_IdEEN3c107complexIT_EES6_S6_@rel32@hi+12
	s_swappc_b64 s[30:31], s[4:5]
	v_mov_b32_e32 v5, s53
	v_add_co_u32_e32 v4, vcc, s52, v56
	v_addc_co_u32_e32 v5, vcc, v57, v5, vcc
	global_store_dwordx4 v[4:5], v[0:3], off
	s_or_b64 exec, exec, s[60:61]
	s_and_saveexec_b64 s[44:45], s[42:43]
	s_cbranch_execz .LBB68_14
.LBB68_18:                              ;   in Loop: Header=BB68_4 Depth=1
	s_waitcnt vmcnt(0)
	v_mov_b32_e32 v0, v46
	v_mov_b32_e32 v1, v47
	;; [unrolled: 1-line block ×8, first 2 shown]
	s_getpc_b64 s[4:5]
	s_add_u32 s4, s4, _ZN2at6native12_GLOBAL__N_14pow_IdEEN3c107complexIT_EES6_S6_@rel32@lo+4
	s_addc_u32 s5, s5, _ZN2at6native12_GLOBAL__N_14pow_IdEEN3c107complexIT_EES6_S6_@rel32@hi+12
	s_swappc_b64 s[30:31], s[4:5]
	v_mov_b32_e32 v5, s53
	v_add_co_u32_e32 v4, vcc, s52, v66
	v_addc_co_u32_e32 v5, vcc, v67, v5, vcc
	global_store_dwordx4 v[4:5], v[0:3], off offset:-8
	s_or_b64 exec, exec, s[44:45]
	s_and_saveexec_b64 s[42:43], s[40:41]
	s_cbranch_execz .LBB68_3
.LBB68_19:                              ;   in Loop: Header=BB68_4 Depth=1
	s_waitcnt vmcnt(0)
	v_mov_b32_e32 v0, v38
	v_mov_b32_e32 v1, v39
	;; [unrolled: 1-line block ×8, first 2 shown]
	s_getpc_b64 s[4:5]
	s_add_u32 s4, s4, _ZN2at6native12_GLOBAL__N_14pow_IdEEN3c107complexIT_EES6_S6_@rel32@lo+4
	s_addc_u32 s5, s5, _ZN2at6native12_GLOBAL__N_14pow_IdEEN3c107complexIT_EES6_S6_@rel32@hi+12
	s_swappc_b64 s[30:31], s[4:5]
	v_mov_b32_e32 v5, s53
	v_add_co_u32_e32 v4, vcc, s52, v62
	v_addc_co_u32_e32 v5, vcc, v63, v5, vcc
	global_store_dwordx4 v[4:5], v[0:3], off offset:-8
	s_branch .LBB68_3
.LBB68_20:
	s_mov_b64 s[8:9], 0
.LBB68_21:
	s_andn2_b64 vcc, exec, s[8:9]
	s_cbranch_vccnz .LBB68_25
; %bb.22:
	v_mov_b32_e32 v55, 0
	v_lshlrev_b32_e32 v54, 2, v50
	s_mov_b32 s4, 0
	v_cmp_gt_i64_e32 vcc, s[46:47], v[54:55]
	s_and_saveexec_b64 s[6:7], vcc
	s_cbranch_execz .LBB68_25
; %bb.23:
	s_load_dword s5, s[38:39], 0xc6c
	v_lshlrev_b32_e32 v56, 6, v50
	s_mov_b64 s[38:39], 0
	s_mov_b64 s[40:41], 0xffff
	v_mov_b32_e32 v37, s4
	s_waitcnt lgkmcnt(0)
	s_and_b32 s5, s5, 0xffff
	v_add_lshl_u32 v54, v50, s5, 2
	s_lshl_b32 s42, s5, 2
	s_lshl_b32 s43, s5, 6
.LBB68_24:                              ; =>This Inner Loop Header: Depth=1
	v_mov_b32_e32 v0, s62
	v_add_co_u32_e32 v4, vcc, s33, v56
	v_addc_co_u32_e32 v5, vcc, 0, v0, vcc
	global_load_dwordx4 v[0:3], v[4:5], off
	global_load_dwordx4 v[38:41], v[4:5], off offset:16
	global_load_dwordx4 v[42:45], v[4:5], off offset:48
	;; [unrolled: 1-line block ×3, first 2 shown]
	v_mov_b32_e32 v4, s48
	v_mov_b32_e32 v5, s49
	;; [unrolled: 1-line block ×4, first 2 shown]
	s_getpc_b64 s[44:45]
	s_add_u32 s44, s44, _ZN2at6native12_GLOBAL__N_14pow_IdEEN3c107complexIT_EES6_S6_@rel32@lo+4
	s_addc_u32 s45, s45, _ZN2at6native12_GLOBAL__N_14pow_IdEEN3c107complexIT_EES6_S6_@rel32@hi+12
	s_swappc_b64 s[30:31], s[44:45]
	v_mov_b32_e32 v50, v0
	v_mov_b32_e32 v51, v1
	v_mov_b32_e32 v52, v2
	v_mov_b32_e32 v53, v3
	v_mov_b32_e32 v0, v38
	v_mov_b32_e32 v1, v39
	v_mov_b32_e32 v2, v40
	v_mov_b32_e32 v3, v41
	v_mov_b32_e32 v4, s48
	v_mov_b32_e32 v5, s49
	v_mov_b32_e32 v6, s50
	v_mov_b32_e32 v7, s51
	s_swappc_b64 s[30:31], s[44:45]
	v_mov_b32_e32 v38, v0
	v_mov_b32_e32 v39, v1
	v_mov_b32_e32 v40, v2
	v_mov_b32_e32 v41, v3
	v_mov_b32_e32 v0, v46
	v_mov_b32_e32 v1, v47
	v_mov_b32_e32 v2, v48
	v_mov_b32_e32 v3, v49
	v_mov_b32_e32 v4, s48
	v_mov_b32_e32 v5, s49
	v_mov_b32_e32 v6, s50
	v_mov_b32_e32 v7, s51
	;; [unrolled: 13-line block ×3, first 2 shown]
	s_swappc_b64 s[30:31], s[44:45]
	v_cmp_le_i64_e32 vcc, s[46:47], v[54:55]
	v_cmp_lt_u64_e64 s[4:5], s[40:41], v[54:55]
	s_or_b64 s[4:5], vcc, s[4:5]
	v_add_co_u32_e64 v54, s[6:7], s42, v54
	s_add_u32 s33, s33, s43
	v_addc_co_u32_e64 v55, s[6:7], v55, v37, s[6:7]
	s_addc_u32 s62, s62, 0
	v_add_co_u32_e64 v4, s[6:7], s63, v56
	s_add_u32 s63, s63, s43
	v_mov_b32_e32 v5, s64
	s_addc_u32 s64, s64, 0
	s_and_b64 s[4:5], exec, s[4:5]
	v_addc_co_u32_e64 v5, s[6:7], 0, v5, s[6:7]
	s_or_b64 s[38:39], s[4:5], s[38:39]
	global_store_dwordx4 v[4:5], v[50:53], off
	global_store_dwordx4 v[4:5], v[38:41], off offset:16
	global_store_dwordx4 v[4:5], v[46:49], off offset:32
	;; [unrolled: 1-line block ×3, first 2 shown]
	s_andn2_b64 exec, exec, s[38:39]
	s_cbranch_execnz .LBB68_24
.LBB68_25:
	s_endpgm
	.section	.rodata,"a",@progbits
	.p2align	6, 0x0
	.amdhsa_kernel _ZN2at6native12_GLOBAL__N_125multi_tensor_apply_kernelINS1_18TensorListMetadataILi2EEENS1_21BinaryOpScalarFunctorIN3c107complexIdEELi2ELi1ELi1EEEJNS1_13power_functorIS8_EES8_EEEvT_T0_DpT1_
		.amdhsa_group_segment_fixed_size 0
		.amdhsa_private_segment_fixed_size 8
		.amdhsa_kernarg_size 3424
		.amdhsa_user_sgpr_count 8
		.amdhsa_user_sgpr_private_segment_buffer 1
		.amdhsa_user_sgpr_dispatch_ptr 0
		.amdhsa_user_sgpr_queue_ptr 0
		.amdhsa_user_sgpr_kernarg_segment_ptr 1
		.amdhsa_user_sgpr_dispatch_id 0
		.amdhsa_user_sgpr_flat_scratch_init 1
		.amdhsa_user_sgpr_kernarg_preload_length 0
		.amdhsa_user_sgpr_kernarg_preload_offset 0
		.amdhsa_user_sgpr_private_segment_size 0
		.amdhsa_uses_dynamic_stack 0
		.amdhsa_system_sgpr_private_segment_wavefront_offset 1
		.amdhsa_system_sgpr_workgroup_id_x 1
		.amdhsa_system_sgpr_workgroup_id_y 0
		.amdhsa_system_sgpr_workgroup_id_z 0
		.amdhsa_system_sgpr_workgroup_info 0
		.amdhsa_system_vgpr_workitem_id 0
		.amdhsa_next_free_vgpr 70
		.amdhsa_next_free_sgpr 73
		.amdhsa_accum_offset 72
		.amdhsa_reserve_vcc 1
		.amdhsa_reserve_flat_scratch 1
		.amdhsa_float_round_mode_32 0
		.amdhsa_float_round_mode_16_64 0
		.amdhsa_float_denorm_mode_32 3
		.amdhsa_float_denorm_mode_16_64 3
		.amdhsa_dx10_clamp 1
		.amdhsa_ieee_mode 1
		.amdhsa_fp16_overflow 0
		.amdhsa_tg_split 0
		.amdhsa_exception_fp_ieee_invalid_op 0
		.amdhsa_exception_fp_denorm_src 0
		.amdhsa_exception_fp_ieee_div_zero 0
		.amdhsa_exception_fp_ieee_overflow 0
		.amdhsa_exception_fp_ieee_underflow 0
		.amdhsa_exception_fp_ieee_inexact 0
		.amdhsa_exception_int_div_zero 0
	.end_amdhsa_kernel
	.section	.text._ZN2at6native12_GLOBAL__N_125multi_tensor_apply_kernelINS1_18TensorListMetadataILi2EEENS1_21BinaryOpScalarFunctorIN3c107complexIdEELi2ELi1ELi1EEEJNS1_13power_functorIS8_EES8_EEEvT_T0_DpT1_,"axG",@progbits,_ZN2at6native12_GLOBAL__N_125multi_tensor_apply_kernelINS1_18TensorListMetadataILi2EEENS1_21BinaryOpScalarFunctorIN3c107complexIdEELi2ELi1ELi1EEEJNS1_13power_functorIS8_EES8_EEEvT_T0_DpT1_,comdat
.Lfunc_end68:
	.size	_ZN2at6native12_GLOBAL__N_125multi_tensor_apply_kernelINS1_18TensorListMetadataILi2EEENS1_21BinaryOpScalarFunctorIN3c107complexIdEELi2ELi1ELi1EEEJNS1_13power_functorIS8_EES8_EEEvT_T0_DpT1_, .Lfunc_end68-_ZN2at6native12_GLOBAL__N_125multi_tensor_apply_kernelINS1_18TensorListMetadataILi2EEENS1_21BinaryOpScalarFunctorIN3c107complexIdEELi2ELi1ELi1EEEJNS1_13power_functorIS8_EES8_EEEvT_T0_DpT1_
                                        ; -- End function
	.section	.AMDGPU.csdata,"",@progbits
; Kernel info:
; codeLenInByte = 1748
; NumSgprs: 79
; NumVgprs: 70
; NumAgprs: 0
; TotalNumVgprs: 70
; ScratchSize: 8
; MemoryBound: 1
; FloatMode: 240
; IeeeMode: 1
; LDSByteSize: 0 bytes/workgroup (compile time only)
; SGPRBlocks: 9
; VGPRBlocks: 8
; NumSGPRsForWavesPerEU: 79
; NumVGPRsForWavesPerEU: 70
; AccumOffset: 72
; Occupancy: 7
; WaveLimiterHint : 0
; COMPUTE_PGM_RSRC2:SCRATCH_EN: 1
; COMPUTE_PGM_RSRC2:USER_SGPR: 8
; COMPUTE_PGM_RSRC2:TRAP_HANDLER: 0
; COMPUTE_PGM_RSRC2:TGID_X_EN: 1
; COMPUTE_PGM_RSRC2:TGID_Y_EN: 0
; COMPUTE_PGM_RSRC2:TGID_Z_EN: 0
; COMPUTE_PGM_RSRC2:TIDIG_COMP_CNT: 0
; COMPUTE_PGM_RSRC3_GFX90A:ACCUM_OFFSET: 17
; COMPUTE_PGM_RSRC3_GFX90A:TG_SPLIT: 0
	.section	.text._ZN2at6native12_GLOBAL__N_125multi_tensor_apply_kernelINS1_18TensorListMetadataILi2EEENS1_21BinaryOpScalarFunctorIN3c107complexIfEELi2ELi1ELi1EEEJNS1_13power_functorIS8_EES8_EEEvT_T0_DpT1_,"axG",@progbits,_ZN2at6native12_GLOBAL__N_125multi_tensor_apply_kernelINS1_18TensorListMetadataILi2EEENS1_21BinaryOpScalarFunctorIN3c107complexIfEELi2ELi1ELi1EEEJNS1_13power_functorIS8_EES8_EEEvT_T0_DpT1_,comdat
	.globl	_ZN2at6native12_GLOBAL__N_125multi_tensor_apply_kernelINS1_18TensorListMetadataILi2EEENS1_21BinaryOpScalarFunctorIN3c107complexIfEELi2ELi1ELi1EEEJNS1_13power_functorIS8_EES8_EEEvT_T0_DpT1_ ; -- Begin function _ZN2at6native12_GLOBAL__N_125multi_tensor_apply_kernelINS1_18TensorListMetadataILi2EEENS1_21BinaryOpScalarFunctorIN3c107complexIfEELi2ELi1ELi1EEEJNS1_13power_functorIS8_EES8_EEEvT_T0_DpT1_
	.p2align	8
	.type	_ZN2at6native12_GLOBAL__N_125multi_tensor_apply_kernelINS1_18TensorListMetadataILi2EEENS1_21BinaryOpScalarFunctorIN3c107complexIfEELi2ELi1ELi1EEEJNS1_13power_functorIS8_EES8_EEEvT_T0_DpT1_,@function
_ZN2at6native12_GLOBAL__N_125multi_tensor_apply_kernelINS1_18TensorListMetadataILi2EEENS1_21BinaryOpScalarFunctorIN3c107complexIfEELi2ELi1ELi1EEEJNS1_13power_functorIS8_EES8_EEEvT_T0_DpT1_: ; @_ZN2at6native12_GLOBAL__N_125multi_tensor_apply_kernelINS1_18TensorListMetadataILi2EEENS1_21BinaryOpScalarFunctorIN3c107complexIfEELi2ELi1ELi1EEEJNS1_13power_functorIS8_EES8_EEEvT_T0_DpT1_
; %bb.0:
	v_mov_b32_e32 v1, s10
	global_load_ubyte v1, v1, s[6:7] offset:1536
	s_load_dwordx2 s[4:5], s[4:5], 0x4
	s_add_u32 flat_scratch_lo, s8, s11
	s_addc_u32 flat_scratch_hi, s9, 0
	s_add_u32 s0, s0, s11
	s_addc_u32 s1, s1, 0
	s_mov_b64 s[26:27], s[6:7]
	s_waitcnt lgkmcnt(0)
	s_lshr_b32 s4, s4, 16
	s_add_u32 s8, s26, s10
	v_and_b32_e32 v28, 0x3ff, v0
	s_mul_hi_u32 s6, s10, 3
	s_mul_i32 s7, s10, 3
	s_mul_i32 s4, s4, s5
	s_addc_u32 s10, s27, 0
	v_bfe_u32 v2, v0, 10, 10
	v_mul_lo_u32 v3, s4, v28
	s_add_u32 s4, s8, s7
	v_mad_u32_u24 v2, v2, s5, v3
	s_addc_u32 s5, s10, s6
	s_load_dword s14, s[4:5], 0x740
	s_mov_b32 s9, 0
	s_mov_b32 s11, s9
	;; [unrolled: 1-line block ×3, first 2 shown]
	v_bfe_u32 v0, v0, 20, 10
	s_waitcnt lgkmcnt(0)
	s_ashr_i32 s15, s14, 31
	s_lshl_b64 s[44:45], s[14:15], 19
	v_add_lshl_u32 v30, v2, v0, 3
	s_mov_b32 s32, 0
	s_waitcnt vmcnt(0)
	v_readfirstlane_b32 s4, v1
	s_lshl_b32 s8, s4, 3
	s_load_dwordx2 s[6:7], s[26:27], s8 offset:0x0
	s_load_dwordx2 s[40:41], s[26:27], 0xc50
	s_load_dwordx2 s[16:17], s[26:27], s8 offset:0x400
	s_load_dwordx2 s[4:5], s[26:27], s8 offset:0x200
	s_waitcnt lgkmcnt(0)
	s_add_u32 s33, s6, s44
	s_addc_u32 s56, s7, s45
	s_add_u32 s57, s4, s44
	s_addc_u32 s58, s5, s45
	s_and_b32 s10, s33, 31
	s_and_b32 s12, s16, 3
	;; [unrolled: 1-line block ×3, first 2 shown]
	s_or_b64 s[10:11], s[10:11], s[12:13]
	s_or_b64 s[8:9], s[8:9], s[10:11]
	s_lshl_b64 s[10:11], s[14:15], 16
	s_sub_u32 s42, s16, s10
	s_subb_u32 s43, s17, s11
	s_cmp_eq_u64 s[8:9], 0
	s_mov_b64 s[8:9], -1
	s_cbranch_scc1 .LBB69_19
; %bb.1:
	v_cmp_lt_i64_e64 s[8:9], s[42:43], 1
	s_and_b64 vcc, exec, s[8:9]
	s_cbranch_vccnz .LBB69_18
; %bb.2:
	s_load_dword s8, s[26:27], 0xc64
	v_mov_b32_e32 v0, 0x10000
	v_mov_b32_e32 v1, 0
	v_cmp_lt_u64_e32 vcc, s[42:43], v[0:1]
	v_lshlrev_b32_e32 v0, 3, v28
	s_waitcnt lgkmcnt(0)
	s_and_b32 s60, s8, 0xffff
	s_and_b64 s[8:9], vcc, exec
	v_mov_b32_e32 v4, s7
	v_add_co_u32_e32 v34, vcc, s6, v0
	v_addc_co_u32_e32 v35, vcc, 0, v4, vcc
	v_mov_b32_e32 v5, s5
	v_add_co_u32_e32 v2, vcc, s4, v0
	v_mov_b32_e32 v32, 0
	v_addc_co_u32_e32 v3, vcc, 0, v5, vcc
	s_mov_b64 s[8:9], src_shared_base
	v_mov_b32_e32 v1, v32
	v_add_co_u32_e32 v36, vcc, 4, v2
	v_mov_b32_e32 v31, s9
	v_addc_co_u32_e32 v37, vcc, 0, v3, vcc
	v_mad_u64_u32 v[2:3], s[8:9], s60, 24, v[0:1]
	v_add_co_u32_e32 v38, vcc, s6, v2
	v_addc_co_u32_e32 v39, vcc, v4, v3, vcc
	v_mov_b32_e32 v1, s5
	v_add_co_u32_e32 v40, vcc, s4, v2
	s_cselect_b32 s47, s43, 0
	s_cselect_b32 s46, s42, 0x10000
	v_addc_co_u32_e32 v41, vcc, v1, v3, vcc
	s_lshl_b32 s5, s60, 4
	v_add_co_u32_e32 v0, vcc, s5, v0
	v_addc_co_u32_e64 v1, s[8:9], 0, 0, vcc
	v_add_co_u32_e32 v42, vcc, s6, v0
	v_addc_co_u32_e32 v43, vcc, v4, v1, vcc
	v_add_co_u32_e32 v0, vcc, s4, v0
	v_addc_co_u32_e32 v1, vcc, v1, v5, vcc
	;; [unrolled: 2-line block ×3, first 2 shown]
	v_add_lshl_u32 v0, v28, s60, 3
	v_add_co_u32_e32 v46, vcc, s6, v0
	v_addc_co_u32_e32 v47, vcc, 0, v4, vcc
	v_add_co_u32_e32 v0, vcc, s4, v0
	s_mov_b32 s59, 0
	v_addc_co_u32_e32 v1, vcc, 0, v5, vcc
	v_mov_b32_e32 v29, v32
	s_lshl_b32 s48, s60, 2
	s_mov_b32 s49, s59
	v_add_co_u32_e32 v48, vcc, 4, v0
	s_lshl_b32 s61, s60, 1
	s_mov_b32 s62, s59
	s_mul_i32 s63, s60, 3
	s_mov_b32 s64, s59
	s_lshl_b32 s65, s60, 5
	s_mov_b32 s66, s59
	v_addc_co_u32_e32 v49, vcc, 0, v1, vcc
	v_pk_mov_b32 v[50:51], v[28:29], v[28:29] op_sel:[0,1]
	s_mov_b64 s[50:51], s[48:49]
	s_branch .LBB69_4
.LBB69_3:                               ;   in Loop: Header=BB69_4 Depth=1
	s_or_b64 exec, exec, s[4:5]
	v_pk_mov_b32 v[0:1], s[42:43], s[42:43] op_sel:[0,1]
	v_cmp_lt_i64_e32 vcc, s[50:51], v[0:1]
	v_mov_b32_e32 v0, 0x10000
	v_mov_b32_e32 v1, 0
	v_cmp_lt_u64_e64 s[4:5], s[50:51], v[0:1]
	s_and_b64 s[4:5], vcc, s[4:5]
	v_mov_b32_e32 v0, s66
	v_add_co_u32_e32 v34, vcc, s65, v34
	v_addc_co_u32_e32 v35, vcc, v35, v0, vcc
	v_mov_b32_e32 v1, s49
	v_add_co_u32_e32 v50, vcc, s48, v50
	v_addc_co_u32_e32 v51, vcc, v51, v1, vcc
	v_add_co_u32_e32 v36, vcc, s65, v36
	v_addc_co_u32_e32 v37, vcc, v37, v0, vcc
	;; [unrolled: 2-line block ×7, first 2 shown]
	v_add_co_u32_e32 v48, vcc, s65, v48
	s_add_u32 s50, s50, s48
	v_addc_co_u32_e32 v49, vcc, v49, v0, vcc
	s_addc_u32 s51, s51, 0
	s_and_b64 vcc, exec, s[4:5]
	s_cbranch_vccz .LBB69_18
.LBB69_4:                               ; =>This Inner Loop Header: Depth=1
	v_cmp_gt_u64_e64 s[28:29], s[46:47], v[50:51]
	v_mov_b32_e32 v24, 0
	v_mov_b32_e32 v25, 0
	s_and_saveexec_b64 s[4:5], s[28:29]
	s_cbranch_execz .LBB69_6
; %bb.5:                                ;   in Loop: Header=BB69_4 Depth=1
	v_mov_b32_e32 v1, s45
	v_add_co_u32_e32 v0, vcc, s44, v34
	v_addc_co_u32_e32 v1, vcc, v35, v1, vcc
	global_load_dwordx2 v[24:25], v[0:1], off
.LBB69_6:                               ;   in Loop: Header=BB69_4 Depth=1
	s_or_b64 exec, exec, s[4:5]
	v_mov_b32_e32 v1, s59
	v_add_co_u32_e32 v0, vcc, s60, v50
	v_addc_co_u32_e32 v1, vcc, v1, v51, vcc
	v_cmp_gt_u64_e64 s[34:35], s[46:47], v[0:1]
	v_mov_b32_e32 v22, 0
	v_mov_b32_e32 v26, 0
	;; [unrolled: 1-line block ×3, first 2 shown]
	s_and_saveexec_b64 s[4:5], s[34:35]
	s_cbranch_execz .LBB69_8
; %bb.7:                                ;   in Loop: Header=BB69_4 Depth=1
	v_mov_b32_e32 v1, s45
	v_add_co_u32_e32 v0, vcc, s44, v46
	v_addc_co_u32_e32 v1, vcc, v47, v1, vcc
	global_load_dwordx2 v[26:27], v[0:1], off
.LBB69_8:                               ;   in Loop: Header=BB69_4 Depth=1
	s_or_b64 exec, exec, s[4:5]
	v_mov_b32_e32 v1, s62
	v_add_co_u32_e32 v0, vcc, s61, v50
	v_addc_co_u32_e32 v1, vcc, v1, v51, vcc
	v_cmp_gt_u64_e64 s[36:37], s[46:47], v[0:1]
	v_mov_b32_e32 v23, 0
	s_and_saveexec_b64 s[4:5], s[36:37]
	s_cbranch_execz .LBB69_10
; %bb.9:                                ;   in Loop: Header=BB69_4 Depth=1
	v_mov_b32_e32 v1, s45
	v_add_co_u32_e32 v0, vcc, s44, v42
	v_addc_co_u32_e32 v1, vcc, v43, v1, vcc
	global_load_dwordx2 v[22:23], v[0:1], off
.LBB69_10:                              ;   in Loop: Header=BB69_4 Depth=1
	s_or_b64 exec, exec, s[4:5]
	v_mov_b32_e32 v1, s64
	v_add_co_u32_e32 v0, vcc, s63, v50
	v_addc_co_u32_e32 v1, vcc, v1, v51, vcc
	v_mov_b32_e32 v2, s45
	v_add_co_u32_e32 v3, vcc, s44, v38
	v_mov_b32_e32 v33, v32
	v_addc_co_u32_e32 v2, vcc, v39, v2, vcc
	v_cmp_gt_u64_e64 s[38:39], s[46:47], v[0:1]
	ds_write_b64 v30, v[32:33]
	v_cndmask_b32_e64 v1, v31, v2, s[38:39]
	v_cndmask_b32_e64 v0, v30, v3, s[38:39]
	flat_load_dwordx2 v[0:1], v[0:1]
	v_mov_b32_e32 v2, s40
	v_mov_b32_e32 v3, s41
	s_getpc_b64 s[52:53]
	s_add_u32 s52, s52, _ZN2at6native12_GLOBAL__N_14pow_IfEEN3c107complexIT_EES6_S6_@rel32@lo+4
	s_addc_u32 s53, s53, _ZN2at6native12_GLOBAL__N_14pow_IfEEN3c107complexIT_EES6_S6_@rel32@hi+12
	s_swappc_b64 s[30:31], s[52:53]
	ds_write_b64 v30, v[0:1]
	s_and_saveexec_b64 s[54:55], s[28:29]
	s_cbranch_execnz .LBB69_14
; %bb.11:                               ;   in Loop: Header=BB69_4 Depth=1
	s_or_b64 exec, exec, s[54:55]
	s_and_saveexec_b64 s[28:29], s[34:35]
	s_cbranch_execnz .LBB69_15
.LBB69_12:                              ;   in Loop: Header=BB69_4 Depth=1
	s_or_b64 exec, exec, s[28:29]
	s_and_saveexec_b64 s[28:29], s[36:37]
	s_cbranch_execnz .LBB69_16
.LBB69_13:                              ;   in Loop: Header=BB69_4 Depth=1
	s_or_b64 exec, exec, s[28:29]
	s_and_saveexec_b64 s[4:5], s[38:39]
	s_cbranch_execz .LBB69_3
	s_branch .LBB69_17
.LBB69_14:                              ;   in Loop: Header=BB69_4 Depth=1
	v_mov_b32_e32 v0, v24
	v_mov_b32_e32 v1, v25
	;; [unrolled: 1-line block ×4, first 2 shown]
	s_swappc_b64 s[30:31], s[52:53]
	v_mov_b32_e32 v3, s45
	v_add_co_u32_e32 v2, vcc, s44, v36
	v_addc_co_u32_e32 v3, vcc, v37, v3, vcc
	global_store_dwordx2 v[2:3], v[0:1], off offset:-4
	s_or_b64 exec, exec, s[54:55]
	s_and_saveexec_b64 s[28:29], s[34:35]
	s_cbranch_execz .LBB69_12
.LBB69_15:                              ;   in Loop: Header=BB69_4 Depth=1
	v_mov_b32_e32 v0, v26
	v_mov_b32_e32 v1, v27
	;; [unrolled: 1-line block ×4, first 2 shown]
	s_getpc_b64 s[4:5]
	s_add_u32 s4, s4, _ZN2at6native12_GLOBAL__N_14pow_IfEEN3c107complexIT_EES6_S6_@rel32@lo+4
	s_addc_u32 s5, s5, _ZN2at6native12_GLOBAL__N_14pow_IfEEN3c107complexIT_EES6_S6_@rel32@hi+12
	s_swappc_b64 s[30:31], s[4:5]
	v_mov_b32_e32 v3, s45
	v_add_co_u32_e32 v2, vcc, s44, v48
	v_addc_co_u32_e32 v3, vcc, v49, v3, vcc
	global_store_dwordx2 v[2:3], v[0:1], off offset:-4
	s_or_b64 exec, exec, s[28:29]
	s_and_saveexec_b64 s[28:29], s[36:37]
	s_cbranch_execz .LBB69_13
.LBB69_16:                              ;   in Loop: Header=BB69_4 Depth=1
	v_mov_b32_e32 v0, v22
	v_mov_b32_e32 v1, v23
	;; [unrolled: 1-line block ×4, first 2 shown]
	s_getpc_b64 s[4:5]
	s_add_u32 s4, s4, _ZN2at6native12_GLOBAL__N_14pow_IfEEN3c107complexIT_EES6_S6_@rel32@lo+4
	s_addc_u32 s5, s5, _ZN2at6native12_GLOBAL__N_14pow_IfEEN3c107complexIT_EES6_S6_@rel32@hi+12
	s_swappc_b64 s[30:31], s[4:5]
	v_mov_b32_e32 v3, s45
	v_add_co_u32_e32 v2, vcc, s44, v44
	v_addc_co_u32_e32 v3, vcc, v45, v3, vcc
	global_store_dwordx2 v[2:3], v[0:1], off offset:-4
	s_or_b64 exec, exec, s[28:29]
	s_and_saveexec_b64 s[4:5], s[38:39]
	s_cbranch_execz .LBB69_3
.LBB69_17:                              ;   in Loop: Header=BB69_4 Depth=1
	ds_read_b64 v[0:1], v30
	v_mov_b32_e32 v3, s45
	v_add_co_u32_e32 v2, vcc, s44, v40
	v_addc_co_u32_e32 v3, vcc, v41, v3, vcc
	s_waitcnt lgkmcnt(0)
	global_store_dwordx2 v[2:3], v[0:1], off
	s_branch .LBB69_3
.LBB69_18:
	s_mov_b64 s[8:9], 0
.LBB69_19:
	s_andn2_b64 vcc, exec, s[8:9]
	s_cbranch_vccnz .LBB69_23
; %bb.20:
	v_mov_b32_e32 v33, 0
	v_lshlrev_b32_e32 v32, 2, v28
	s_mov_b32 s4, 0
	v_cmp_gt_i64_e32 vcc, s[42:43], v[32:33]
	s_and_saveexec_b64 s[6:7], vcc
	s_cbranch_execz .LBB69_23
; %bb.21:
	s_load_dword s5, s[26:27], 0xc64
	v_lshlrev_b32_e32 v34, 5, v28
	s_mov_b64 s[26:27], 0
	s_mov_b64 s[28:29], 0xffff
	v_mov_b32_e32 v31, s4
	s_waitcnt lgkmcnt(0)
	s_and_b32 s5, s5, 0xffff
	v_add_lshl_u32 v32, v28, s5, 2
	s_lshl_b32 s34, s5, 2
	s_lshl_b32 s35, s5, 5
.LBB69_22:                              ; =>This Inner Loop Header: Depth=1
	v_mov_b32_e32 v1, s56
	v_add_co_u32_e32 v0, vcc, s33, v34
	v_addc_co_u32_e32 v1, vcc, 0, v1, vcc
	global_load_dwordx4 v[22:25], v[0:1], off
	global_load_dwordx4 v[26:29], v[0:1], off offset:16
	v_mov_b32_e32 v2, s40
	v_mov_b32_e32 v3, s41
	s_getpc_b64 s[36:37]
	s_add_u32 s36, s36, _ZN2at6native12_GLOBAL__N_14pow_IfEEN3c107complexIT_EES6_S6_@rel32@lo+4
	s_addc_u32 s37, s37, _ZN2at6native12_GLOBAL__N_14pow_IfEEN3c107complexIT_EES6_S6_@rel32@hi+12
	s_waitcnt vmcnt(1)
	v_mov_b32_e32 v0, v22
	v_mov_b32_e32 v1, v23
	s_swappc_b64 s[30:31], s[36:37]
	v_mov_b32_e32 v22, v0
	v_mov_b32_e32 v23, v1
	v_mov_b32_e32 v0, v24
	v_mov_b32_e32 v1, v25
	v_mov_b32_e32 v2, s40
	v_mov_b32_e32 v3, s41
	s_swappc_b64 s[30:31], s[36:37]
	v_mov_b32_e32 v24, v0
	v_mov_b32_e32 v25, v1
	v_mov_b32_e32 v0, v26
	v_mov_b32_e32 v1, v27
	;; [unrolled: 7-line block ×3, first 2 shown]
	v_mov_b32_e32 v2, s40
	v_mov_b32_e32 v3, s41
	s_swappc_b64 s[30:31], s[36:37]
	v_cmp_le_i64_e32 vcc, s[42:43], v[32:33]
	v_cmp_lt_u64_e64 s[4:5], s[28:29], v[32:33]
	s_or_b64 s[4:5], vcc, s[4:5]
	v_add_co_u32_e64 v32, s[6:7], s34, v32
	s_add_u32 s33, s33, s35
	v_addc_co_u32_e64 v33, s[6:7], v33, v31, s[6:7]
	s_addc_u32 s56, s56, 0
	v_mov_b32_e32 v28, v0
	v_add_co_u32_e64 v0, s[6:7], s57, v34
	s_add_u32 s57, s57, s35
	v_mov_b32_e32 v29, v1
	v_mov_b32_e32 v1, s58
	s_addc_u32 s58, s58, 0
	s_and_b64 s[4:5], exec, s[4:5]
	v_addc_co_u32_e64 v1, s[6:7], 0, v1, s[6:7]
	s_or_b64 s[26:27], s[4:5], s[26:27]
	ds_write_b64 v30, v[28:29]
	global_store_dwordx4 v[0:1], v[22:25], off
	global_store_dwordx4 v[0:1], v[26:29], off offset:16
	s_andn2_b64 exec, exec, s[26:27]
	s_cbranch_execnz .LBB69_22
.LBB69_23:
	s_endpgm
	.section	.rodata,"a",@progbits
	.p2align	6, 0x0
	.amdhsa_kernel _ZN2at6native12_GLOBAL__N_125multi_tensor_apply_kernelINS1_18TensorListMetadataILi2EEENS1_21BinaryOpScalarFunctorIN3c107complexIfEELi2ELi1ELi1EEEJNS1_13power_functorIS8_EES8_EEEvT_T0_DpT1_
		.amdhsa_group_segment_fixed_size 4096
		.amdhsa_private_segment_fixed_size 0
		.amdhsa_kernarg_size 3416
		.amdhsa_user_sgpr_count 10
		.amdhsa_user_sgpr_private_segment_buffer 1
		.amdhsa_user_sgpr_dispatch_ptr 1
		.amdhsa_user_sgpr_queue_ptr 0
		.amdhsa_user_sgpr_kernarg_segment_ptr 1
		.amdhsa_user_sgpr_dispatch_id 0
		.amdhsa_user_sgpr_flat_scratch_init 1
		.amdhsa_user_sgpr_kernarg_preload_length 0
		.amdhsa_user_sgpr_kernarg_preload_offset 0
		.amdhsa_user_sgpr_private_segment_size 0
		.amdhsa_uses_dynamic_stack 0
		.amdhsa_system_sgpr_private_segment_wavefront_offset 0
		.amdhsa_system_sgpr_workgroup_id_x 1
		.amdhsa_system_sgpr_workgroup_id_y 0
		.amdhsa_system_sgpr_workgroup_id_z 0
		.amdhsa_system_sgpr_workgroup_info 0
		.amdhsa_system_vgpr_workitem_id 2
		.amdhsa_next_free_vgpr 52
		.amdhsa_next_free_sgpr 67
		.amdhsa_accum_offset 52
		.amdhsa_reserve_vcc 1
		.amdhsa_reserve_flat_scratch 1
		.amdhsa_float_round_mode_32 0
		.amdhsa_float_round_mode_16_64 0
		.amdhsa_float_denorm_mode_32 3
		.amdhsa_float_denorm_mode_16_64 3
		.amdhsa_dx10_clamp 1
		.amdhsa_ieee_mode 1
		.amdhsa_fp16_overflow 0
		.amdhsa_tg_split 0
		.amdhsa_exception_fp_ieee_invalid_op 0
		.amdhsa_exception_fp_denorm_src 0
		.amdhsa_exception_fp_ieee_div_zero 0
		.amdhsa_exception_fp_ieee_overflow 0
		.amdhsa_exception_fp_ieee_underflow 0
		.amdhsa_exception_fp_ieee_inexact 0
		.amdhsa_exception_int_div_zero 0
	.end_amdhsa_kernel
	.section	.text._ZN2at6native12_GLOBAL__N_125multi_tensor_apply_kernelINS1_18TensorListMetadataILi2EEENS1_21BinaryOpScalarFunctorIN3c107complexIfEELi2ELi1ELi1EEEJNS1_13power_functorIS8_EES8_EEEvT_T0_DpT1_,"axG",@progbits,_ZN2at6native12_GLOBAL__N_125multi_tensor_apply_kernelINS1_18TensorListMetadataILi2EEENS1_21BinaryOpScalarFunctorIN3c107complexIfEELi2ELi1ELi1EEEJNS1_13power_functorIS8_EES8_EEEvT_T0_DpT1_,comdat
.Lfunc_end69:
	.size	_ZN2at6native12_GLOBAL__N_125multi_tensor_apply_kernelINS1_18TensorListMetadataILi2EEENS1_21BinaryOpScalarFunctorIN3c107complexIfEELi2ELi1ELi1EEEJNS1_13power_functorIS8_EES8_EEEvT_T0_DpT1_, .Lfunc_end69-_ZN2at6native12_GLOBAL__N_125multi_tensor_apply_kernelINS1_18TensorListMetadataILi2EEENS1_21BinaryOpScalarFunctorIN3c107complexIfEELi2ELi1ELi1EEEJNS1_13power_functorIS8_EES8_EEEvT_T0_DpT1_
                                        ; -- End function
	.section	.AMDGPU.csdata,"",@progbits
; Kernel info:
; codeLenInByte = 1604
; NumSgprs: 73
; NumVgprs: 52
; NumAgprs: 0
; TotalNumVgprs: 52
; ScratchSize: 0
; MemoryBound: 0
; FloatMode: 240
; IeeeMode: 1
; LDSByteSize: 4096 bytes/workgroup (compile time only)
; SGPRBlocks: 9
; VGPRBlocks: 6
; NumSGPRsForWavesPerEU: 73
; NumVGPRsForWavesPerEU: 52
; AccumOffset: 52
; Occupancy: 8
; WaveLimiterHint : 0
; COMPUTE_PGM_RSRC2:SCRATCH_EN: 0
; COMPUTE_PGM_RSRC2:USER_SGPR: 10
; COMPUTE_PGM_RSRC2:TRAP_HANDLER: 0
; COMPUTE_PGM_RSRC2:TGID_X_EN: 1
; COMPUTE_PGM_RSRC2:TGID_Y_EN: 0
; COMPUTE_PGM_RSRC2:TGID_Z_EN: 0
; COMPUTE_PGM_RSRC2:TIDIG_COMP_CNT: 2
; COMPUTE_PGM_RSRC3_GFX90A:ACCUM_OFFSET: 12
; COMPUTE_PGM_RSRC3_GFX90A:TG_SPLIT: 0
	.section	.text._ZN2at6native12_GLOBAL__N_125multi_tensor_apply_kernelINS1_18TensorListMetadataILi2EEENS1_21BinaryOpScalarFunctorIN3c104HalfELi2ELi1ELi1EEEJNS1_13power_functorIfEEfEEEvT_T0_DpT1_,"axG",@progbits,_ZN2at6native12_GLOBAL__N_125multi_tensor_apply_kernelINS1_18TensorListMetadataILi2EEENS1_21BinaryOpScalarFunctorIN3c104HalfELi2ELi1ELi1EEEJNS1_13power_functorIfEEfEEEvT_T0_DpT1_,comdat
	.globl	_ZN2at6native12_GLOBAL__N_125multi_tensor_apply_kernelINS1_18TensorListMetadataILi2EEENS1_21BinaryOpScalarFunctorIN3c104HalfELi2ELi1ELi1EEEJNS1_13power_functorIfEEfEEEvT_T0_DpT1_ ; -- Begin function _ZN2at6native12_GLOBAL__N_125multi_tensor_apply_kernelINS1_18TensorListMetadataILi2EEENS1_21BinaryOpScalarFunctorIN3c104HalfELi2ELi1ELi1EEEJNS1_13power_functorIfEEfEEEvT_T0_DpT1_
	.p2align	8
	.type	_ZN2at6native12_GLOBAL__N_125multi_tensor_apply_kernelINS1_18TensorListMetadataILi2EEENS1_21BinaryOpScalarFunctorIN3c104HalfELi2ELi1ELi1EEEJNS1_13power_functorIfEEfEEEvT_T0_DpT1_,@function
_ZN2at6native12_GLOBAL__N_125multi_tensor_apply_kernelINS1_18TensorListMetadataILi2EEENS1_21BinaryOpScalarFunctorIN3c104HalfELi2ELi1ELi1EEEJNS1_13power_functorIfEEfEEEvT_T0_DpT1_: ; @_ZN2at6native12_GLOBAL__N_125multi_tensor_apply_kernelINS1_18TensorListMetadataILi2EEENS1_21BinaryOpScalarFunctorIN3c104HalfELi2ELi1ELi1EEEJNS1_13power_functorIfEEfEEEvT_T0_DpT1_
; %bb.0:
	v_mov_b32_e32 v1, s6
	global_load_ubyte v1, v1, s[4:5] offset:1536
	s_add_u32 s0, s4, s6
	s_mul_hi_u32 s1, s6, 3
	s_mul_i32 s6, s6, 3
	s_addc_u32 s2, s5, 0
	s_add_u32 s0, s0, s6
	s_addc_u32 s1, s2, s1
	s_load_dword s6, s[0:1], 0x740
	s_mov_b32 s9, 0
	s_mov_b32 s13, s9
	;; [unrolled: 1-line block ×3, first 2 shown]
	s_waitcnt lgkmcnt(0)
	s_ashr_i32 s7, s6, 31
	s_lshl_b64 s[20:21], s[6:7], 17
	s_waitcnt vmcnt(0)
	v_readfirstlane_b32 s0, v1
	s_lshl_b32 s8, s0, 3
	s_load_dwordx2 s[2:3], s[4:5], s8 offset:0x0
	s_load_dword s28, s[4:5], 0xc4c
	s_load_dwordx2 s[14:15], s[4:5], s8 offset:0x400
	s_load_dwordx2 s[0:1], s[4:5], s8 offset:0x200
	s_waitcnt lgkmcnt(0)
	s_add_u32 s33, s2, s20
	s_addc_u32 s58, s3, s21
	s_and_b32 s8, s33, 7
	s_add_u32 s59, s0, s20
	s_addc_u32 s60, s1, s21
	s_and_b32 s12, s14, 3
	s_and_b32 s10, s59, 7
	s_or_b64 s[8:9], s[8:9], s[12:13]
	s_or_b64 s[8:9], s[10:11], s[8:9]
	s_lshl_b64 s[6:7], s[6:7], 16
	s_sub_u32 s50, s14, s6
	s_subb_u32 s51, s15, s7
	s_cmp_eq_u64 s[8:9], 0
	s_mov_b64 s[6:7], -1
	s_cbranch_scc1 .LBB70_21
; %bb.1:
	v_cmp_lt_i64_e64 s[6:7], s[50:51], 1
	s_and_b64 vcc, exec, s[6:7]
	s_cbranch_vccnz .LBB70_20
; %bb.2:
	s_load_dword s6, s[4:5], 0xc5c
	v_mov_b32_e32 v2, 0x10000
	v_mov_b32_e32 v3, 0
	v_cmp_lt_u64_e32 vcc, s[50:51], v[2:3]
	v_lshlrev_b32_e32 v10, 1, v0
	s_waitcnt lgkmcnt(0)
	s_and_b32 s8, s6, 0xffff
	s_and_b64 s[6:7], vcc, exec
	v_mov_b32_e32 v13, s3
	v_add_co_u32_e32 v2, vcc, s2, v10
	v_addc_co_u32_e32 v1, vcc, 0, v13, vcc
	v_mov_b32_e32 v11, 0
	v_mov_b32_e32 v15, s1
	v_add_co_u32_e32 v4, vcc, s0, v10
	v_addc_co_u32_e32 v3, vcc, 0, v15, vcc
	v_mad_u64_u32 v[8:9], s[6:7], s8, 6, v[10:11]
	v_add_co_u32_e32 v6, vcc, s2, v8
	v_addc_co_u32_e32 v5, vcc, v13, v9, vcc
	v_add_co_u32_e32 v8, vcc, s0, v8
	s_mul_i32 s10, s8, 3
	v_addc_co_u32_e32 v7, vcc, v15, v9, vcc
	s_cselect_b32 s23, s51, 0
	s_cselect_b32 s22, s50, 0x10000
	s_lshl_b32 s30, s8, 2
	v_add_co_u32_e32 v17, vcc, s10, v0
	v_addc_co_u32_e64 v18, s[6:7], 0, 0, vcc
	v_add_co_u32_e32 v11, vcc, s30, v10
	v_addc_co_u32_e64 v14, s[6:7], 0, 0, vcc
	v_add_co_u32_e32 v10, vcc, s2, v11
	v_addc_co_u32_e32 v9, vcc, v13, v14, vcc
	v_add_co_u32_e32 v12, vcc, s0, v11
	s_lshl_b32 s9, s8, 1
	v_addc_co_u32_e32 v11, vcc, v15, v14, vcc
	v_add_co_u32_e32 v19, vcc, s9, v0
	v_addc_co_u32_e64 v20, s[6:7], 0, 0, vcc
	v_add_co_u32_e32 v21, vcc, s8, v0
	v_lshlrev_b32_e32 v16, 1, v21
	v_addc_co_u32_e64 v22, s[6:7], 0, 0, vcc
	v_add_co_u32_e32 v14, vcc, s2, v16
	v_addc_co_u32_e32 v13, vcc, 0, v13, vcc
	v_add_co_u32_e32 v16, vcc, s0, v16
	s_mov_b32 s29, 0
	s_lshl_b32 s31, s8, 3
	v_addc_co_u32_e32 v15, vcc, 0, v15, vcc
	s_mov_b64 s[24:25], 0
	s_mov_b32 s34, 0x7f800000
	s_brev_b32 s35, -2
	s_mov_b32 s36, 0x3f2aaaab
	s_mov_b32 s37, 0x3f317218
	v_mov_b32_e32 v23, 0x3ecccdef
	s_movk_i32 s38, 0x204
	s_mov_b32 s39, 0x42b17218
	s_mov_b32 s40, 0x3fb8aa3b
	;; [unrolled: 1-line block ×3, first 2 shown]
	v_mov_b32_e32 v24, 0x7f800000
	v_mov_b32_e32 v25, 0x37000000
	;; [unrolled: 1-line block ×3, first 2 shown]
	s_branch .LBB70_4
.LBB70_3:                               ;   in Loop: Header=BB70_4 Depth=1
	s_or_b64 exec, exec, s[8:9]
	s_add_u32 s24, s24, s30
	s_addc_u32 s25, s25, 0
	s_waitcnt vmcnt(0)
	v_pk_mov_b32 v[28:29], s[50:51], s[50:51] op_sel:[0,1]
	v_cmp_lt_i64_e32 vcc, s[24:25], v[28:29]
	v_mov_b32_e32 v28, 0x10000
	v_mov_b32_e32 v29, 0
	v_cmp_lt_u64_e64 s[0:1], s[24:25], v[28:29]
	s_and_b64 s[0:1], vcc, s[0:1]
	v_mov_b32_e32 v27, s29
	v_add_co_u32_e32 v2, vcc, s31, v2
	v_addc_co_u32_e32 v1, vcc, v1, v27, vcc
	v_add_co_u32_e32 v4, vcc, s31, v4
	v_addc_co_u32_e32 v3, vcc, v3, v27, vcc
	;; [unrolled: 2-line block ×8, first 2 shown]
	s_and_b64 vcc, exec, s[0:1]
	s_cbranch_vccz .LBB70_20
.LBB70_4:                               ; =>This Inner Loop Header: Depth=1
	v_mov_b32_e32 v27, s25
	v_add_co_u32_e32 v28, vcc, s24, v0
	v_addc_co_u32_e32 v29, vcc, 0, v27, vcc
	v_cmp_gt_u64_e64 s[6:7], s[22:23], v[28:29]
	v_mov_b32_e32 v30, 0
	s_and_saveexec_b64 s[0:1], s[6:7]
	s_cbranch_execz .LBB70_6
; %bb.5:                                ;   in Loop: Header=BB70_4 Depth=1
	v_mov_b32_e32 v27, s21
	v_add_co_u32_e32 v28, vcc, s20, v2
	v_addc_co_u32_e32 v29, vcc, v1, v27, vcc
	global_load_ushort v30, v[28:29], off
.LBB70_6:                               ;   in Loop: Header=BB70_4 Depth=1
	s_or_b64 exec, exec, s[0:1]
	v_mov_b32_e32 v27, s25
	v_add_co_u32_e32 v28, vcc, s24, v21
	v_addc_co_u32_e32 v29, vcc, v22, v27, vcc
	v_cmp_gt_u64_e64 s[2:3], s[22:23], v[28:29]
	v_mov_b32_e32 v29, 0
	s_and_saveexec_b64 s[0:1], s[2:3]
	s_cbranch_execz .LBB70_8
; %bb.7:                                ;   in Loop: Header=BB70_4 Depth=1
	v_mov_b32_e32 v27, s21
	v_add_co_u32_e32 v28, vcc, s20, v14
	v_addc_co_u32_e32 v29, vcc, v13, v27, vcc
	global_load_ushort v29, v[28:29], off
.LBB70_8:                               ;   in Loop: Header=BB70_4 Depth=1
	s_or_b64 exec, exec, s[0:1]
	v_mov_b32_e32 v27, s25
	v_add_co_u32_e32 v32, vcc, s24, v19
	v_addc_co_u32_e32 v33, vcc, v20, v27, vcc
	v_cmp_gt_u64_e64 s[0:1], s[22:23], v[32:33]
	v_mov_b32_e32 v27, 0
	v_mov_b32_e32 v28, 0
	s_and_saveexec_b64 s[8:9], s[0:1]
	s_cbranch_execz .LBB70_10
; %bb.9:                                ;   in Loop: Header=BB70_4 Depth=1
	v_mov_b32_e32 v28, s21
	v_add_co_u32_e32 v32, vcc, s20, v10
	v_addc_co_u32_e32 v33, vcc, v9, v28, vcc
	global_load_ushort v28, v[32:33], off
.LBB70_10:                              ;   in Loop: Header=BB70_4 Depth=1
	s_or_b64 exec, exec, s[8:9]
	v_mov_b32_e32 v31, s25
	v_add_co_u32_e32 v32, vcc, s24, v17
	v_addc_co_u32_e32 v33, vcc, v18, v31, vcc
	v_cmp_gt_u64_e32 vcc, s[22:23], v[32:33]
	s_and_saveexec_b64 s[10:11], vcc
	s_cbranch_execnz .LBB70_15
; %bb.11:                               ;   in Loop: Header=BB70_4 Depth=1
	s_or_b64 exec, exec, s[10:11]
	s_and_saveexec_b64 s[26:27], s[6:7]
	s_cbranch_execnz .LBB70_16
.LBB70_12:                              ;   in Loop: Header=BB70_4 Depth=1
	s_or_b64 exec, exec, s[26:27]
	s_and_saveexec_b64 s[12:13], s[2:3]
	s_cbranch_execnz .LBB70_17
.LBB70_13:                              ;   in Loop: Header=BB70_4 Depth=1
	s_or_b64 exec, exec, s[12:13]
	s_and_saveexec_b64 s[10:11], s[0:1]
	s_cbranch_execnz .LBB70_18
.LBB70_14:                              ;   in Loop: Header=BB70_4 Depth=1
	s_or_b64 exec, exec, s[10:11]
	s_and_saveexec_b64 s[8:9], vcc
	s_cbranch_execz .LBB70_3
	s_branch .LBB70_19
.LBB70_15:                              ;   in Loop: Header=BB70_4 Depth=1
	v_mov_b32_e32 v27, s21
	v_add_co_u32_e64 v32, s[8:9], s20, v6
	v_addc_co_u32_e64 v33, s[8:9], v5, v27, s[8:9]
	global_load_ushort v27, v[32:33], off
	s_or_b64 exec, exec, s[10:11]
	s_and_saveexec_b64 s[26:27], s[6:7]
	s_cbranch_execz .LBB70_12
.LBB70_16:                              ;   in Loop: Header=BB70_4 Depth=1
	s_waitcnt vmcnt(0)
	v_cvt_f32_f16_e32 v31, v30
	v_mov_b32_e32 v32, s28
	v_cmp_eq_f16_e64 s[14:15], 1.0, v30
	v_cndmask_b32_e64 v47, v32, 1.0, s[14:15]
	v_cmp_eq_f32_e64 s[6:7], 0, v47
	v_cndmask_b32_e64 v48, v31, 1.0, s[6:7]
	v_cmp_eq_f32_e64 s[8:9], 0, v48
	v_cmp_gt_f32_e64 s[10:11], 0, v47
	v_cndmask_b32_e64 v49, |v31|, 1.0, s[6:7]
	s_xor_b64 s[10:11], s[10:11], s[8:9]
	v_trunc_f32_e32 v31, v47
	v_cndmask_b32_e64 v30, v24, 0, s[10:11]
	v_cmp_eq_f32_e64 s[10:11], v31, v47
	v_mul_f32_e32 v31, 0.5, v47
	v_trunc_f32_e32 v33, v31
	v_cmp_neq_f32_e64 s[12:13], v33, v31
	s_and_b64 s[12:13], s[10:11], s[12:13]
	v_cndmask_b32_e64 v31, 0, v48, s[12:13]
	v_bfi_b32 v50, s35, v30, v31
	v_cvt_f64_f32_e32 v[30:31], v49
	v_frexp_exp_i32_f64_e32 v30, v[30:31]
	v_frexp_mant_f32_e32 v31, v49
	v_cmp_gt_f32_e64 s[18:19], s36, v31
	v_subbrev_co_u32_e64 v30, s[16:17], 0, v30, s[18:19]
	v_cvt_f32_i32_e32 v33, v30
	v_cndmask_b32_e64 v51, |v32|, 1.0, s[14:15]
	v_cmp_neq_f32_e64 s[14:15], v47, v51
	v_cmp_gt_f32_e64 s[16:17], 1.0, v49
	v_mul_f32_e32 v30, 0x3f317218, v33
	v_fma_f32 v32, v33, s37, -v30
	v_fmac_f32_e32 v32, 0xb102e308, v33
	v_cndmask_b32_e64 v33, 1.0, 2.0, s[18:19]
	v_mul_f32_e32 v31, v31, v33
	v_add_f32_e32 v33, 1.0, v31
	v_rcp_f32_e32 v42, v33
	v_add_f32_e32 v34, -1.0, v33
	v_add_f32_e32 v35, -1.0, v31
	v_sub_f32_e32 v34, v31, v34
	v_mul_f32_e32 v31, v35, v42
	v_mul_f32_e32 v36, v33, v31
	v_fma_f32 v38, v31, v33, -v36
	v_fmac_f32_e32 v38, v31, v34
	v_add_f32_e32 v34, v36, v38
	v_sub_f32_e32 v37, v35, v34
	v_pk_add_f32 v[40:41], v[34:35], v[36:37] neg_lo:[0,1] neg_hi:[0,1]
	v_mov_b32_e32 v39, v34
	v_pk_add_f32 v[34:35], v[40:41], v[38:39] neg_lo:[0,1] neg_hi:[0,1]
	v_add_f32_e32 v33, v34, v35
	v_add_f32_e32 v33, v37, v33
	v_mul_f32_e32 v35, v42, v33
	v_add_f32_e32 v34, v31, v35
	v_sub_f32_e32 v31, v34, v31
	v_mul_f32_e32 v37, v34, v34
	v_sub_f32_e32 v44, v35, v31
	v_add_f32_e32 v31, v44, v44
	v_fma_f32 v35, v34, v34, -v37
	v_fmac_f32_e32 v35, v34, v31
	v_add_f32_e32 v36, v37, v35
	v_sub_f32_e32 v31, v36, v37
	v_sub_f32_e32 v31, v35, v31
	v_mov_b32_e32 v35, 0x3e91f4c4
	v_fmac_f32_e32 v35, 0x3e76c4e1, v36
	v_fma_f32 v35, v36, v35, v23
	v_mul_f32_e32 v37, v36, v35
	v_fma_f32 v38, v36, v35, -v37
	v_fmac_f32_e32 v38, v31, v35
	v_add_f32_e32 v40, v37, v38
	v_add_f32_e32 v39, 0x3f2aaaaa, v40
	v_sub_f32_e32 v35, v40, v37
	v_sub_f32_e32 v35, v38, v35
	v_add_f32_e32 v37, 0xbf2aaaaa, v39
	v_add_f32_e32 v35, 0x31739010, v35
	v_sub_f32_e32 v37, v40, v37
	v_pk_mul_f32 v[40:41], v[34:35], v[36:37]
	v_fma_f32 v38, v36, v34, -v40
	v_pk_add_f32 v[42:43], v[34:35], v[36:37]
	v_fmac_f32_e32 v38, v36, v44
	v_mov_b32_e32 v41, v43
	v_fmac_f32_e32 v38, v31, v34
	v_ldexp_f32 v33, v34, 1
	v_pk_add_f32 v[34:35], v[40:41], v[38:39]
	v_mov_b32_e32 v36, v35
	v_pk_mul_f32 v[36:37], v[34:35], v[36:37]
	v_sub_f32_e32 v31, v34, v40
	v_sub_f32_e32 v37, v39, v35
	;; [unrolled: 1-line block ×3, first 2 shown]
	v_add_f32_e32 v37, v43, v37
	v_fma_f32 v38, v34, v35, -v36
	v_fmac_f32_e32 v38, v34, v37
	v_fmac_f32_e32 v38, v31, v35
	v_add_f32_e32 v31, v36, v38
	v_pk_add_f32 v[34:35], v[30:31], v[32:33]
	v_mov_b32_e32 v40, v31
	v_mov_b32_e32 v41, v35
	;; [unrolled: 1-line block ×3, first 2 shown]
	v_pk_add_f32 v[36:37], v[40:41], v[36:37] neg_lo:[0,1] neg_hi:[0,1]
	v_mov_b32_e32 v39, v31
	v_ldexp_f32 v42, v44, 1
	v_pk_add_f32 v[36:37], v[38:39], v[36:37] neg_lo:[0,1] neg_hi:[0,1]
	v_add_f32_e32 v31, v42, v36
	v_add_f32_e32 v31, v31, v37
	v_pk_add_f32 v[36:37], v[34:35], v[30:31] neg_lo:[0,1] neg_hi:[0,1]
	v_pk_add_f32 v[38:39], v[34:35], v[30:31]
	v_mov_b32_e32 v40, v36
	v_mov_b32_e32 v41, v39
	;; [unrolled: 1-line block ×3, first 2 shown]
	v_pk_add_f32 v[40:41], v[32:33], v[40:41]
	v_mov_b32_e32 v30, v41
	v_pk_add_f32 v[42:43], v[30:31], v[34:35] neg_lo:[0,1] neg_hi:[0,1]
	v_mov_b32_e32 v43, v42
	v_mov_b32_e32 v40, v39
	;; [unrolled: 1-line block ×4, first 2 shown]
	v_pk_add_f32 v[36:37], v[32:33], v[36:37] neg_lo:[0,1] neg_hi:[0,1]
	v_pk_add_f32 v[44:45], v[38:39], v[42:43] neg_lo:[0,1] neg_hi:[0,1]
	;; [unrolled: 1-line block ×3, first 2 shown]
	v_mov_b32_e32 v32, v31
	v_pk_add_f32 v[32:33], v[32:33], v[34:35] neg_lo:[0,1] neg_hi:[0,1]
	v_mov_b32_e32 v44, v36
	v_pk_add_f32 v[34:35], v[44:45], v[32:33]
	v_mov_b32_e32 v38, v35
	v_pk_add_f32 v[38:39], v[34:35], v[38:39]
	v_pk_add_f32 v[30:31], v[30:31], v[38:39]
	v_mov_b32_e32 v37, v41
	v_mov_b32_e32 v35, v30
	v_pk_add_f32 v[40:41], v[34:35], v[36:37] neg_lo:[0,1] neg_hi:[0,1]
	v_mov_b32_e32 v33, v38
	v_sub_f32_e32 v31, v34, v40
	v_pk_add_f32 v[32:33], v[32:33], v[40:41] neg_lo:[0,1] neg_hi:[0,1]
	v_sub_f32_e32 v31, v36, v31
	v_add_f32_e32 v31, v32, v31
	v_add_f32_e32 v31, v31, v33
	;; [unrolled: 1-line block ×3, first 2 shown]
	v_mul_f32_e32 v33, v47, v32
	v_sub_f32_e32 v30, v32, v30
	v_sub_f32_e32 v30, v31, v30
	v_fma_f32 v31, v47, v32, -v33
	v_fmac_f32_e32 v31, v47, v30
	v_add_f32_e32 v30, v33, v31
	v_cmp_class_f32_e64 s[18:19], v33, s38
	v_cndmask_b32_e64 v32, v30, v33, s[18:19]
	v_cmp_eq_f32_e64 s[18:19], s39, v32
	v_cndmask_b32_e64 v34, 0, v25, s[18:19]
	v_sub_f32_e32 v35, v32, v34
	v_mul_f32_e32 v36, 0x3fb8aa3b, v35
	v_fma_f32 v37, v35, s40, -v36
	v_rndne_f32_e32 v38, v36
	v_fmac_f32_e32 v37, 0x32a5705f, v35
	v_sub_f32_e32 v36, v36, v38
	v_add_f32_e32 v36, v36, v37
	v_exp_f32_e32 v36, v36
	v_cvt_i32_f32_e32 v37, v38
	s_xor_b64 s[14:15], s[14:15], s[16:17]
	v_cndmask_b32_e64 v38, v51, 0, s[14:15]
	v_cmp_eq_f32_e64 s[14:15], 1.0, v49
	v_cndmask_b32_e64 v38, v38, v49, s[14:15]
	v_ldexp_f32 v36, v36, v37
	v_cmp_ngt_f32_e64 s[14:15], s41, v35
	v_cndmask_b32_e64 v36, 0, v36, s[14:15]
	v_cmp_nlt_f32_e64 s[14:15], s39, v35
	v_sub_f32_e32 v30, v30, v33
	v_cndmask_b32_e64 v35, v24, v36, s[14:15]
	v_sub_f32_e32 v30, v31, v30
	v_cmp_neq_f32_e64 s[14:15], |v32|, s34
	v_cndmask_b32_e64 v30, 0, v30, s[14:15]
	v_add_f32_e32 v30, v34, v30
	v_fma_f32 v30, v35, v30, v35
	v_cmp_class_f32_e64 s[14:15], v35, s38
	v_cndmask_b32_e64 v30, v30, v35, s[14:15]
	v_cndmask_b32_e64 v31, 1.0, v48, s[12:13]
	v_bfi_b32 v30, s35, v30, v31
	v_cndmask_b32_e64 v31, v26, v30, s[10:11]
	v_cmp_gt_f32_e64 s[10:11], 0, v48
	v_cmp_eq_f32_e64 s[6:7], s34, v49
	v_cndmask_b32_e64 v30, v30, v31, s[10:11]
	v_cmp_eq_f32_e64 s[10:11], s34, v51
	v_cndmask_b32_e64 v30, v30, v38, s[10:11]
	s_or_b64 s[6:7], s[6:7], s[8:9]
	v_cndmask_b32_e64 v30, v30, v50, s[6:7]
	v_cmp_o_f32_e64 s[6:7], v48, v47
	v_cndmask_b32_e64 v30, v26, v30, s[6:7]
	v_cvt_f16_f32_e32 v32, v30
	v_mov_b32_e32 v46, s21
	v_add_co_u32_e64 v30, s[6:7], s20, v4
	v_addc_co_u32_e64 v31, s[6:7], v3, v46, s[6:7]
	global_store_short v[30:31], v32, off
	s_or_b64 exec, exec, s[26:27]
	s_and_saveexec_b64 s[12:13], s[2:3]
	s_cbranch_execz .LBB70_13
.LBB70_17:                              ;   in Loop: Header=BB70_4 Depth=1
	s_waitcnt vmcnt(0)
	v_cvt_f32_f16_e32 v46, v29
	v_mov_b32_e32 v47, s28
	v_cmp_eq_f16_e64 s[2:3], 1.0, v29
	v_cndmask_b32_e64 v48, v47, 1.0, s[2:3]
	v_cmp_eq_f32_e64 s[6:7], 0, v48
	v_cndmask_b32_e64 v49, |v46|, 1.0, s[6:7]
	v_frexp_mant_f32_e32 v29, v49
	v_cmp_gt_f32_e64 s[8:9], s36, v29
	v_cndmask_b32_e64 v30, 1.0, 2.0, s[8:9]
	v_mul_f32_e32 v29, v29, v30
	v_add_f32_e32 v30, 1.0, v29
	v_rcp_f32_e32 v38, v30
	v_add_f32_e32 v31, -1.0, v30
	v_sub_f32_e32 v33, v29, v31
	v_add_f32_e32 v31, -1.0, v29
	v_mul_f32_e32 v29, v31, v38
	v_mul_f32_e32 v32, v30, v29
	v_fma_f32 v34, v29, v30, -v32
	v_fmac_f32_e32 v34, v29, v33
	v_add_f32_e32 v30, v32, v34
	v_sub_f32_e32 v33, v31, v30
	v_pk_add_f32 v[36:37], v[30:31], v[32:33] neg_lo:[0,1] neg_hi:[0,1]
	v_mov_b32_e32 v35, v30
	v_pk_add_f32 v[30:31], v[36:37], v[34:35] neg_lo:[0,1] neg_hi:[0,1]
	v_add_f32_e32 v30, v30, v31
	v_add_f32_e32 v30, v33, v30
	v_mul_f32_e32 v31, v38, v30
	v_add_f32_e32 v30, v29, v31
	v_sub_f32_e32 v29, v30, v29
	v_sub_f32_e32 v29, v31, v29
	v_mul_f32_e32 v31, v30, v30
	v_fma_f32 v33, v30, v30, -v31
	v_add_f32_e32 v32, v29, v29
	v_fmac_f32_e32 v33, v30, v32
	v_add_f32_e32 v32, v31, v33
	v_mov_b32_e32 v34, 0x3e91f4c4
	v_fmac_f32_e32 v34, 0x3e76c4e1, v32
	v_fma_f32 v34, v32, v34, v23
	v_sub_f32_e32 v31, v32, v31
	v_sub_f32_e32 v40, v33, v31
	v_mul_f32_e32 v31, v32, v34
	v_fma_f32 v33, v32, v34, -v31
	v_fmac_f32_e32 v33, v40, v34
	v_add_f32_e32 v34, v31, v33
	v_add_f32_e32 v35, 0x3f2aaaaa, v34
	v_sub_f32_e32 v31, v34, v31
	v_sub_f32_e32 v31, v33, v31
	v_add_f32_e32 v33, 0xbf2aaaaa, v35
	v_add_f32_e32 v31, 0x31739010, v31
	v_sub_f32_e32 v33, v34, v33
	v_pk_mul_f32 v[36:37], v[30:31], v[32:33]
	v_fma_f32 v34, v32, v30, -v36
	v_pk_add_f32 v[38:39], v[30:31], v[32:33]
	v_fmac_f32_e32 v34, v32, v29
	v_mov_b32_e32 v37, v39
	v_fmac_f32_e32 v34, v40, v30
	v_pk_add_f32 v[32:33], v[36:37], v[34:35]
	v_sub_f32_e32 v31, v32, v36
	v_sub_f32_e32 v31, v34, v31
	;; [unrolled: 1-line block ×3, first 2 shown]
	v_add_f32_e32 v38, v39, v34
	v_mov_b32_e32 v34, v33
	v_pk_mul_f32 v[34:35], v[32:33], v[34:35]
	v_cvt_f64_f32_e32 v[36:37], v49
	v_frexp_exp_i32_f64_e32 v35, v[36:37]
	v_subbrev_co_u32_e64 v35, s[8:9], 0, v35, s[8:9]
	v_cvt_f32_i32_e32 v35, v35
	v_fma_f32 v36, v32, v33, -v34
	v_fmac_f32_e32 v36, v32, v38
	v_fmac_f32_e32 v36, v31, v33
	v_mul_f32_e32 v32, 0x3f317218, v35
	v_fma_f32 v38, v35, s37, -v32
	v_fmac_f32_e32 v38, 0xb102e308, v35
	v_ldexp_f32 v39, v30, 1
	v_add_f32_e32 v33, v34, v36
	v_pk_add_f32 v[30:31], v[32:33], v[38:39]
	v_mov_b32_e32 v40, v33
	v_mov_b32_e32 v41, v31
	;; [unrolled: 1-line block ×3, first 2 shown]
	v_pk_add_f32 v[34:35], v[40:41], v[34:35] neg_lo:[0,1] neg_hi:[0,1]
	v_mov_b32_e32 v37, v33
	v_ldexp_f32 v29, v29, 1
	v_pk_add_f32 v[34:35], v[36:37], v[34:35] neg_lo:[0,1] neg_hi:[0,1]
	v_add_f32_e32 v29, v29, v34
	v_add_f32_e32 v33, v29, v35
	v_pk_add_f32 v[34:35], v[30:31], v[32:33] neg_lo:[0,1] neg_hi:[0,1]
	v_pk_add_f32 v[36:37], v[30:31], v[32:33]
	v_mov_b32_e32 v40, v34
	v_mov_b32_e32 v41, v37
	;; [unrolled: 1-line block ×3, first 2 shown]
	v_pk_add_f32 v[40:41], v[38:39], v[40:41]
	v_mov_b32_e32 v32, v41
	v_pk_add_f32 v[42:43], v[32:33], v[30:31] neg_lo:[0,1] neg_hi:[0,1]
	v_mov_b32_e32 v29, v42
	v_mov_b32_e32 v40, v37
	;; [unrolled: 1-line block ×4, first 2 shown]
	v_pk_add_f32 v[34:35], v[38:39], v[34:35] neg_lo:[0,1] neg_hi:[0,1]
	v_pk_add_f32 v[44:45], v[36:37], v[28:29] neg_lo:[0,1] neg_hi:[0,1]
	;; [unrolled: 1-line block ×3, first 2 shown]
	v_mov_b32_e32 v38, v33
	v_pk_add_f32 v[30:31], v[38:39], v[30:31] neg_lo:[0,1] neg_hi:[0,1]
	v_mov_b32_e32 v44, v34
	v_pk_add_f32 v[36:37], v[44:45], v[30:31]
	v_mov_b32_e32 v38, v37
	v_pk_add_f32 v[38:39], v[36:37], v[38:39]
	v_pk_add_f32 v[32:33], v[32:33], v[38:39]
	v_mov_b32_e32 v35, v41
	v_mov_b32_e32 v37, v32
	v_pk_add_f32 v[40:41], v[36:37], v[34:35] neg_lo:[0,1] neg_hi:[0,1]
	v_mov_b32_e32 v31, v38
	v_sub_f32_e32 v29, v36, v40
	v_pk_add_f32 v[30:31], v[30:31], v[40:41] neg_lo:[0,1] neg_hi:[0,1]
	v_sub_f32_e32 v29, v34, v29
	v_add_f32_e32 v29, v30, v29
	v_add_f32_e32 v29, v29, v31
	v_add_f32_e32 v30, v32, v29
	v_sub_f32_e32 v31, v30, v32
	v_sub_f32_e32 v29, v29, v31
	v_mul_f32_e32 v31, v48, v30
	v_fma_f32 v30, v48, v30, -v31
	v_fmac_f32_e32 v30, v48, v29
	v_add_f32_e32 v29, v31, v30
	v_cmp_class_f32_e64 s[8:9], v31, s38
	v_sub_f32_e32 v32, v29, v31
	v_cndmask_b32_e64 v29, v29, v31, s[8:9]
	v_cmp_eq_f32_e64 s[8:9], s39, v29
	v_cndmask_b32_e64 v31, 0, v25, s[8:9]
	v_sub_f32_e32 v30, v30, v32
	v_sub_f32_e32 v32, v29, v31
	v_mul_f32_e32 v33, 0x3fb8aa3b, v32
	v_fma_f32 v34, v32, s40, -v33
	v_rndne_f32_e32 v35, v33
	v_fmac_f32_e32 v34, 0x32a5705f, v32
	v_sub_f32_e32 v33, v33, v35
	v_add_f32_e32 v33, v33, v34
	v_exp_f32_e32 v33, v33
	v_cvt_i32_f32_e32 v34, v35
	v_cmp_neq_f32_e64 s[8:9], |v29|, s34
	v_cndmask_b32_e64 v29, 0, v30, s[8:9]
	v_cmp_ngt_f32_e64 s[8:9], s41, v32
	v_ldexp_f32 v30, v33, v34
	v_cndmask_b32_e64 v30, 0, v30, s[8:9]
	v_cmp_nlt_f32_e64 s[8:9], s39, v32
	v_add_f32_e32 v29, v31, v29
	v_cndmask_b32_e64 v30, v24, v30, s[8:9]
	v_fma_f32 v29, v30, v29, v30
	v_cmp_class_f32_e64 s[8:9], v30, s38
	v_trunc_f32_e32 v31, v48
	v_cndmask_b32_e64 v29, v29, v30, s[8:9]
	v_cndmask_b32_e64 v30, v46, 1.0, s[6:7]
	v_cmp_eq_f32_e64 s[6:7], v31, v48
	v_mul_f32_e32 v31, 0.5, v48
	v_trunc_f32_e32 v32, v31
	v_cmp_neq_f32_e64 s[8:9], v32, v31
	s_and_b64 s[8:9], s[6:7], s[8:9]
	v_cndmask_b32_e64 v31, 1.0, v30, s[8:9]
	v_bfi_b32 v29, s35, v29, v31
	v_cndmask_b32_e64 v31, v26, v29, s[6:7]
	v_cmp_gt_f32_e64 s[6:7], 0, v30
	v_cndmask_b32_e64 v29, v29, v31, s[6:7]
	v_cndmask_b32_e64 v31, |v47|, 1.0, s[2:3]
	v_cmp_neq_f32_e64 s[2:3], v48, v31
	v_cmp_gt_f32_e64 s[6:7], 1.0, v49
	s_xor_b64 s[2:3], s[2:3], s[6:7]
	v_cndmask_b32_e64 v32, v31, 0, s[2:3]
	v_cmp_eq_f32_e64 s[2:3], 1.0, v49
	v_cmp_eq_f32_e64 s[6:7], 0, v30
	v_cmp_gt_f32_e64 s[10:11], 0, v48
	v_cndmask_b32_e64 v32, v32, v49, s[2:3]
	v_cmp_eq_f32_e64 s[2:3], s34, v31
	s_xor_b64 s[10:11], s[10:11], s[6:7]
	v_cndmask_b32_e64 v29, v29, v32, s[2:3]
	v_cmp_eq_f32_e64 s[2:3], s34, v49
	v_cndmask_b32_e64 v31, v24, 0, s[10:11]
	v_cndmask_b32_e64 v32, 0, v30, s[8:9]
	v_bfi_b32 v31, s35, v31, v32
	s_or_b64 s[2:3], s[2:3], s[6:7]
	v_cndmask_b32_e64 v29, v29, v31, s[2:3]
	v_cmp_o_f32_e64 s[2:3], v30, v48
	v_cndmask_b32_e64 v29, v26, v29, s[2:3]
	v_cvt_f16_f32_e32 v29, v29
	v_mov_b32_e32 v31, s21
	v_add_co_u32_e64 v30, s[2:3], s20, v16
	v_addc_co_u32_e64 v31, s[2:3], v15, v31, s[2:3]
	global_store_short v[30:31], v29, off
	s_or_b64 exec, exec, s[12:13]
	s_and_saveexec_b64 s[10:11], s[0:1]
	s_cbranch_execz .LBB70_14
.LBB70_18:                              ;   in Loop: Header=BB70_4 Depth=1
	s_waitcnt vmcnt(0)
	v_cvt_f32_f16_e32 v44, v28
	v_mov_b32_e32 v45, s28
	v_cmp_eq_f16_e64 s[0:1], 1.0, v28
	v_cndmask_b32_e64 v46, v45, 1.0, s[0:1]
	v_cmp_eq_f32_e64 s[2:3], 0, v46
	v_cndmask_b32_e64 v47, |v44|, 1.0, s[2:3]
	v_frexp_mant_f32_e32 v28, v47
	v_cmp_gt_f32_e64 s[6:7], s36, v28
	v_cndmask_b32_e64 v29, 1.0, 2.0, s[6:7]
	v_mul_f32_e32 v28, v28, v29
	v_add_f32_e32 v31, 1.0, v28
	v_rcp_f32_e32 v36, v31
	v_add_f32_e32 v29, -1.0, v31
	v_sub_f32_e32 v33, v28, v29
	v_add_f32_e32 v29, -1.0, v28
	v_mul_f32_e32 v37, v29, v36
	v_mul_f32_e32 v30, v31, v37
	v_fma_f32 v32, v37, v31, -v30
	v_fmac_f32_e32 v32, v37, v33
	v_add_f32_e32 v28, v30, v32
	v_sub_f32_e32 v31, v29, v28
	v_pk_add_f32 v[34:35], v[28:29], v[30:31] neg_lo:[0,1] neg_hi:[0,1]
	v_mov_b32_e32 v33, v28
	v_pk_add_f32 v[28:29], v[34:35], v[32:33] neg_lo:[0,1] neg_hi:[0,1]
	v_add_f32_e32 v28, v28, v29
	v_add_f32_e32 v28, v31, v28
	v_mul_f32_e32 v29, v36, v28
	v_add_f32_e32 v28, v37, v29
	v_sub_f32_e32 v30, v28, v37
	v_sub_f32_e32 v38, v29, v30
	v_mul_f32_e32 v29, v28, v28
	v_fma_f32 v31, v28, v28, -v29
	v_add_f32_e32 v30, v38, v38
	v_fmac_f32_e32 v31, v28, v30
	v_add_f32_e32 v30, v29, v31
	v_mov_b32_e32 v32, 0x3e91f4c4
	v_fmac_f32_e32 v32, 0x3e76c4e1, v30
	v_fma_f32 v32, v30, v32, v23
	v_sub_f32_e32 v29, v30, v29
	v_sub_f32_e32 v39, v31, v29
	v_mul_f32_e32 v29, v30, v32
	v_fma_f32 v31, v30, v32, -v29
	v_fmac_f32_e32 v31, v39, v32
	v_add_f32_e32 v32, v29, v31
	v_add_f32_e32 v33, 0x3f2aaaaa, v32
	v_sub_f32_e32 v29, v32, v29
	v_sub_f32_e32 v29, v31, v29
	v_add_f32_e32 v31, 0xbf2aaaaa, v33
	v_add_f32_e32 v29, 0x31739010, v29
	v_sub_f32_e32 v31, v32, v31
	v_pk_mul_f32 v[34:35], v[28:29], v[30:31]
	v_fma_f32 v32, v30, v28, -v34
	v_pk_add_f32 v[36:37], v[28:29], v[30:31]
	v_fmac_f32_e32 v32, v30, v38
	v_mov_b32_e32 v35, v37
	v_fmac_f32_e32 v32, v39, v28
	v_pk_add_f32 v[30:31], v[34:35], v[32:33]
	v_sub_f32_e32 v29, v30, v34
	v_sub_f32_e32 v29, v32, v29
	;; [unrolled: 1-line block ×3, first 2 shown]
	v_add_f32_e32 v36, v37, v32
	v_mov_b32_e32 v32, v31
	v_pk_mul_f32 v[32:33], v[30:31], v[32:33]
	v_cvt_f64_f32_e32 v[34:35], v47
	v_frexp_exp_i32_f64_e32 v33, v[34:35]
	v_subbrev_co_u32_e64 v33, s[6:7], 0, v33, s[6:7]
	v_cvt_f32_i32_e32 v33, v33
	v_fma_f32 v34, v30, v31, -v32
	v_fmac_f32_e32 v34, v30, v36
	v_fmac_f32_e32 v34, v29, v31
	v_mul_f32_e32 v30, 0x3f317218, v33
	v_fma_f32 v36, v33, s37, -v30
	v_fmac_f32_e32 v36, 0xb102e308, v33
	v_ldexp_f32 v37, v28, 1
	v_add_f32_e32 v31, v32, v34
	v_pk_add_f32 v[28:29], v[30:31], v[36:37]
	v_ldexp_f32 v40, v38, 1
	v_mov_b32_e32 v38, v31
	v_mov_b32_e32 v39, v29
	;; [unrolled: 1-line block ×3, first 2 shown]
	v_pk_add_f32 v[32:33], v[38:39], v[32:33] neg_lo:[0,1] neg_hi:[0,1]
	v_mov_b32_e32 v35, v31
	v_pk_add_f32 v[32:33], v[34:35], v[32:33] neg_lo:[0,1] neg_hi:[0,1]
	v_add_f32_e32 v31, v40, v32
	v_add_f32_e32 v31, v31, v33
	v_pk_add_f32 v[32:33], v[28:29], v[30:31] neg_lo:[0,1] neg_hi:[0,1]
	v_pk_add_f32 v[34:35], v[28:29], v[30:31]
	v_mov_b32_e32 v38, v32
	v_mov_b32_e32 v39, v35
	;; [unrolled: 1-line block ×3, first 2 shown]
	v_pk_add_f32 v[38:39], v[36:37], v[38:39]
	v_mov_b32_e32 v30, v39
	v_pk_add_f32 v[40:41], v[30:31], v[28:29] neg_lo:[0,1] neg_hi:[0,1]
	v_mov_b32_e32 v41, v40
	v_mov_b32_e32 v38, v35
	;; [unrolled: 1-line block ×4, first 2 shown]
	v_pk_add_f32 v[32:33], v[36:37], v[32:33] neg_lo:[0,1] neg_hi:[0,1]
	v_pk_add_f32 v[42:43], v[34:35], v[40:41] neg_lo:[0,1] neg_hi:[0,1]
	;; [unrolled: 1-line block ×3, first 2 shown]
	v_mov_b32_e32 v36, v31
	v_pk_add_f32 v[28:29], v[36:37], v[28:29] neg_lo:[0,1] neg_hi:[0,1]
	v_mov_b32_e32 v42, v32
	v_pk_add_f32 v[34:35], v[42:43], v[28:29]
	v_mov_b32_e32 v36, v35
	v_pk_add_f32 v[36:37], v[34:35], v[36:37]
	v_pk_add_f32 v[30:31], v[30:31], v[36:37]
	v_mov_b32_e32 v33, v39
	v_mov_b32_e32 v35, v30
	v_pk_add_f32 v[38:39], v[34:35], v[32:33] neg_lo:[0,1] neg_hi:[0,1]
	v_mov_b32_e32 v29, v36
	v_sub_f32_e32 v31, v34, v38
	v_pk_add_f32 v[28:29], v[28:29], v[38:39] neg_lo:[0,1] neg_hi:[0,1]
	v_sub_f32_e32 v31, v32, v31
	v_add_f32_e32 v28, v28, v31
	v_add_f32_e32 v28, v28, v29
	;; [unrolled: 1-line block ×3, first 2 shown]
	v_sub_f32_e32 v30, v29, v30
	v_sub_f32_e32 v28, v28, v30
	v_mul_f32_e32 v30, v46, v29
	v_fma_f32 v29, v46, v29, -v30
	v_fmac_f32_e32 v29, v46, v28
	v_add_f32_e32 v28, v30, v29
	v_cmp_class_f32_e64 s[6:7], v30, s38
	v_sub_f32_e32 v31, v28, v30
	v_cndmask_b32_e64 v28, v28, v30, s[6:7]
	v_cmp_eq_f32_e64 s[6:7], s39, v28
	v_cndmask_b32_e64 v30, 0, v25, s[6:7]
	v_sub_f32_e32 v29, v29, v31
	v_sub_f32_e32 v31, v28, v30
	v_mul_f32_e32 v32, 0x3fb8aa3b, v31
	v_fma_f32 v33, v31, s40, -v32
	v_rndne_f32_e32 v34, v32
	v_fmac_f32_e32 v33, 0x32a5705f, v31
	v_sub_f32_e32 v32, v32, v34
	v_add_f32_e32 v32, v32, v33
	v_exp_f32_e32 v32, v32
	v_cvt_i32_f32_e32 v33, v34
	v_cmp_neq_f32_e64 s[6:7], |v28|, s34
	v_cndmask_b32_e64 v28, 0, v29, s[6:7]
	v_cmp_ngt_f32_e64 s[6:7], s41, v31
	v_ldexp_f32 v29, v32, v33
	v_cndmask_b32_e64 v29, 0, v29, s[6:7]
	v_cmp_nlt_f32_e64 s[6:7], s39, v31
	v_add_f32_e32 v28, v30, v28
	v_cndmask_b32_e64 v29, v24, v29, s[6:7]
	v_fma_f32 v28, v29, v28, v29
	v_cmp_class_f32_e64 s[6:7], v29, s38
	v_trunc_f32_e32 v30, v46
	v_cndmask_b32_e64 v28, v28, v29, s[6:7]
	v_cndmask_b32_e64 v29, v44, 1.0, s[2:3]
	v_cmp_eq_f32_e64 s[2:3], v30, v46
	v_mul_f32_e32 v30, 0.5, v46
	v_trunc_f32_e32 v31, v30
	v_cmp_neq_f32_e64 s[6:7], v31, v30
	s_and_b64 s[6:7], s[2:3], s[6:7]
	v_cndmask_b32_e64 v30, 1.0, v29, s[6:7]
	v_bfi_b32 v28, s35, v28, v30
	v_cndmask_b32_e64 v30, v26, v28, s[2:3]
	v_cmp_gt_f32_e64 s[2:3], 0, v29
	v_cndmask_b32_e64 v28, v28, v30, s[2:3]
	v_cndmask_b32_e64 v30, |v45|, 1.0, s[0:1]
	v_cmp_neq_f32_e64 s[0:1], v46, v30
	v_cmp_gt_f32_e64 s[2:3], 1.0, v47
	s_xor_b64 s[0:1], s[0:1], s[2:3]
	v_cndmask_b32_e64 v31, v30, 0, s[0:1]
	v_cmp_eq_f32_e64 s[0:1], 1.0, v47
	v_cmp_eq_f32_e64 s[2:3], 0, v29
	v_cmp_gt_f32_e64 s[8:9], 0, v46
	v_cndmask_b32_e64 v31, v31, v47, s[0:1]
	v_cmp_eq_f32_e64 s[0:1], s34, v30
	s_xor_b64 s[8:9], s[8:9], s[2:3]
	v_cndmask_b32_e64 v28, v28, v31, s[0:1]
	v_cmp_eq_f32_e64 s[0:1], s34, v47
	v_cndmask_b32_e64 v30, v24, 0, s[8:9]
	v_cndmask_b32_e64 v31, 0, v29, s[6:7]
	v_bfi_b32 v30, s35, v30, v31
	s_or_b64 s[0:1], s[0:1], s[2:3]
	v_cndmask_b32_e64 v28, v28, v30, s[0:1]
	v_cmp_o_f32_e64 s[0:1], v29, v46
	v_cndmask_b32_e64 v28, v26, v28, s[0:1]
	v_cvt_f16_f32_e32 v30, v28
	v_mov_b32_e32 v29, s21
	v_add_co_u32_e64 v28, s[0:1], s20, v12
	v_addc_co_u32_e64 v29, s[0:1], v11, v29, s[0:1]
	global_store_short v[28:29], v30, off
	s_or_b64 exec, exec, s[10:11]
	s_and_saveexec_b64 s[8:9], vcc
	s_cbranch_execz .LBB70_3
.LBB70_19:                              ;   in Loop: Header=BB70_4 Depth=1
	s_waitcnt vmcnt(0)
	v_cvt_f32_f16_e32 v44, v27
	v_mov_b32_e32 v45, s28
	v_cmp_eq_f16_e32 vcc, 1.0, v27
	v_cndmask_b32_e64 v46, v45, 1.0, vcc
	v_cmp_eq_f32_e64 s[0:1], 0, v46
	v_cndmask_b32_e64 v47, |v44|, 1.0, s[0:1]
	v_frexp_mant_f32_e32 v27, v47
	v_cmp_gt_f32_e64 s[2:3], s36, v27
	v_cndmask_b32_e64 v28, 1.0, 2.0, s[2:3]
	v_mul_f32_e32 v27, v27, v28
	v_add_f32_e32 v28, 1.0, v27
	v_rcp_f32_e32 v36, v28
	v_add_f32_e32 v29, -1.0, v28
	v_sub_f32_e32 v31, v27, v29
	v_add_f32_e32 v29, -1.0, v27
	v_mul_f32_e32 v27, v29, v36
	v_mul_f32_e32 v30, v28, v27
	v_fma_f32 v32, v27, v28, -v30
	v_fmac_f32_e32 v32, v27, v31
	v_add_f32_e32 v28, v30, v32
	v_sub_f32_e32 v31, v29, v28
	v_pk_add_f32 v[34:35], v[28:29], v[30:31] neg_lo:[0,1] neg_hi:[0,1]
	v_mov_b32_e32 v33, v28
	v_pk_add_f32 v[28:29], v[34:35], v[32:33] neg_lo:[0,1] neg_hi:[0,1]
	v_add_f32_e32 v28, v28, v29
	v_add_f32_e32 v28, v31, v28
	v_mul_f32_e32 v29, v36, v28
	v_add_f32_e32 v28, v27, v29
	v_sub_f32_e32 v27, v28, v27
	v_sub_f32_e32 v27, v29, v27
	v_mul_f32_e32 v29, v28, v28
	v_fma_f32 v31, v28, v28, -v29
	v_add_f32_e32 v30, v27, v27
	v_fmac_f32_e32 v31, v28, v30
	v_add_f32_e32 v30, v29, v31
	v_mov_b32_e32 v32, 0x3e91f4c4
	v_fmac_f32_e32 v32, 0x3e76c4e1, v30
	v_fma_f32 v32, v30, v32, v23
	v_sub_f32_e32 v29, v30, v29
	v_sub_f32_e32 v38, v31, v29
	v_mul_f32_e32 v29, v30, v32
	v_fma_f32 v31, v30, v32, -v29
	v_fmac_f32_e32 v31, v38, v32
	v_add_f32_e32 v32, v29, v31
	v_add_f32_e32 v33, 0x3f2aaaaa, v32
	v_sub_f32_e32 v29, v32, v29
	v_sub_f32_e32 v29, v31, v29
	v_add_f32_e32 v31, 0xbf2aaaaa, v33
	v_add_f32_e32 v29, 0x31739010, v29
	v_sub_f32_e32 v31, v32, v31
	v_pk_mul_f32 v[34:35], v[28:29], v[30:31]
	v_fma_f32 v32, v30, v28, -v34
	v_pk_add_f32 v[36:37], v[28:29], v[30:31]
	v_fmac_f32_e32 v32, v30, v27
	v_mov_b32_e32 v35, v37
	v_fmac_f32_e32 v32, v38, v28
	v_pk_add_f32 v[30:31], v[34:35], v[32:33]
	v_sub_f32_e32 v29, v30, v34
	v_sub_f32_e32 v29, v32, v29
	;; [unrolled: 1-line block ×3, first 2 shown]
	v_add_f32_e32 v36, v37, v32
	v_mov_b32_e32 v32, v31
	v_pk_mul_f32 v[32:33], v[30:31], v[32:33]
	v_cvt_f64_f32_e32 v[34:35], v47
	v_frexp_exp_i32_f64_e32 v33, v[34:35]
	v_subbrev_co_u32_e64 v33, s[2:3], 0, v33, s[2:3]
	v_cvt_f32_i32_e32 v33, v33
	v_fma_f32 v34, v30, v31, -v32
	v_fmac_f32_e32 v34, v30, v36
	v_fmac_f32_e32 v34, v29, v31
	v_mul_f32_e32 v30, 0x3f317218, v33
	v_fma_f32 v36, v33, s37, -v30
	v_fmac_f32_e32 v36, 0xb102e308, v33
	v_ldexp_f32 v37, v28, 1
	v_add_f32_e32 v31, v32, v34
	v_pk_add_f32 v[28:29], v[30:31], v[36:37]
	v_mov_b32_e32 v38, v31
	v_mov_b32_e32 v39, v29
	v_mov_b32_e32 v33, v37
	v_pk_add_f32 v[32:33], v[38:39], v[32:33] neg_lo:[0,1] neg_hi:[0,1]
	v_mov_b32_e32 v35, v31
	v_ldexp_f32 v27, v27, 1
	v_pk_add_f32 v[32:33], v[34:35], v[32:33] neg_lo:[0,1] neg_hi:[0,1]
	v_add_f32_e32 v27, v27, v32
	v_add_f32_e32 v31, v27, v33
	v_pk_add_f32 v[32:33], v[28:29], v[30:31] neg_lo:[0,1] neg_hi:[0,1]
	v_pk_add_f32 v[34:35], v[28:29], v[30:31]
	v_mov_b32_e32 v38, v32
	v_mov_b32_e32 v39, v35
	;; [unrolled: 1-line block ×3, first 2 shown]
	v_pk_add_f32 v[38:39], v[36:37], v[38:39]
	v_mov_b32_e32 v30, v39
	v_pk_add_f32 v[40:41], v[30:31], v[28:29] neg_lo:[0,1] neg_hi:[0,1]
	v_mov_b32_e32 v27, v40
	v_mov_b32_e32 v38, v35
	;; [unrolled: 1-line block ×4, first 2 shown]
	v_pk_add_f32 v[32:33], v[36:37], v[32:33] neg_lo:[0,1] neg_hi:[0,1]
	v_pk_add_f32 v[42:43], v[34:35], v[26:27] neg_lo:[0,1] neg_hi:[0,1]
	;; [unrolled: 1-line block ×3, first 2 shown]
	v_mov_b32_e32 v36, v31
	v_pk_add_f32 v[28:29], v[36:37], v[28:29] neg_lo:[0,1] neg_hi:[0,1]
	v_mov_b32_e32 v42, v32
	v_pk_add_f32 v[34:35], v[42:43], v[28:29]
	v_mov_b32_e32 v36, v35
	v_pk_add_f32 v[36:37], v[34:35], v[36:37]
	v_pk_add_f32 v[30:31], v[30:31], v[36:37]
	v_mov_b32_e32 v33, v39
	v_mov_b32_e32 v35, v30
	v_pk_add_f32 v[38:39], v[34:35], v[32:33] neg_lo:[0,1] neg_hi:[0,1]
	v_mov_b32_e32 v29, v36
	v_sub_f32_e32 v27, v34, v38
	v_pk_add_f32 v[28:29], v[28:29], v[38:39] neg_lo:[0,1] neg_hi:[0,1]
	v_sub_f32_e32 v27, v32, v27
	v_add_f32_e32 v27, v28, v27
	v_add_f32_e32 v27, v27, v29
	;; [unrolled: 1-line block ×3, first 2 shown]
	v_sub_f32_e32 v29, v28, v30
	v_sub_f32_e32 v27, v27, v29
	v_mul_f32_e32 v29, v46, v28
	v_fma_f32 v28, v46, v28, -v29
	v_fmac_f32_e32 v28, v46, v27
	v_add_f32_e32 v27, v29, v28
	v_cmp_class_f32_e64 s[2:3], v29, s38
	v_sub_f32_e32 v30, v27, v29
	v_cndmask_b32_e64 v27, v27, v29, s[2:3]
	v_cmp_eq_f32_e64 s[2:3], s39, v27
	v_cndmask_b32_e64 v29, 0, v25, s[2:3]
	v_sub_f32_e32 v28, v28, v30
	v_sub_f32_e32 v30, v27, v29
	v_mul_f32_e32 v31, 0x3fb8aa3b, v30
	v_fma_f32 v32, v30, s40, -v31
	v_rndne_f32_e32 v33, v31
	v_fmac_f32_e32 v32, 0x32a5705f, v30
	v_sub_f32_e32 v31, v31, v33
	v_add_f32_e32 v31, v31, v32
	v_exp_f32_e32 v31, v31
	v_cvt_i32_f32_e32 v32, v33
	v_cmp_neq_f32_e64 s[2:3], |v27|, s34
	v_cndmask_b32_e64 v27, 0, v28, s[2:3]
	v_cmp_ngt_f32_e64 s[2:3], s41, v30
	v_ldexp_f32 v28, v31, v32
	v_cndmask_b32_e64 v28, 0, v28, s[2:3]
	v_cmp_nlt_f32_e64 s[2:3], s39, v30
	v_add_f32_e32 v27, v29, v27
	v_cndmask_b32_e64 v28, v24, v28, s[2:3]
	v_fma_f32 v27, v28, v27, v28
	v_cmp_class_f32_e64 s[2:3], v28, s38
	v_trunc_f32_e32 v29, v46
	v_cndmask_b32_e64 v27, v27, v28, s[2:3]
	v_cndmask_b32_e64 v28, v44, 1.0, s[0:1]
	v_cmp_eq_f32_e64 s[0:1], v29, v46
	v_mul_f32_e32 v29, 0.5, v46
	v_trunc_f32_e32 v30, v29
	v_cmp_neq_f32_e64 s[2:3], v30, v29
	s_and_b64 s[2:3], s[0:1], s[2:3]
	v_cndmask_b32_e64 v29, 1.0, v28, s[2:3]
	v_bfi_b32 v27, s35, v27, v29
	v_cndmask_b32_e64 v29, v26, v27, s[0:1]
	v_cmp_gt_f32_e64 s[0:1], 0, v28
	v_cndmask_b32_e64 v27, v27, v29, s[0:1]
	v_cndmask_b32_e64 v29, |v45|, 1.0, vcc
	v_cmp_neq_f32_e32 vcc, v46, v29
	v_cmp_gt_f32_e64 s[0:1], 1.0, v47
	s_xor_b64 s[0:1], vcc, s[0:1]
	v_cndmask_b32_e64 v30, v29, 0, s[0:1]
	v_cmp_eq_f32_e32 vcc, 1.0, v47
	v_cmp_eq_f32_e64 s[0:1], 0, v28
	v_cmp_gt_f32_e64 s[6:7], 0, v46
	v_cndmask_b32_e32 v30, v30, v47, vcc
	v_cmp_eq_f32_e32 vcc, s34, v29
	s_xor_b64 s[6:7], s[6:7], s[0:1]
	v_cndmask_b32_e32 v27, v27, v30, vcc
	v_cmp_eq_f32_e32 vcc, s34, v47
	v_cndmask_b32_e64 v29, v24, 0, s[6:7]
	v_cndmask_b32_e64 v30, 0, v28, s[2:3]
	v_bfi_b32 v29, s35, v29, v30
	s_or_b64 vcc, vcc, s[0:1]
	v_cndmask_b32_e32 v27, v27, v29, vcc
	v_cmp_o_f32_e32 vcc, v28, v46
	v_cndmask_b32_e32 v27, v26, v27, vcc
	v_cvt_f16_f32_e32 v27, v27
	v_mov_b32_e32 v29, s21
	v_add_co_u32_e32 v28, vcc, s20, v8
	v_addc_co_u32_e32 v29, vcc, v7, v29, vcc
	global_store_short v[28:29], v27, off
	s_branch .LBB70_3
.LBB70_20:
	s_mov_b64 s[6:7], 0
.LBB70_21:
	s_andn2_b64 vcc, exec, s[6:7]
	s_cbranch_vccnz .LBB70_25
; %bb.22:
	v_mov_b32_e32 v3, 0
	v_lshlrev_b32_e32 v2, 2, v0
	s_mov_b32 s0, 0
	v_cmp_gt_i64_e32 vcc, s[50:51], v[2:3]
	s_and_saveexec_b64 s[2:3], vcc
	s_cbranch_execz .LBB70_25
; %bb.23:
	s_load_dword s1, s[4:5], 0xc5c
	v_lshlrev_b32_e32 v4, 3, v0
	s_mov_b64 s[52:53], 0
	v_mov_b32_e32 v5, s28
	s_mov_b32 s63, 0x3f2aaaab
	s_waitcnt lgkmcnt(0)
	s_and_b32 s1, s1, 0xffff
	s_lshl_b32 s61, s1, 3
	v_add_lshl_u32 v2, v0, s1, 2
	s_lshl_b32 s62, s1, 2
	v_mov_b32_e32 v12, 0x3ecccdef
	s_mov_b32 s64, 0x3f317218
	s_movk_i32 s65, 0x204
	s_mov_b32 s66, 0x7f800000
	s_mov_b32 s67, 0x42b17218
	v_mov_b32_e32 v13, 0x37000000
	s_mov_b32 s68, 0x3fb8aa3b
	s_mov_b32 s69, 0xc2ce8ed0
	v_mov_b32_e32 v14, 0x7f800000
	s_brev_b32 s70, -2
	v_mov_b32_e32 v15, 0x7fc00000
	s_mov_b64 s[54:55], 0xffff
	v_mov_b32_e32 v16, s0
	v_mov_b32_e32 v17, 0x3c00
.LBB70_24:                              ; =>This Inner Loop Header: Depth=1
	v_mov_b32_e32 v0, s58
	v_add_co_u32_e32 v6, vcc, s33, v4
	v_addc_co_u32_e32 v7, vcc, 0, v0, vcc
	global_load_dwordx2 v[8:9], v[6:7], off
	global_load_dword v9, v[6:7], off offset:2
	global_load_ushort v0, v[6:7], off offset:6
	v_mov_b32_e32 v1, 0x3e91f4c4
	s_waitcnt vmcnt(2)
	v_cvt_f32_f16_e32 v20, v8
	v_cmp_eq_f16_e32 vcc, 1.0, v8
	v_cndmask_b32_e64 v18, v5, 1.0, vcc
	s_waitcnt vmcnt(1)
	v_cvt_f32_f16_sdwa v24, v9 dst_sel:DWORD dst_unused:UNUSED_PAD src0_sel:WORD_1
	s_waitcnt vmcnt(0)
	v_cvt_f32_f16_e32 v25, v0
	v_cmp_eq_f16_e64 s[8:9], 1.0, v0
	v_mul_f32_e32 v0, 0.5, v18
	v_cmp_eq_f32_e64 s[12:13], 0, v18
	v_cvt_f32_f16_e32 v22, v9
	v_cmp_eq_f16_e64 s[0:1], 1.0, v9
	v_cmp_eq_f16_sdwa s[34:35], v9, v17 src0_sel:WORD_1 src1_sel:DWORD
	v_trunc_f32_e32 v9, v0
	v_cndmask_b32_e64 v29, |v20|, 1.0, s[12:13]
	v_cndmask_b32_e64 v19, v5, 1.0, s[0:1]
	v_cndmask_b32_e64 v21, v5, 1.0, s[34:35]
	v_cmp_neq_f32_e64 s[10:11], v9, v0
	v_frexp_mant_f32_e32 v0, v29
	v_mul_f32_e32 v6, 0.5, v19
	v_cmp_eq_f32_e64 s[4:5], 0, v21
	v_mul_f32_e32 v7, 0.5, v21
	v_cmp_gt_f32_e64 s[24:25], s63, v0
	v_cndmask_b32_e64 v23, v5, 1.0, s[8:9]
	v_cmp_eq_f32_e64 s[2:3], 0, v19
	v_trunc_f32_e32 v10, v6
	v_trunc_f32_e32 v11, v7
	v_cndmask_b32_e64 v27, |v24|, 1.0, s[4:5]
	v_cndmask_b32_e64 v33, 1.0, 2.0, s[24:25]
	v_mul_f32_e32 v8, 0.5, v23
	v_cmp_neq_f32_e64 s[18:19], v10, v6
	v_cmp_neq_f32_e64 s[16:17], v11, v7
	v_cndmask_b32_e64 v28, |v22|, 1.0, s[2:3]
	v_cvt_f64_f32_e32 v[10:11], v27
	v_mul_f32_e32 v0, v0, v33
	v_cmp_eq_f32_e64 s[6:7], 0, v23
	v_trunc_f32_e32 v26, v8
	v_cvt_f64_f32_e32 v[6:7], v29
	v_frexp_mant_f32_e32 v30, v28
	v_frexp_mant_f32_e32 v31, v27
	v_frexp_exp_i32_f64_e32 v52, v[10:11]
	v_add_f32_e32 v11, 1.0, v0
	v_cmp_neq_f32_e64 s[14:15], v26, v8
	v_cndmask_b32_e64 v26, |v25|, 1.0, s[6:7]
	v_cvt_f64_f32_e32 v[8:9], v28
	v_frexp_exp_i32_f64_e32 v6, v[6:7]
	v_cmp_gt_f32_e64 s[26:27], s63, v30
	v_cmp_gt_f32_e64 s[22:23], s63, v31
	v_rcp_f32_e32 v48, v11
	v_frexp_mant_f32_e32 v32, v26
	v_cndmask_b32_e64 v7, 1.0, 2.0, s[26:27]
	v_frexp_exp_i32_f64_e32 v8, v[8:9]
	v_cndmask_b32_e64 v9, 1.0, 2.0, s[22:23]
	v_subbrev_co_u32_e64 v6, s[24:25], 0, v6, s[24:25]
	v_cmp_gt_f32_e64 s[20:21], s63, v32
	v_mul_f32_e32 v7, v30, v7
	v_mul_f32_e32 v9, v31, v9
	v_cvt_f32_i32_e32 v30, v6
	v_cndmask_b32_e64 v10, 1.0, 2.0, s[20:21]
	v_add_f32_e32 v31, -1.0, v0
	v_add_f32_e32 v36, 1.0, v9
	v_mul_f32_e32 v10, v32, v10
	v_add_f32_e32 v38, -1.0, v36
	v_mul_f32_e32 v53, v31, v48
	v_add_f32_e32 v32, 1.0, v7
	v_add_f32_e32 v35, -1.0, v9
	v_add_f32_e32 v46, 1.0, v10
	v_add_f32_e32 v6, -1.0, v11
	v_sub_f32_e32 v9, v9, v38
	v_mul_f32_e32 v38, v11, v53
	v_rcp_f32_e32 v49, v32
	v_add_f32_e32 v39, -1.0, v46
	v_sub_f32_e32 v41, v0, v6
	v_mul_f32_e32 v6, 0x3f317218, v30
	v_fma_f32 v40, v53, v11, -v38
	v_add_f32_e32 v37, -1.0, v10
	v_sub_f32_e32 v47, v10, v39
	v_fma_f32 v10, v30, s64, -v6
	v_fmac_f32_e32 v40, v53, v41
	v_fmac_f32_e32 v10, 0xb102e308, v30
	v_add_f32_e32 v30, v38, v40
	v_add_f32_e32 v33, -1.0, v7
	v_sub_f32_e32 v39, v31, v30
	v_subbrev_co_u32_e64 v8, s[24:25], 0, v8, s[26:27]
	v_mul_f32_e32 v54, v33, v49
	v_mov_b32_e32 v41, v30
	v_pk_add_f32 v[30:31], v[30:31], v[38:39] neg_lo:[0,1] neg_hi:[0,1]
	v_cvt_f32_i32_e32 v34, v8
	v_add_f32_e32 v8, -1.0, v32
	v_pk_add_f32 v[30:31], v[30:31], v[40:41] neg_lo:[0,1] neg_hi:[0,1]
	v_mul_f32_e32 v40, v32, v54
	v_rcp_f32_e32 v50, v36
	v_sub_f32_e32 v7, v7, v8
	v_fma_f32 v42, v54, v32, -v40
	v_fmac_f32_e32 v42, v54, v7
	v_add_f32_e32 v32, v40, v42
	v_sub_f32_e32 v41, v33, v32
	v_mul_f32_e32 v55, v35, v50
	v_mov_b32_e32 v43, v32
	v_pk_add_f32 v[32:33], v[32:33], v[40:41] neg_lo:[0,1] neg_hi:[0,1]
	v_pk_add_f32 v[32:33], v[32:33], v[42:43] neg_lo:[0,1] neg_hi:[0,1]
	v_mul_f32_e32 v42, v36, v55
	v_rcp_f32_e32 v51, v46
	v_mul_f32_e32 v0, 0x3f317218, v34
	v_fma_f32 v44, v55, v36, -v42
	v_fma_f32 v8, v34, s64, -v0
	v_fmac_f32_e32 v44, v55, v9
	v_fmac_f32_e32 v8, 0xb102e308, v34
	v_add_f32_e32 v34, v42, v44
	v_sub_f32_e32 v43, v35, v34
	v_mul_f32_e32 v11, v37, v51
	v_mov_b32_e32 v45, v34
	v_pk_add_f32 v[34:35], v[34:35], v[42:43] neg_lo:[0,1] neg_hi:[0,1]
	v_pk_add_f32 v[34:35], v[34:35], v[44:45] neg_lo:[0,1] neg_hi:[0,1]
	v_mul_f32_e32 v44, v46, v11
	v_fma_f32 v46, v11, v46, -v44
	v_fmac_f32_e32 v46, v11, v47
	v_add_f32_e32 v36, v44, v46
	v_sub_f32_e32 v45, v37, v36
	v_mov_b32_e32 v47, v36
	v_pk_add_f32 v[36:37], v[36:37], v[44:45] neg_lo:[0,1] neg_hi:[0,1]
	v_pk_add_f32 v[36:37], v[36:37], v[46:47] neg_lo:[0,1] neg_hi:[0,1]
	v_add_f32_e32 v7, v30, v31
	v_add_f32_e32 v9, v32, v33
	v_add_f32_e32 v30, v34, v35
	v_add_f32_e32 v31, v36, v37
	v_add_f32_e32 v7, v39, v7
	v_add_f32_e32 v9, v41, v9
	v_add_f32_e32 v30, v43, v30
	v_add_f32_e32 v31, v45, v31
	v_mul_f32_e32 v7, v48, v7
	v_mul_f32_e32 v9, v49, v9
	;; [unrolled: 1-line block ×4, first 2 shown]
	v_add_f32_e32 v30, v53, v7
	v_add_f32_e32 v32, v54, v9
	;; [unrolled: 1-line block ×4, first 2 shown]
	v_sub_f32_e32 v35, v30, v53
	v_mul_f32_e32 v37, v30, v30
	v_sub_f32_e32 v38, v32, v54
	v_sub_f32_e32 v40, v34, v55
	;; [unrolled: 1-line block ×4, first 2 shown]
	v_mul_f32_e32 v41, v34, v34
	v_mul_f32_e32 v43, v36, v36
	v_fma_f32 v7, v30, v30, -v37
	v_sub_f32_e32 v61, v33, v40
	v_sub_f32_e32 v62, v31, v11
	v_add_f32_e32 v31, v54, v54
	v_mul_f32_e32 v39, v32, v32
	v_sub_f32_e32 v60, v9, v38
	v_fma_f32 v33, v34, v34, -v41
	v_fma_f32 v11, v36, v36, -v43
	v_add_f32_e32 v38, v61, v61
	v_add_f32_e32 v40, v62, v62
	v_fmac_f32_e32 v7, v30, v31
	v_fma_f32 v9, v32, v32, -v39
	v_add_f32_e32 v35, v60, v60
	v_fmac_f32_e32 v33, v34, v38
	v_fmac_f32_e32 v11, v36, v40
	v_add_f32_e32 v38, v37, v7
	v_fmac_f32_e32 v9, v32, v35
	v_add_f32_e32 v44, v43, v11
	;; [unrolled: 2-line block ×3, first 2 shown]
	v_sub_f32_e32 v31, v38, v37
	v_sub_f32_e32 v37, v44, v43
	v_fma_f32 v1, v38, v1, v12
	v_sub_f32_e32 v7, v7, v31
	v_sub_f32_e32 v31, v40, v39
	v_sub_f32_e32 v55, v11, v37
	v_mul_f32_e32 v11, v38, v1
	v_sub_f32_e32 v9, v9, v31
	v_fma_f32 v31, v38, v1, -v11
	v_fmac_f32_e32 v31, v7, v1
	v_add_f32_e32 v1, v11, v31
	v_sub_f32_e32 v11, v1, v11
	v_sub_f32_e32 v11, v31, v11
	v_add_f32_e32 v47, 0x3f2aaaaa, v1
	v_add_f32_e32 v31, 0x31739010, v11
	;; [unrolled: 1-line block ×3, first 2 shown]
	v_sub_f32_e32 v39, v1, v11
	v_pk_mul_f32 v[48:49], v[30:31], v[38:39]
	v_mov_b32_e32 v1, 0x3e91f4c4
	v_fma_f32 v46, v38, v30, -v48
	v_fmac_f32_e32 v1, 0x3e76c4e1, v40
	v_fmac_f32_e32 v46, v38, v54
	v_fma_f32 v1, v40, v1, v12
	v_fmac_f32_e32 v46, v7, v30
	v_ldexp_f32 v11, v30, 1
	v_pk_add_f32 v[30:31], v[30:31], v[38:39]
	v_mul_f32_e32 v7, v40, v1
	v_fma_f32 v30, v40, v1, -v7
	v_fmac_f32_e32 v30, v9, v1
	v_add_f32_e32 v42, v41, v33
	v_add_f32_e32 v1, v7, v30
	v_sub_f32_e32 v35, v42, v41
	v_add_f32_e32 v39, 0x3f2aaaaa, v1
	v_sub_f32_e32 v53, v33, v35
	;; [unrolled: 2-line block ×3, first 2 shown]
	v_sub_f32_e32 v1, v1, v7
	v_sub_f32_e32 v1, v30, v1
	v_add_f32_e32 v33, 0x31739010, v1
	v_pk_mul_f32 v[50:51], v[32:33], v[40:41]
	v_fma_f32 v38, v40, v32, -v50
	v_fmac_f32_e32 v38, v40, v60
	v_mov_b32_e32 v49, v31
	v_mov_b32_e32 v7, 0x3e91f4c4
	v_fmac_f32_e32 v38, v9, v32
	v_ldexp_f32 v9, v32, 1
	v_pk_add_f32 v[32:33], v[32:33], v[40:41]
	v_pk_add_f32 v[40:41], v[48:49], v[46:47]
	v_fmac_f32_e32 v7, 0x3e76c4e1, v42
	v_sub_f32_e32 v1, v40, v48
	v_sub_f32_e32 v30, v47, v41
	v_mov_b32_e32 v32, 0x3e91f4c4
	v_fma_f32 v7, v42, v7, v12
	v_sub_f32_e32 v1, v46, v1
	v_fmac_f32_e32 v32, 0x3e76c4e1, v44
	v_add_f32_e32 v46, v31, v30
	v_mul_f32_e32 v30, v42, v7
	v_fma_f32 v32, v44, v32, v12
	v_fma_f32 v35, v42, v7, -v30
	v_fmac_f32_e32 v35, v53, v7
	v_mul_f32_e32 v7, v44, v32
	v_fma_f32 v37, v44, v32, -v7
	v_fmac_f32_e32 v37, v55, v32
	v_add_f32_e32 v32, v30, v35
	v_add_f32_e32 v31, 0x3f2aaaaa, v32
	;; [unrolled: 1-line block ×3, first 2 shown]
	v_sub_f32_e32 v43, v32, v43
	v_sub_f32_e32 v30, v32, v30
	v_add_f32_e32 v32, v7, v37
	v_mov_b32_e32 v51, v33
	v_add_f32_e32 v47, 0x3f2aaaaa, v32
	v_sub_f32_e32 v7, v32, v7
	v_sub_f32_e32 v30, v35, v30
	v_pk_add_f32 v[48:49], v[50:51], v[38:39]
	v_add_f32_e32 v45, 0xbf2aaaaa, v47
	v_sub_f32_e32 v7, v37, v7
	v_add_f32_e32 v35, 0x31739010, v30
	v_sub_f32_e32 v30, v39, v49
	v_sub_f32_e32 v45, v32, v45
	v_add_f32_e32 v37, 0x31739010, v7
	v_sub_f32_e32 v7, v48, v50
	v_add_f32_e32 v50, v33, v30
	v_pk_mul_f32 v[32:33], v[34:35], v[42:43]
	v_fma_f32 v30, v42, v34, -v32
	v_sub_f32_e32 v7, v38, v7
	v_fmac_f32_e32 v30, v42, v61
	v_pk_add_f32 v[38:39], v[34:35], v[42:43]
	v_mov_b32_e32 v33, v39
	v_fmac_f32_e32 v30, v53, v34
	v_pk_add_f32 v[42:43], v[32:33], v[30:31]
	v_sub_f32_e32 v32, v42, v32
	v_sub_f32_e32 v33, v30, v32
	;; [unrolled: 1-line block ×3, first 2 shown]
	v_add_f32_e32 v35, v39, v30
	v_mov_b32_e32 v30, v41
	v_pk_mul_f32 v[30:31], v[40:41], v[30:31]
	v_mov_b32_e32 v38, v49
	v_fma_f32 v32, v40, v41, -v30
	v_pk_mul_f32 v[38:39], v[48:49], v[38:39]
	v_fmac_f32_e32 v32, v40, v46
	v_fma_f32 v40, v48, v49, -v38
	v_fmac_f32_e32 v40, v48, v50
	v_mov_b32_e32 v46, v43
	v_fmac_f32_e32 v40, v7, v49
	v_pk_mul_f32 v[48:49], v[42:43], v[46:47]
	v_fma_f32 v50, v42, v43, -v48
	v_fmac_f32_e32 v50, v42, v35
	v_fmac_f32_e32 v50, v33, v43
	v_pk_mul_f32 v[42:43], v[36:37], v[44:45]
	v_fma_f32 v46, v44, v36, -v42
	v_fmac_f32_e32 v46, v44, v62
	v_pk_add_f32 v[44:45], v[36:37], v[44:45]
	v_mov_b32_e32 v43, v45
	v_fmac_f32_e32 v46, v55, v36
	v_fmac_f32_e32 v32, v1, v41
	v_subbrev_co_u32_e64 v1, s[22:23], 0, v52, s[22:23]
	v_pk_add_f32 v[52:53], v[42:43], v[46:47]
	v_sub_f32_e32 v7, v52, v42
	v_mov_b32_e32 v42, v53
	v_sub_f32_e32 v31, v47, v53
	v_pk_mul_f32 v[42:43], v[52:53], v[42:43]
	v_add_f32_e32 v33, v45, v31
	v_fma_f32 v44, v52, v53, -v42
	v_cvt_f32_i32_e32 v1, v1
	v_sub_f32_e32 v7, v46, v7
	v_fmac_f32_e32 v44, v52, v33
	v_fmac_f32_e32 v44, v7, v53
	v_add_f32_e32 v7, v30, v32
	v_pk_add_f32 v[46:47], v[6:7], v[10:11]
	v_mov_b32_e32 v31, v11
	v_mov_b32_e32 v52, v7
	;; [unrolled: 1-line block ×3, first 2 shown]
	v_pk_add_f32 v[30:31], v[52:53], v[30:31] neg_lo:[0,1] neg_hi:[0,1]
	v_mul_f32_e32 v52, 0x3f317218, v1
	v_ldexp_f32 v35, v34, 1
	v_fma_f32 v34, v1, s64, -v52
	v_mov_b32_e32 v33, v7
	v_fmac_f32_e32 v34, 0xb102e308, v1
	v_ldexp_f32 v11, v54, 1
	v_add_f32_e32 v1, v38, v40
	v_pk_add_f32 v[30:31], v[32:33], v[30:31] neg_lo:[0,1] neg_hi:[0,1]
	v_add_f32_e32 v53, v48, v50
	v_pk_add_f32 v[32:33], v[0:1], v[8:9]
	v_add_f32_e32 v7, v11, v30
	v_mov_b32_e32 v39, v9
	v_add_f32_e32 v7, v7, v31
	v_mov_b32_e32 v30, v1
	v_pk_add_f32 v[54:55], v[52:53], v[34:35]
	v_mov_b32_e32 v31, v33
	v_mov_b32_e32 v49, v35
	v_pk_add_f32 v[30:31], v[30:31], v[38:39] neg_lo:[0,1] neg_hi:[0,1]
	v_mov_b32_e32 v38, v53
	v_mov_b32_e32 v39, v55
	v_pk_add_f32 v[38:39], v[38:39], v[48:49] neg_lo:[0,1] neg_hi:[0,1]
	v_cvt_f64_f32_e32 v[48:49], v26
	v_frexp_exp_i32_f64_e32 v9, v[48:49]
	v_subbrev_co_u32_e64 v9, s[20:21], 0, v9, s[20:21]
	v_cvt_f32_i32_e32 v9, v9
	v_ldexp_f32 v37, v36, 1
	v_add_f32_e32 v49, v42, v44
	v_mov_b32_e32 v43, v37
	v_mul_f32_e32 v48, 0x3f317218, v9
	v_fma_f32 v36, v9, s64, -v48
	v_fmac_f32_e32 v36, 0xb102e308, v9
	v_pk_add_f32 v[56:57], v[48:49], v[36:37]
	v_mov_b32_e32 v58, v49
	v_mov_b32_e32 v59, v57
	;; [unrolled: 1-line block ×3, first 2 shown]
	v_pk_add_f32 v[42:43], v[58:59], v[42:43] neg_lo:[0,1] neg_hi:[0,1]
	v_pk_add_f32 v[30:31], v[40:41], v[30:31] neg_lo:[0,1] neg_hi:[0,1]
	v_ldexp_f32 v1, v60, 1
	v_mov_b32_e32 v51, v53
	v_mov_b32_e32 v45, v49
	v_ldexp_f32 v35, v61, 1
	v_ldexp_f32 v37, v62, 1
	v_pk_add_f32 v[38:39], v[50:51], v[38:39] neg_lo:[0,1] neg_hi:[0,1]
	v_pk_add_f32 v[40:41], v[44:45], v[42:43] neg_lo:[0,1] neg_hi:[0,1]
	v_add_f32_e32 v1, v1, v30
	v_add_f32_e32 v30, v35, v38
	;; [unrolled: 1-line block ×4, first 2 shown]
	v_mov_b32_e32 v11, v46
	v_mov_b32_e32 v9, v32
	v_add_f32_e32 v53, v30, v39
	v_add_f32_e32 v49, v35, v41
	v_pk_add_f32 v[30:31], v[46:47], v[6:7] neg_lo:[0,1] neg_hi:[0,1]
	v_pk_add_f32 v[38:39], v[46:47], v[6:7]
	v_pk_add_f32 v[40:41], v[32:33], v[0:1] neg_lo:[0,1] neg_hi:[0,1]
	v_pk_add_f32 v[42:43], v[32:33], v[0:1]
	v_pk_add_f32 v[44:45], v[10:11], v[30:31] neg_lo:[0,1] neg_hi:[0,1]
	v_mov_b32_e32 v31, v39
	v_pk_add_f32 v[50:51], v[8:9], v[40:41] neg_lo:[0,1] neg_hi:[0,1]
	v_mov_b32_e32 v41, v43
	v_pk_add_f32 v[30:31], v[10:11], v[30:31]
	v_mov_b32_e32 v10, v7
	v_pk_add_f32 v[6:7], v[54:55], v[52:53] neg_lo:[0,1] neg_hi:[0,1]
	v_pk_add_f32 v[40:41], v[8:9], v[40:41]
	v_mov_b32_e32 v8, v1
	v_pk_add_f32 v[0:1], v[54:55], v[52:53]
	v_pk_add_f32 v[34:35], v[34:35], v[6:7] neg_lo:[0,1] neg_hi:[0,1]
	v_mov_b32_e32 v7, v1
	v_mov_b32_e32 v59, v54
	v_pk_add_f32 v[6:7], v[58:59], v[6:7]
	v_mov_b32_e32 v58, v53
	v_pk_add_f32 v[52:53], v[56:57], v[48:49] neg_lo:[0,1] neg_hi:[0,1]
	v_pk_add_f32 v[60:61], v[56:57], v[48:49]
	v_mov_b32_e32 v64, v31
	v_pk_add_f32 v[36:37], v[36:37], v[52:53] neg_lo:[0,1] neg_hi:[0,1]
	v_mov_b32_e32 v53, v61
	v_mov_b32_e32 v63, v56
	;; [unrolled: 1-line block ×3, first 2 shown]
	v_pk_add_f32 v[46:47], v[64:65], v[46:47] neg_lo:[0,1] neg_hi:[0,1]
	v_pk_add_f32 v[52:53], v[62:63], v[52:53]
	v_mov_b32_e32 v62, v49
	v_mov_b32_e32 v30, v39
	;; [unrolled: 1-line block ×4, first 2 shown]
	v_pk_add_f32 v[30:31], v[30:31], v[48:49] neg_lo:[0,1] neg_hi:[0,1]
	v_mov_b32_e32 v48, v41
	v_mov_b32_e32 v35, v46
	;; [unrolled: 1-line block ×3, first 2 shown]
	v_pk_add_f32 v[32:33], v[48:49], v[32:33] neg_lo:[0,1] neg_hi:[0,1]
	v_mov_b32_e32 v40, v43
	v_mov_b32_e32 v47, v32
	;; [unrolled: 1-line block ×4, first 2 shown]
	v_pk_add_f32 v[40:41], v[40:41], v[46:47] neg_lo:[0,1] neg_hi:[0,1]
	v_mov_b32_e32 v46, v7
	v_pk_add_f32 v[32:33], v[42:43], v[32:33] neg_lo:[0,1] neg_hi:[0,1]
	v_mov_b32_e32 v42, v55
	v_pk_add_f32 v[54:55], v[46:47], v[54:55] neg_lo:[0,1] neg_hi:[0,1]
	v_pk_add_f32 v[38:39], v[38:39], v[34:35] neg_lo:[0,1] neg_hi:[0,1]
	v_mov_b32_e32 v6, v1
	v_mov_b32_e32 v43, v54
	;; [unrolled: 1-line block ×3, first 2 shown]
	v_cmp_le_i64_e64 s[20:21], s[50:51], v[2:3]
	v_cmp_lt_u64_e64 s[22:23], s[54:55], v[2:3]
	v_add_co_u32_e64 v2, s[24:25], s62, v2
	v_pk_add_f32 v[54:55], v[0:1], v[34:35] neg_lo:[0,1] neg_hi:[0,1]
	v_pk_add_f32 v[0:1], v[6:7], v[42:43] neg_lo:[0,1] neg_hi:[0,1]
	v_addc_co_u32_e64 v3, s[24:25], v3, v16, s[24:25]
	v_pk_add_f32 v[10:11], v[10:11], v[30:31] neg_lo:[0,1] neg_hi:[0,1]
	v_mov_b32_e32 v32, s60
	v_pk_add_f32 v[30:31], v[58:59], v[0:1] neg_lo:[0,1] neg_hi:[0,1]
	v_add_co_u32_e64 v0, s[24:25], s59, v4
	v_addc_co_u32_e64 v1, s[24:25], 0, v32, s[24:25]
	v_trunc_f32_e32 v32, v18
	v_mov_b32_e32 v42, v53
	s_or_b64 s[56:57], s[20:21], s[22:23]
	v_cmp_eq_f32_e64 s[20:21], v32, v18
	v_trunc_f32_e32 v32, v19
	v_mov_b32_e32 v6, v57
	v_pk_add_f32 v[56:57], v[42:43], v[56:57] neg_lo:[0,1] neg_hi:[0,1]
	v_cmp_eq_f32_e64 s[22:23], v32, v19
	v_trunc_f32_e32 v32, v21
	v_mov_b32_e32 v38, v44
	v_mov_b32_e32 v35, v7
	;; [unrolled: 1-line block ×5, first 2 shown]
	v_cmp_eq_f32_e64 s[24:25], v32, v21
	v_trunc_f32_e32 v32, v23
	v_mov_b32_e32 v54, v34
	v_pk_add_f32 v[38:39], v[38:39], v[10:11]
	v_pk_add_f32 v[56:57], v[60:61], v[36:37] neg_lo:[0,1] neg_hi:[0,1]
	v_pk_add_f32 v[6:7], v[52:53], v[6:7] neg_lo:[0,1] neg_hi:[0,1]
	;; [unrolled: 1-line block ×3, first 2 shown]
	v_cmp_eq_f32_e64 s[26:27], v32, v23
	v_mov_b32_e32 v32, v50
	v_pk_add_f32 v[40:41], v[54:55], v[30:31]
	v_mov_b32_e32 v54, v39
	v_pk_add_f32 v[6:7], v[62:63], v[6:7] neg_lo:[0,1] neg_hi:[0,1]
	v_mov_b32_e32 v56, v36
	v_pk_add_f32 v[32:33], v[32:33], v[8:9]
	v_pk_add_f32 v[54:55], v[38:39], v[54:55]
	v_mov_b32_e32 v37, v53
	v_pk_add_f32 v[52:53], v[56:57], v[6:7]
	v_pk_add_f32 v[56:57], v[64:65], v[54:55]
	v_mov_b32_e32 v11, v54
	v_mov_b32_e32 v54, v33
	v_pk_add_f32 v[54:55], v[32:33], v[54:55]
	v_pk_add_f32 v[48:49], v[48:49], v[54:55]
	v_mov_b32_e32 v9, v54
	;; [unrolled: 4-line block ×3, first 2 shown]
	v_mov_b32_e32 v54, v53
	v_pk_add_f32 v[54:55], v[52:53], v[54:55]
	v_mov_b32_e32 v39, v56
	v_pk_add_f32 v[42:43], v[42:43], v[54:55]
	v_mov_b32_e32 v7, v54
	v_pk_add_f32 v[54:55], v[38:39], v[44:45] neg_lo:[0,1] neg_hi:[0,1]
	v_mov_b32_e32 v33, v48
	v_sub_f32_e32 v43, v38, v54
	v_pk_add_f32 v[38:39], v[32:33], v[50:51] neg_lo:[0,1] neg_hi:[0,1]
	v_mov_b32_e32 v41, v46
	v_cndmask_b32_e64 v58, |v5|, 1.0, vcc
	v_sub_f32_e32 v47, v32, v38
	v_pk_add_f32 v[32:33], v[40:41], v[34:35] neg_lo:[0,1] neg_hi:[0,1]
	v_mov_b32_e32 v53, v42
	v_pk_add_f32 v[8:9], v[8:9], v[38:39] neg_lo:[0,1] neg_hi:[0,1]
	v_sub_f32_e32 v35, v40, v32
	v_cmp_neq_f32_e64 s[38:39], v18, v58
	v_cndmask_b32_e64 v20, v20, 1.0, s[12:13]
	v_cndmask_b32_e64 v39, v24, 1.0, s[4:5]
	s_and_b64 s[12:13], s[24:25], s[16:17]
	v_cndmask_b32_e64 v40, v25, 1.0, s[6:7]
	s_and_b64 s[14:15], s[26:27], s[14:15]
	v_pk_add_f32 v[24:25], v[30:31], v[32:33] neg_lo:[0,1] neg_hi:[0,1]
	v_pk_add_f32 v[30:31], v[52:53], v[36:37] neg_lo:[0,1] neg_hi:[0,1]
	v_cmp_gt_f32_e64 s[16:17], 1.0, v29
	v_cmp_gt_f32_e64 s[28:29], 0, v18
	v_cndmask_b32_e64 v45, |v5|, 1.0, s[0:1]
	v_sub_f32_e32 v32, v52, v30
	v_cmp_eq_f32_e64 s[0:1], 0, v20
	v_sub_f32_e32 v37, v44, v43
	v_sub_f32_e32 v44, v50, v47
	v_cndmask_b32_e64 v50, 1.0, v40, s[14:15]
	v_sub_f32_e32 v34, v34, v35
	v_cndmask_b32_e64 v35, 0, v40, s[14:15]
	s_xor_b64 s[14:15], s[38:39], s[16:17]
	v_pk_add_f32 v[10:11], v[10:11], v[54:55] neg_lo:[0,1] neg_hi:[0,1]
	v_cndmask_b32_e64 v38, |v5|, 1.0, s[8:9]
	v_cmp_neq_f32_e64 s[40:41], v19, v45
	v_cndmask_b32_e64 v22, v22, 1.0, s[2:3]
	s_and_b64 s[8:9], s[22:23], s[18:19]
	s_and_b64 s[2:3], s[20:21], s[10:11]
	v_pk_add_f32 v[6:7], v[6:7], v[30:31] neg_lo:[0,1] neg_hi:[0,1]
	v_cmp_gt_f32_e64 s[18:19], 1.0, v28
	v_cndmask_b32_e64 v51, v58, 0, s[14:15]
	s_xor_b64 s[16:17], s[28:29], s[0:1]
	v_cmp_eq_f32_e64 s[14:15], 1.0, v29
	v_sub_f32_e32 v32, v36, v32
	v_cmp_gt_f32_e64 s[30:31], 0, v19
	v_cndmask_b32_e64 v49, |v5|, 1.0, s[34:35]
	v_cmp_eq_f32_e32 vcc, s66, v29
	v_cndmask_b32_e64 v30, 0, v20, s[2:3]
	v_cmp_eq_f32_e64 s[4:5], 0, v22
	v_cndmask_b32_e64 v29, v51, v29, s[14:15]
	v_cndmask_b32_e64 v51, v14, 0, s[16:17]
	s_xor_b64 s[14:15], s[40:41], s[18:19]
	v_add_f32_e32 v10, v10, v37
	v_add_f32_e32 v8, v8, v44
	;; [unrolled: 1-line block ×4, first 2 shown]
	v_cmp_neq_f32_e64 s[42:43], v21, v49
	v_cmp_gt_f32_e64 s[46:47], 1.0, v27
	v_bfi_b32 v30, s70, v51, v30
	v_cndmask_b32_e64 v51, v45, 0, s[14:15]
	s_xor_b64 s[16:17], s[30:31], s[4:5]
	v_cmp_eq_f32_e64 s[14:15], 1.0, v28
	v_add_f32_e32 v10, v10, v11
	v_add_f32_e32 v8, v8, v9
	;; [unrolled: 1-line block ×4, first 2 shown]
	v_cmp_gt_f32_e64 s[34:35], 0, v21
	v_cndmask_b32_e64 v33, 1.0, v20, s[2:3]
	v_cndmask_b32_e64 v31, 1.0, v22, s[8:9]
	v_cmp_eq_f32_e64 s[2:3], s66, v28
	v_cndmask_b32_e64 v41, 0, v22, s[8:9]
	v_cmp_eq_f32_e64 s[8:9], 0, v39
	v_cndmask_b32_e64 v28, v51, v28, s[14:15]
	v_cndmask_b32_e64 v51, v14, 0, s[16:17]
	s_xor_b64 s[14:15], s[42:43], s[46:47]
	v_add_f32_e32 v7, v56, v10
	v_add_f32_e32 v11, v48, v8
	;; [unrolled: 1-line block ×4, first 2 shown]
	v_cmp_neq_f32_e64 s[44:45], v23, v38
	v_cmp_gt_f32_e64 s[48:49], 1.0, v26
	v_bfi_b32 v41, s70, v51, v41
	v_cndmask_b32_e64 v51, v49, 0, s[14:15]
	s_xor_b64 s[16:17], s[34:35], s[8:9]
	v_cmp_eq_f32_e64 s[14:15], 1.0, v27
	v_sub_f32_e32 v32, v7, v56
	v_mul_f32_e32 v34, v18, v7
	v_sub_f32_e32 v36, v11, v48
	v_mul_f32_e32 v37, v19, v11
	;; [unrolled: 2-line block ×4, first 2 shown]
	v_cmp_gt_f32_e64 s[36:37], 0, v23
	v_cndmask_b32_e64 v43, 1.0, v39, s[12:13]
	v_cmp_eq_f32_e64 s[6:7], s66, v27
	v_cndmask_b32_e64 v47, 0, v39, s[12:13]
	v_cmp_eq_f32_e64 s[12:13], 0, v40
	v_cndmask_b32_e64 v27, v51, v27, s[14:15]
	v_cndmask_b32_e64 v51, v14, 0, s[16:17]
	s_xor_b64 s[14:15], s[44:45], s[48:49]
	v_sub_f32_e32 v10, v10, v32
	v_fma_f32 v7, v18, v7, -v34
	v_sub_f32_e32 v8, v8, v36
	v_fma_f32 v11, v19, v11, -v37
	;; [unrolled: 2-line block ×4, first 2 shown]
	v_bfi_b32 v47, s70, v51, v47
	v_cndmask_b32_e64 v51, v38, 0, s[14:15]
	s_xor_b64 s[16:17], s[36:37], s[12:13]
	v_cmp_eq_f32_e64 s[14:15], 1.0, v26
	v_fmac_f32_e32 v7, v18, v10
	v_fmac_f32_e32 v11, v19, v8
	;; [unrolled: 1-line block ×4, first 2 shown]
	v_cmp_eq_f32_e64 s[10:11], s66, v26
	v_cndmask_b32_e64 v26, v51, v26, s[14:15]
	v_cndmask_b32_e64 v51, v14, 0, s[16:17]
	v_add_f32_e32 v6, v34, v7
	v_add_f32_e32 v8, v37, v11
	v_cmp_class_f32_e64 s[14:15], v37, s65
	v_add_f32_e32 v9, v46, v24
	v_cmp_class_f32_e64 s[16:17], v46, s65
	;; [unrolled: 2-line block ×3, first 2 shown]
	v_cmp_class_f32_e64 s[28:29], v34, s65
	v_sub_f32_e32 v32, v6, v34
	v_cndmask_b32_e64 v6, v6, v34, s[28:29]
	v_sub_f32_e32 v34, v8, v37
	v_cndmask_b32_e64 v8, v8, v37, s[14:15]
	;; [unrolled: 2-line block ×4, first 2 shown]
	v_cmp_eq_f32_e64 s[14:15], s67, v6
	v_cmp_eq_f32_e64 s[16:17], s67, v8
	;; [unrolled: 1-line block ×4, first 2 shown]
	v_sub_f32_e32 v7, v7, v32
	v_cndmask_b32_e64 v32, 0, v13, s[14:15]
	v_sub_f32_e32 v11, v11, v34
	v_cmp_neq_f32_e64 s[14:15], |v8|, s66
	v_cndmask_b32_e64 v34, 0, v13, s[16:17]
	v_sub_f32_e32 v24, v24, v36
	v_cmp_neq_f32_e64 s[16:17], |v9|, s66
	;; [unrolled: 3-line block ×3, first 2 shown]
	v_cndmask_b32_e64 v37, 0, v13, s[28:29]
	v_cmp_neq_f32_e64 s[28:29], |v6|, s66
	v_cndmask_b32_e64 v7, 0, v7, s[28:29]
	v_sub_f32_e32 v6, v6, v32
	v_cndmask_b32_e64 v11, 0, v11, s[14:15]
	v_sub_f32_e32 v8, v8, v34
	;; [unrolled: 2-line block ×4, first 2 shown]
	v_add_f32_e32 v7, v32, v7
	v_mul_f32_e32 v32, 0x3fb8aa3b, v6
	v_add_f32_e32 v11, v34, v11
	v_mul_f32_e32 v34, 0x3fb8aa3b, v8
	v_add_f32_e32 v24, v36, v24
	v_mul_f32_e32 v36, 0x3fb8aa3b, v9
	v_add_f32_e32 v25, v37, v25
	v_mul_f32_e32 v37, 0x3fb8aa3b, v10
	v_bfi_b32 v35, s70, v51, v35
	v_fma_f32 v42, v6, s68, -v32
	v_rndne_f32_e32 v44, v32
	v_fma_f32 v46, v8, s68, -v34
	v_rndne_f32_e32 v48, v34
	;; [unrolled: 2-line block ×4, first 2 shown]
	v_fmac_f32_e32 v42, 0x32a5705f, v6
	v_sub_f32_e32 v32, v32, v44
	v_fmac_f32_e32 v46, 0x32a5705f, v8
	v_sub_f32_e32 v34, v34, v48
	;; [unrolled: 2-line block ×4, first 2 shown]
	v_add_f32_e32 v32, v32, v42
	v_add_f32_e32 v34, v34, v46
	;; [unrolled: 1-line block ×4, first 2 shown]
	v_cvt_i32_f32_e32 v44, v44
	v_cvt_i32_f32_e32 v48, v48
	;; [unrolled: 1-line block ×4, first 2 shown]
	v_exp_f32_e32 v32, v32
	v_exp_f32_e32 v34, v34
	;; [unrolled: 1-line block ×4, first 2 shown]
	v_ldexp_f32 v32, v32, v44
	v_ldexp_f32 v34, v34, v48
	v_cmp_ngt_f32_e64 s[14:15], s69, v8
	v_ldexp_f32 v36, v36, v52
	v_cmp_ngt_f32_e64 s[16:17], s69, v9
	;; [unrolled: 2-line block ×3, first 2 shown]
	v_cmp_ngt_f32_e64 s[28:29], s69, v6
	v_cndmask_b32_e64 v32, 0, v32, s[28:29]
	v_cndmask_b32_e64 v34, 0, v34, s[14:15]
	v_cmp_nlt_f32_e64 s[14:15], s67, v8
	v_cndmask_b32_e64 v8, 0, v36, s[16:17]
	v_cmp_nlt_f32_e64 s[16:17], s67, v9
	;; [unrolled: 2-line block ×3, first 2 shown]
	v_cmp_nlt_f32_e64 s[28:29], s67, v6
	v_cndmask_b32_e64 v6, v14, v32, s[28:29]
	v_cndmask_b32_e64 v10, v14, v34, s[14:15]
	;; [unrolled: 1-line block ×4, first 2 shown]
	v_fma_f32 v7, v6, v7, v6
	v_fma_f32 v11, v10, v11, v10
	v_cmp_class_f32_e64 s[14:15], v10, s65
	v_fma_f32 v24, v8, v24, v8
	v_cmp_class_f32_e64 s[16:17], v8, s65
	;; [unrolled: 2-line block ×3, first 2 shown]
	v_cmp_class_f32_e64 s[28:29], v6, s65
	v_cndmask_b32_e64 v6, v7, v6, s[28:29]
	v_cndmask_b32_e64 v7, v11, v10, s[14:15]
	;; [unrolled: 1-line block ×4, first 2 shown]
	v_bfi_b32 v6, s70, v6, v33
	v_bfi_b32 v7, s70, v7, v31
	;; [unrolled: 1-line block ×4, first 2 shown]
	v_cndmask_b32_e64 v10, v15, v6, s[20:21]
	v_cndmask_b32_e64 v11, v15, v7, s[22:23]
	v_cmp_gt_f32_e64 s[14:15], 0, v22
	v_cndmask_b32_e64 v24, v15, v8, s[24:25]
	v_cmp_gt_f32_e64 s[16:17], 0, v39
	;; [unrolled: 2-line block ×3, first 2 shown]
	v_cmp_gt_f32_e64 s[20:21], 0, v20
	v_cndmask_b32_e64 v6, v6, v10, s[20:21]
	v_cndmask_b32_e64 v7, v7, v11, s[14:15]
	v_cmp_eq_f32_e64 s[14:15], s66, v45
	v_cndmask_b32_e64 v8, v8, v24, s[16:17]
	v_cmp_eq_f32_e64 s[16:17], s66, v49
	v_cndmask_b32_e64 v9, v9, v25, s[18:19]
	v_cmp_eq_f32_e64 s[18:19], s66, v38
	v_cmp_eq_f32_e64 s[20:21], s66, v58
	v_cndmask_b32_e64 v6, v6, v29, s[20:21]
	v_cndmask_b32_e64 v7, v7, v28, s[14:15]
	s_or_b64 s[2:3], s[2:3], s[4:5]
	v_cndmask_b32_e64 v8, v8, v27, s[16:17]
	s_or_b64 s[4:5], s[6:7], s[8:9]
	;; [unrolled: 2-line block ×3, first 2 shown]
	s_or_b64 vcc, vcc, s[0:1]
	v_cndmask_b32_e32 v6, v6, v30, vcc
	v_cndmask_b32_e64 v7, v7, v41, s[2:3]
	v_cmp_o_f32_e32 vcc, v22, v19
	v_cndmask_b32_e64 v8, v8, v47, s[4:5]
	v_cmp_o_f32_e64 s[0:1], v39, v21
	v_cndmask_b32_e64 v9, v9, v35, s[6:7]
	v_cmp_o_f32_e64 s[2:3], v40, v23
	v_cmp_o_f32_e64 s[4:5], v20, v18
	s_add_u32 s33, s33, s61
	v_cndmask_b32_e64 v6, v15, v6, s[4:5]
	v_cndmask_b32_e32 v7, v15, v7, vcc
	v_cndmask_b32_e64 v8, v15, v8, s[0:1]
	v_cndmask_b32_e64 v9, v15, v9, s[2:3]
	s_addc_u32 s58, s58, 0
	v_cvt_f16_f32_e32 v6, v6
	v_cvt_f16_f32_e32 v7, v7
	;; [unrolled: 1-line block ×4, first 2 shown]
	s_add_u32 s59, s59, s61
	s_addc_u32 s60, s60, 0
	s_and_b64 s[0:1], exec, s[56:57]
	s_or_b64 s[52:53], s[0:1], s[52:53]
	v_pack_b32_f16 v6, v6, v7
	v_pack_b32_f16 v7, v8, v9
	global_store_dwordx2 v[0:1], v[6:7], off
	s_andn2_b64 exec, exec, s[52:53]
	s_cbranch_execnz .LBB70_24
.LBB70_25:
	s_endpgm
	.section	.rodata,"a",@progbits
	.p2align	6, 0x0
	.amdhsa_kernel _ZN2at6native12_GLOBAL__N_125multi_tensor_apply_kernelINS1_18TensorListMetadataILi2EEENS1_21BinaryOpScalarFunctorIN3c104HalfELi2ELi1ELi1EEEJNS1_13power_functorIfEEfEEEvT_T0_DpT1_
		.amdhsa_group_segment_fixed_size 0
		.amdhsa_private_segment_fixed_size 0
		.amdhsa_kernarg_size 3408
		.amdhsa_user_sgpr_count 6
		.amdhsa_user_sgpr_private_segment_buffer 1
		.amdhsa_user_sgpr_dispatch_ptr 0
		.amdhsa_user_sgpr_queue_ptr 0
		.amdhsa_user_sgpr_kernarg_segment_ptr 1
		.amdhsa_user_sgpr_dispatch_id 0
		.amdhsa_user_sgpr_flat_scratch_init 0
		.amdhsa_user_sgpr_kernarg_preload_length 0
		.amdhsa_user_sgpr_kernarg_preload_offset 0
		.amdhsa_user_sgpr_private_segment_size 0
		.amdhsa_uses_dynamic_stack 0
		.amdhsa_system_sgpr_private_segment_wavefront_offset 0
		.amdhsa_system_sgpr_workgroup_id_x 1
		.amdhsa_system_sgpr_workgroup_id_y 0
		.amdhsa_system_sgpr_workgroup_id_z 0
		.amdhsa_system_sgpr_workgroup_info 0
		.amdhsa_system_vgpr_workitem_id 0
		.amdhsa_next_free_vgpr 66
		.amdhsa_next_free_sgpr 71
		.amdhsa_accum_offset 68
		.amdhsa_reserve_vcc 1
		.amdhsa_reserve_flat_scratch 0
		.amdhsa_float_round_mode_32 0
		.amdhsa_float_round_mode_16_64 0
		.amdhsa_float_denorm_mode_32 3
		.amdhsa_float_denorm_mode_16_64 3
		.amdhsa_dx10_clamp 1
		.amdhsa_ieee_mode 1
		.amdhsa_fp16_overflow 0
		.amdhsa_tg_split 0
		.amdhsa_exception_fp_ieee_invalid_op 0
		.amdhsa_exception_fp_denorm_src 0
		.amdhsa_exception_fp_ieee_div_zero 0
		.amdhsa_exception_fp_ieee_overflow 0
		.amdhsa_exception_fp_ieee_underflow 0
		.amdhsa_exception_fp_ieee_inexact 0
		.amdhsa_exception_int_div_zero 0
	.end_amdhsa_kernel
	.section	.text._ZN2at6native12_GLOBAL__N_125multi_tensor_apply_kernelINS1_18TensorListMetadataILi2EEENS1_21BinaryOpScalarFunctorIN3c104HalfELi2ELi1ELi1EEEJNS1_13power_functorIfEEfEEEvT_T0_DpT1_,"axG",@progbits,_ZN2at6native12_GLOBAL__N_125multi_tensor_apply_kernelINS1_18TensorListMetadataILi2EEENS1_21BinaryOpScalarFunctorIN3c104HalfELi2ELi1ELi1EEEJNS1_13power_functorIfEEfEEEvT_T0_DpT1_,comdat
.Lfunc_end70:
	.size	_ZN2at6native12_GLOBAL__N_125multi_tensor_apply_kernelINS1_18TensorListMetadataILi2EEENS1_21BinaryOpScalarFunctorIN3c104HalfELi2ELi1ELi1EEEJNS1_13power_functorIfEEfEEEvT_T0_DpT1_, .Lfunc_end70-_ZN2at6native12_GLOBAL__N_125multi_tensor_apply_kernelINS1_18TensorListMetadataILi2EEENS1_21BinaryOpScalarFunctorIN3c104HalfELi2ELi1ELi1EEEJNS1_13power_functorIfEEfEEEvT_T0_DpT1_
                                        ; -- End function
	.section	.AMDGPU.csdata,"",@progbits
; Kernel info:
; codeLenInByte = 9984
; NumSgprs: 75
; NumVgprs: 66
; NumAgprs: 0
; TotalNumVgprs: 66
; ScratchSize: 0
; MemoryBound: 0
; FloatMode: 240
; IeeeMode: 1
; LDSByteSize: 0 bytes/workgroup (compile time only)
; SGPRBlocks: 9
; VGPRBlocks: 8
; NumSGPRsForWavesPerEU: 75
; NumVGPRsForWavesPerEU: 66
; AccumOffset: 68
; Occupancy: 7
; WaveLimiterHint : 0
; COMPUTE_PGM_RSRC2:SCRATCH_EN: 0
; COMPUTE_PGM_RSRC2:USER_SGPR: 6
; COMPUTE_PGM_RSRC2:TRAP_HANDLER: 0
; COMPUTE_PGM_RSRC2:TGID_X_EN: 1
; COMPUTE_PGM_RSRC2:TGID_Y_EN: 0
; COMPUTE_PGM_RSRC2:TGID_Z_EN: 0
; COMPUTE_PGM_RSRC2:TIDIG_COMP_CNT: 0
; COMPUTE_PGM_RSRC3_GFX90A:ACCUM_OFFSET: 16
; COMPUTE_PGM_RSRC3_GFX90A:TG_SPLIT: 0
	.section	.text._ZN2at6native12_GLOBAL__N_125multi_tensor_apply_kernelINS1_18TensorListMetadataILi2EEENS1_21BinaryOpScalarFunctorIN3c108BFloat16ELi2ELi1ELi1EEEJNS1_13power_functorIfEEfEEEvT_T0_DpT1_,"axG",@progbits,_ZN2at6native12_GLOBAL__N_125multi_tensor_apply_kernelINS1_18TensorListMetadataILi2EEENS1_21BinaryOpScalarFunctorIN3c108BFloat16ELi2ELi1ELi1EEEJNS1_13power_functorIfEEfEEEvT_T0_DpT1_,comdat
	.globl	_ZN2at6native12_GLOBAL__N_125multi_tensor_apply_kernelINS1_18TensorListMetadataILi2EEENS1_21BinaryOpScalarFunctorIN3c108BFloat16ELi2ELi1ELi1EEEJNS1_13power_functorIfEEfEEEvT_T0_DpT1_ ; -- Begin function _ZN2at6native12_GLOBAL__N_125multi_tensor_apply_kernelINS1_18TensorListMetadataILi2EEENS1_21BinaryOpScalarFunctorIN3c108BFloat16ELi2ELi1ELi1EEEJNS1_13power_functorIfEEfEEEvT_T0_DpT1_
	.p2align	8
	.type	_ZN2at6native12_GLOBAL__N_125multi_tensor_apply_kernelINS1_18TensorListMetadataILi2EEENS1_21BinaryOpScalarFunctorIN3c108BFloat16ELi2ELi1ELi1EEEJNS1_13power_functorIfEEfEEEvT_T0_DpT1_,@function
_ZN2at6native12_GLOBAL__N_125multi_tensor_apply_kernelINS1_18TensorListMetadataILi2EEENS1_21BinaryOpScalarFunctorIN3c108BFloat16ELi2ELi1ELi1EEEJNS1_13power_functorIfEEfEEEvT_T0_DpT1_: ; @_ZN2at6native12_GLOBAL__N_125multi_tensor_apply_kernelINS1_18TensorListMetadataILi2EEENS1_21BinaryOpScalarFunctorIN3c108BFloat16ELi2ELi1ELi1EEEJNS1_13power_functorIfEEfEEEvT_T0_DpT1_
; %bb.0:
	v_mov_b32_e32 v1, s6
	global_load_ubyte v1, v1, s[4:5] offset:1536
	s_add_u32 s0, s4, s6
	s_mul_hi_u32 s2, s6, 3
	s_mul_i32 s6, s6, 3
	s_addc_u32 s7, s5, 0
	s_add_u32 s6, s0, s6
	s_addc_u32 s7, s7, s2
	s_load_dword s6, s[6:7], 0x740
	s_mov_b32 s1, 0
	s_mov_b32 s11, s1
	;; [unrolled: 1-line block ×3, first 2 shown]
	s_waitcnt lgkmcnt(0)
	s_ashr_i32 s7, s6, 31
	s_lshl_b64 s[20:21], s[6:7], 17
	s_waitcnt vmcnt(0)
	v_readfirstlane_b32 s0, v1
	s_lshl_b32 s0, s0, 3
	s_load_dwordx2 s[48:49], s[4:5], s0 offset:0x0
	s_load_dword s26, s[4:5], 0xc4c
	s_load_dwordx2 s[8:9], s[4:5], s0 offset:0x400
	s_load_dwordx2 s[50:51], s[4:5], s0 offset:0x200
	s_waitcnt lgkmcnt(0)
	s_and_b32 s0, s48, 7
	s_and_b32 s10, s8, 3
	;; [unrolled: 1-line block ×3, first 2 shown]
	s_or_b64 s[0:1], s[0:1], s[10:11]
	s_or_b64 s[0:1], s[2:3], s[0:1]
	s_lshl_b64 s[2:3], s[6:7], 16
	s_sub_u32 s52, s8, s2
	s_subb_u32 s53, s9, s3
	s_cmp_eq_u64 s[0:1], 0
	s_mov_b64 s[0:1], -1
	s_cbranch_scc1 .LBB71_21
; %bb.1:
	v_cmp_lt_i64_e64 s[0:1], s[52:53], 1
	s_and_b64 vcc, exec, s[0:1]
	s_cbranch_vccnz .LBB71_20
; %bb.2:
	s_load_dword s0, s[4:5], 0xc5c
	v_mov_b32_e32 v2, 0x10000
	v_mov_b32_e32 v3, 0
	v_cmp_lt_u64_e32 vcc, s[52:53], v[2:3]
	v_lshlrev_b32_e32 v10, 1, v0
	s_waitcnt lgkmcnt(0)
	s_and_b32 s2, s0, 0xffff
	s_and_b64 s[0:1], vcc, exec
	v_mov_b32_e32 v13, s49
	v_add_co_u32_e32 v2, vcc, s48, v10
	v_addc_co_u32_e32 v1, vcc, 0, v13, vcc
	v_mov_b32_e32 v11, 0
	v_mov_b32_e32 v15, s51
	v_add_co_u32_e32 v4, vcc, s50, v10
	v_addc_co_u32_e32 v3, vcc, 0, v15, vcc
	v_mad_u64_u32 v[8:9], s[0:1], s2, 6, v[10:11]
	v_add_co_u32_e32 v6, vcc, s48, v8
	v_addc_co_u32_e32 v5, vcc, v13, v9, vcc
	v_add_co_u32_e32 v8, vcc, s50, v8
	s_mul_i32 s6, s2, 3
	v_addc_co_u32_e32 v7, vcc, v15, v9, vcc
	s_cselect_b32 s23, s53, 0
	s_cselect_b32 s22, s52, 0x10000
	s_lshl_b32 s34, s2, 2
	v_add_co_u32_e32 v17, vcc, s6, v0
	v_addc_co_u32_e64 v20, s[0:1], 0, 0, vcc
	v_add_co_u32_e32 v11, vcc, s34, v10
	v_addc_co_u32_e64 v14, s[0:1], 0, 0, vcc
	v_add_co_u32_e32 v10, vcc, s48, v11
	v_addc_co_u32_e32 v9, vcc, v13, v14, vcc
	v_add_co_u32_e32 v12, vcc, s50, v11
	s_lshl_b32 s3, s2, 1
	v_addc_co_u32_e32 v11, vcc, v15, v14, vcc
	v_add_co_u32_e32 v21, vcc, s3, v0
	v_addc_co_u32_e64 v22, s[0:1], 0, 0, vcc
	v_add_co_u32_e32 v23, vcc, s2, v0
	v_lshlrev_b32_e32 v16, 1, v23
	v_addc_co_u32_e64 v24, s[0:1], 0, 0, vcc
	v_add_co_u32_e32 v14, vcc, s48, v16
	v_addc_co_u32_e32 v13, vcc, 0, v13, vcc
	v_add_co_u32_e32 v16, vcc, s50, v16
	s_mov_b32 s28, 0x31739010
	s_mov_b32 s33, 0
	s_lshl_b32 s35, s2, 3
	v_addc_co_u32_e32 v15, vcc, 0, v15, vcc
	s_mov_b64 s[24:25], 0
	s_mov_b32 s36, 0x7f800000
	s_brev_b32 s37, -2
	s_mov_b32 s38, 0x3f2aaaab
	s_mov_b32 s39, 0x3f317218
	v_mov_b32_e32 v25, 0x3ecccdef
	s_mov_b32 s27, 0x3f2aaaaa
	s_mov_b32 s29, 0xbf2aaaaa
	s_movk_i32 s40, 0x204
	s_mov_b32 s41, 0x42b17218
	s_mov_b32 s42, 0x3fb8aa3b
	;; [unrolled: 1-line block ×3, first 2 shown]
	s_movk_i32 s44, 0x7fff
	v_mov_b32_e32 v26, 0x7f800000
	v_mov_b32_e32 v27, 0x37000000
	v_mov_b32_e32 v28, 0x7fc00000
	v_mov_b32_e32 v29, 0x7fc0
	v_mov_b32_e32 v19, 0x3f2aaaaa
	s_branch .LBB71_4
.LBB71_3:                               ;   in Loop: Header=BB71_4 Depth=1
	s_or_b64 exec, exec, s[8:9]
	s_add_u32 s24, s24, s34
	s_addc_u32 s25, s25, 0
	s_waitcnt vmcnt(0)
	v_pk_mov_b32 v[30:31], s[52:53], s[52:53] op_sel:[0,1]
	v_cmp_lt_i64_e32 vcc, s[24:25], v[30:31]
	v_mov_b32_e32 v30, 0x10000
	v_mov_b32_e32 v31, 0
	v_cmp_lt_u64_e64 s[0:1], s[24:25], v[30:31]
	s_and_b64 s[0:1], vcc, s[0:1]
	v_mov_b32_e32 v18, s33
	v_add_co_u32_e32 v2, vcc, s35, v2
	v_addc_co_u32_e32 v1, vcc, v1, v18, vcc
	v_add_co_u32_e32 v4, vcc, s35, v4
	v_addc_co_u32_e32 v3, vcc, v3, v18, vcc
	;; [unrolled: 2-line block ×8, first 2 shown]
	s_and_b64 vcc, exec, s[0:1]
	s_cbranch_vccz .LBB71_20
.LBB71_4:                               ; =>This Inner Loop Header: Depth=1
	v_mov_b32_e32 v18, s25
	v_add_co_u32_e32 v30, vcc, s24, v0
	v_addc_co_u32_e32 v31, vcc, 0, v18, vcc
	v_cmp_gt_u64_e64 s[6:7], s[22:23], v[30:31]
	v_mov_b32_e32 v32, 0
	s_and_saveexec_b64 s[0:1], s[6:7]
	s_cbranch_execz .LBB71_6
; %bb.5:                                ;   in Loop: Header=BB71_4 Depth=1
	v_mov_b32_e32 v18, s21
	v_add_co_u32_e32 v30, vcc, s20, v2
	v_addc_co_u32_e32 v31, vcc, v1, v18, vcc
	global_load_ushort v32, v[30:31], off
.LBB71_6:                               ;   in Loop: Header=BB71_4 Depth=1
	s_or_b64 exec, exec, s[0:1]
	v_mov_b32_e32 v18, s25
	v_add_co_u32_e32 v30, vcc, s24, v23
	v_addc_co_u32_e32 v31, vcc, v24, v18, vcc
	v_cmp_gt_u64_e64 s[2:3], s[22:23], v[30:31]
	v_mov_b32_e32 v18, 0
	s_and_saveexec_b64 s[0:1], s[2:3]
	s_cbranch_execz .LBB71_8
; %bb.7:                                ;   in Loop: Header=BB71_4 Depth=1
	v_mov_b32_e32 v18, s21
	v_add_co_u32_e32 v30, vcc, s20, v14
	v_addc_co_u32_e32 v31, vcc, v13, v18, vcc
	global_load_ushort v18, v[30:31], off
.LBB71_8:                               ;   in Loop: Header=BB71_4 Depth=1
	s_or_b64 exec, exec, s[0:1]
	v_mov_b32_e32 v31, s25
	v_add_co_u32_e32 v30, vcc, s24, v21
	v_addc_co_u32_e32 v31, vcc, v22, v31, vcc
	v_cmp_gt_u64_e64 s[0:1], s[22:23], v[30:31]
	v_mov_b32_e32 v30, 0
	v_mov_b32_e32 v31, 0
	s_and_saveexec_b64 s[8:9], s[0:1]
	s_cbranch_execz .LBB71_10
; %bb.9:                                ;   in Loop: Header=BB71_4 Depth=1
	v_mov_b32_e32 v31, s21
	v_add_co_u32_e32 v34, vcc, s20, v10
	v_addc_co_u32_e32 v35, vcc, v9, v31, vcc
	global_load_ushort v31, v[34:35], off
.LBB71_10:                              ;   in Loop: Header=BB71_4 Depth=1
	s_or_b64 exec, exec, s[8:9]
	v_mov_b32_e32 v33, s25
	v_add_co_u32_e32 v34, vcc, s24, v17
	v_addc_co_u32_e32 v35, vcc, v20, v33, vcc
	v_cmp_gt_u64_e32 vcc, s[22:23], v[34:35]
	s_and_saveexec_b64 s[10:11], vcc
	s_cbranch_execnz .LBB71_15
; %bb.11:                               ;   in Loop: Header=BB71_4 Depth=1
	s_or_b64 exec, exec, s[10:11]
	s_and_saveexec_b64 s[30:31], s[6:7]
	s_cbranch_execnz .LBB71_16
.LBB71_12:                              ;   in Loop: Header=BB71_4 Depth=1
	s_or_b64 exec, exec, s[30:31]
	s_and_saveexec_b64 s[12:13], s[2:3]
	s_cbranch_execnz .LBB71_17
.LBB71_13:                              ;   in Loop: Header=BB71_4 Depth=1
	s_or_b64 exec, exec, s[12:13]
	s_and_saveexec_b64 s[10:11], s[0:1]
	s_cbranch_execnz .LBB71_18
.LBB71_14:                              ;   in Loop: Header=BB71_4 Depth=1
	s_or_b64 exec, exec, s[10:11]
	s_and_saveexec_b64 s[8:9], vcc
	s_cbranch_execz .LBB71_3
	s_branch .LBB71_19
.LBB71_15:                              ;   in Loop: Header=BB71_4 Depth=1
	v_mov_b32_e32 v30, s21
	v_add_co_u32_e64 v34, s[8:9], s20, v6
	v_addc_co_u32_e64 v35, s[8:9], v5, v30, s[8:9]
	global_load_ushort v30, v[34:35], off
	s_or_b64 exec, exec, s[10:11]
	s_and_saveexec_b64 s[30:31], s[6:7]
	s_cbranch_execz .LBB71_12
.LBB71_16:                              ;   in Loop: Header=BB71_4 Depth=1
	s_waitcnt vmcnt(0)
	v_lshlrev_b32_e32 v32, 16, v32
	v_mov_b32_e32 v33, s21
	v_add_co_u32_e64 v34, s[6:7], s20, v4
	v_mov_b32_e32 v36, s26
	v_cmp_eq_f32_e64 s[14:15], 1.0, v32
	v_addc_co_u32_e64 v35, s[6:7], v3, v33, s[6:7]
	v_cndmask_b32_e64 v50, v36, 1.0, s[14:15]
	v_cmp_eq_f32_e64 s[6:7], 0, v50
	v_cndmask_b32_e64 v51, v32, 1.0, s[6:7]
	v_cmp_eq_f32_e64 s[8:9], 0, v51
	v_cmp_gt_f32_e64 s[10:11], 0, v50
	s_xor_b64 s[10:11], s[10:11], s[8:9]
	v_trunc_f32_e32 v33, v50
	v_cndmask_b32_e64 v52, |v32|, 1.0, s[6:7]
	v_cndmask_b32_e64 v32, v26, 0, s[10:11]
	v_cmp_eq_f32_e64 s[10:11], v33, v50
	v_mul_f32_e32 v33, 0.5, v50
	v_trunc_f32_e32 v37, v33
	v_cmp_neq_f32_e64 s[12:13], v37, v33
	s_and_b64 s[12:13], s[10:11], s[12:13]
	v_cndmask_b32_e64 v33, 0, v51, s[12:13]
	v_bfi_b32 v53, s37, v32, v33
	v_cvt_f64_f32_e32 v[32:33], v52
	v_frexp_exp_i32_f64_e32 v32, v[32:33]
	v_frexp_mant_f32_e32 v33, v52
	v_cmp_gt_f32_e64 s[18:19], s38, v33
	v_subbrev_co_u32_e64 v32, s[16:17], 0, v32, s[18:19]
	v_cvt_f32_i32_e32 v37, v32
	v_cndmask_b32_e64 v54, |v36|, 1.0, s[14:15]
	v_cmp_neq_f32_e64 s[14:15], v50, v54
	v_cmp_gt_f32_e64 s[16:17], 1.0, v52
	v_mul_f32_e32 v32, 0x3f317218, v37
	v_fma_f32 v36, v37, s39, -v32
	v_fmac_f32_e32 v36, 0xb102e308, v37
	v_cndmask_b32_e64 v37, 1.0, 2.0, s[18:19]
	v_mul_f32_e32 v33, v33, v37
	v_add_f32_e32 v37, 1.0, v33
	v_rcp_f32_e32 v46, v37
	v_add_f32_e32 v38, -1.0, v37
	v_add_f32_e32 v39, -1.0, v33
	v_sub_f32_e32 v38, v33, v38
	v_mul_f32_e32 v33, v39, v46
	v_mul_f32_e32 v40, v37, v33
	v_fma_f32 v42, v33, v37, -v40
	v_fmac_f32_e32 v42, v33, v38
	v_add_f32_e32 v38, v40, v42
	v_sub_f32_e32 v41, v39, v38
	v_pk_add_f32 v[44:45], v[38:39], v[40:41] neg_lo:[0,1] neg_hi:[0,1]
	v_mov_b32_e32 v43, v38
	v_pk_add_f32 v[38:39], v[44:45], v[42:43] neg_lo:[0,1] neg_hi:[0,1]
	v_add_f32_e32 v37, v38, v39
	v_add_f32_e32 v37, v41, v37
	v_mul_f32_e32 v39, v46, v37
	v_add_f32_e32 v38, v33, v39
	v_sub_f32_e32 v33, v38, v33
	v_mul_f32_e32 v41, v38, v38
	v_sub_f32_e32 v48, v39, v33
	v_add_f32_e32 v33, v48, v48
	v_fma_f32 v39, v38, v38, -v41
	v_fmac_f32_e32 v39, v38, v33
	v_add_f32_e32 v40, v41, v39
	v_sub_f32_e32 v33, v40, v41
	v_sub_f32_e32 v33, v39, v33
	v_mov_b32_e32 v39, 0x3e91f4c4
	v_fmac_f32_e32 v39, 0x3e76c4e1, v40
	v_fma_f32 v39, v40, v39, v25
	v_mul_f32_e32 v41, v40, v39
	v_fma_f32 v42, v40, v39, -v41
	v_fmac_f32_e32 v42, v33, v39
	v_add_f32_e32 v44, v41, v42
	v_add_f32_e32 v43, 0x3f2aaaaa, v44
	v_sub_f32_e32 v39, v44, v41
	v_sub_f32_e32 v39, v42, v39
	v_add_f32_e32 v41, 0xbf2aaaaa, v43
	v_add_f32_e32 v39, 0x31739010, v39
	v_sub_f32_e32 v41, v44, v41
	v_pk_mul_f32 v[44:45], v[38:39], v[40:41]
	v_fma_f32 v42, v40, v38, -v44
	v_pk_add_f32 v[46:47], v[38:39], v[40:41]
	v_fmac_f32_e32 v42, v40, v48
	v_mov_b32_e32 v45, v47
	v_fmac_f32_e32 v42, v33, v38
	v_ldexp_f32 v37, v38, 1
	v_pk_add_f32 v[38:39], v[44:45], v[42:43]
	v_mov_b32_e32 v40, v39
	v_pk_mul_f32 v[40:41], v[38:39], v[40:41]
	v_sub_f32_e32 v33, v38, v44
	v_sub_f32_e32 v41, v43, v39
	v_sub_f32_e32 v33, v42, v33
	v_add_f32_e32 v41, v47, v41
	v_fma_f32 v42, v38, v39, -v40
	v_fmac_f32_e32 v42, v38, v41
	v_fmac_f32_e32 v42, v33, v39
	v_add_f32_e32 v33, v40, v42
	v_pk_add_f32 v[38:39], v[32:33], v[36:37]
	v_mov_b32_e32 v44, v33
	v_mov_b32_e32 v45, v39
	;; [unrolled: 1-line block ×3, first 2 shown]
	v_pk_add_f32 v[40:41], v[44:45], v[40:41] neg_lo:[0,1] neg_hi:[0,1]
	v_mov_b32_e32 v43, v33
	v_ldexp_f32 v46, v48, 1
	v_pk_add_f32 v[40:41], v[42:43], v[40:41] neg_lo:[0,1] neg_hi:[0,1]
	v_add_f32_e32 v33, v46, v40
	v_add_f32_e32 v33, v33, v41
	v_pk_add_f32 v[40:41], v[38:39], v[32:33] neg_lo:[0,1] neg_hi:[0,1]
	v_pk_add_f32 v[42:43], v[38:39], v[32:33]
	v_mov_b32_e32 v44, v40
	v_mov_b32_e32 v45, v43
	;; [unrolled: 1-line block ×3, first 2 shown]
	v_pk_add_f32 v[44:45], v[36:37], v[44:45]
	v_mov_b32_e32 v32, v45
	v_pk_add_f32 v[46:47], v[32:33], v[38:39] neg_lo:[0,1] neg_hi:[0,1]
	v_mov_b32_e32 v47, v46
	v_mov_b32_e32 v44, v43
	;; [unrolled: 1-line block ×4, first 2 shown]
	v_pk_add_f32 v[40:41], v[36:37], v[40:41] neg_lo:[0,1] neg_hi:[0,1]
	v_pk_add_f32 v[48:49], v[42:43], v[46:47] neg_lo:[0,1] neg_hi:[0,1]
	;; [unrolled: 1-line block ×3, first 2 shown]
	v_mov_b32_e32 v36, v33
	v_pk_add_f32 v[36:37], v[36:37], v[38:39] neg_lo:[0,1] neg_hi:[0,1]
	v_mov_b32_e32 v48, v40
	v_pk_add_f32 v[38:39], v[48:49], v[36:37]
	v_mov_b32_e32 v42, v39
	v_pk_add_f32 v[42:43], v[38:39], v[42:43]
	v_pk_add_f32 v[32:33], v[32:33], v[42:43]
	v_mov_b32_e32 v41, v45
	v_mov_b32_e32 v39, v32
	v_pk_add_f32 v[44:45], v[38:39], v[40:41] neg_lo:[0,1] neg_hi:[0,1]
	v_mov_b32_e32 v37, v42
	v_sub_f32_e32 v33, v38, v44
	v_pk_add_f32 v[36:37], v[36:37], v[44:45] neg_lo:[0,1] neg_hi:[0,1]
	v_sub_f32_e32 v33, v40, v33
	v_add_f32_e32 v33, v36, v33
	v_add_f32_e32 v33, v33, v37
	;; [unrolled: 1-line block ×3, first 2 shown]
	v_mul_f32_e32 v37, v50, v36
	v_sub_f32_e32 v32, v36, v32
	v_sub_f32_e32 v32, v33, v32
	v_fma_f32 v33, v50, v36, -v37
	v_fmac_f32_e32 v33, v50, v32
	v_add_f32_e32 v32, v37, v33
	v_cmp_class_f32_e64 s[18:19], v37, s40
	v_cndmask_b32_e64 v36, v32, v37, s[18:19]
	v_cmp_eq_f32_e64 s[18:19], s41, v36
	v_cndmask_b32_e64 v38, 0, v27, s[18:19]
	v_sub_f32_e32 v39, v36, v38
	v_mul_f32_e32 v40, 0x3fb8aa3b, v39
	v_fma_f32 v41, v39, s42, -v40
	v_rndne_f32_e32 v42, v40
	v_fmac_f32_e32 v41, 0x32a5705f, v39
	v_sub_f32_e32 v40, v40, v42
	v_add_f32_e32 v40, v40, v41
	v_exp_f32_e32 v40, v40
	v_cvt_i32_f32_e32 v41, v42
	s_xor_b64 s[14:15], s[14:15], s[16:17]
	v_cndmask_b32_e64 v42, v54, 0, s[14:15]
	v_cmp_eq_f32_e64 s[14:15], 1.0, v52
	v_cndmask_b32_e64 v42, v42, v52, s[14:15]
	v_ldexp_f32 v40, v40, v41
	v_cmp_ngt_f32_e64 s[14:15], s43, v39
	v_cndmask_b32_e64 v40, 0, v40, s[14:15]
	v_cmp_nlt_f32_e64 s[14:15], s41, v39
	v_sub_f32_e32 v32, v32, v37
	v_cndmask_b32_e64 v39, v26, v40, s[14:15]
	v_sub_f32_e32 v32, v33, v32
	v_cmp_neq_f32_e64 s[14:15], |v36|, s36
	v_cndmask_b32_e64 v32, 0, v32, s[14:15]
	v_add_f32_e32 v32, v38, v32
	v_fma_f32 v32, v39, v32, v39
	v_cmp_class_f32_e64 s[14:15], v39, s40
	v_cndmask_b32_e64 v32, v32, v39, s[14:15]
	v_cndmask_b32_e64 v33, 1.0, v51, s[12:13]
	v_bfi_b32 v32, s37, v32, v33
	v_cndmask_b32_e64 v33, v28, v32, s[10:11]
	v_cmp_gt_f32_e64 s[10:11], 0, v51
	v_cmp_eq_f32_e64 s[6:7], s36, v52
	v_cndmask_b32_e64 v32, v32, v33, s[10:11]
	v_cmp_eq_f32_e64 s[10:11], s36, v54
	v_cndmask_b32_e64 v32, v32, v42, s[10:11]
	s_or_b64 s[6:7], s[6:7], s[8:9]
	v_cndmask_b32_e64 v32, v32, v53, s[6:7]
	v_cmp_o_f32_e64 s[6:7], v51, v50
	v_cndmask_b32_e64 v32, v28, v32, s[6:7]
	v_bfe_u32 v33, v32, 16, 1
	v_add3_u32 v33, v32, v33, s44
	v_lshrrev_b32_e32 v33, 16, v33
	v_cmp_o_f32_e64 s[6:7], v32, v32
	v_cndmask_b32_e64 v32, v29, v33, s[6:7]
	global_store_short v[34:35], v32, off
	s_or_b64 exec, exec, s[30:31]
	s_and_saveexec_b64 s[12:13], s[2:3]
	s_cbranch_execz .LBB71_13
.LBB71_17:                              ;   in Loop: Header=BB71_4 Depth=1
	s_waitcnt vmcnt(0)
	v_lshlrev_b32_e32 v48, 16, v18
	v_mov_b32_e32 v49, s26
	v_cmp_eq_f32_e64 s[2:3], 1.0, v48
	v_cndmask_b32_e64 v50, v49, 1.0, s[2:3]
	v_cmp_eq_f32_e64 s[6:7], 0, v50
	v_cndmask_b32_e64 v51, |v48|, 1.0, s[6:7]
	v_frexp_mant_f32_e32 v18, v51
	v_cmp_gt_f32_e64 s[8:9], s38, v18
	v_cndmask_b32_e64 v32, 1.0, 2.0, s[8:9]
	v_mul_f32_e32 v18, v18, v32
	v_add_f32_e32 v32, 1.0, v18
	v_rcp_f32_e32 v40, v32
	v_add_f32_e32 v33, -1.0, v32
	v_sub_f32_e32 v35, v18, v33
	v_add_f32_e32 v33, -1.0, v18
	v_mul_f32_e32 v18, v33, v40
	v_mul_f32_e32 v34, v32, v18
	v_fma_f32 v36, v18, v32, -v34
	v_fmac_f32_e32 v36, v18, v35
	v_add_f32_e32 v32, v34, v36
	v_sub_f32_e32 v35, v33, v32
	v_pk_add_f32 v[38:39], v[32:33], v[34:35] neg_lo:[0,1] neg_hi:[0,1]
	v_mov_b32_e32 v37, v32
	v_pk_add_f32 v[32:33], v[38:39], v[36:37] neg_lo:[0,1] neg_hi:[0,1]
	v_add_f32_e32 v32, v32, v33
	v_add_f32_e32 v32, v35, v32
	v_mul_f32_e32 v33, v40, v32
	v_add_f32_e32 v32, v18, v33
	v_sub_f32_e32 v18, v32, v18
	v_sub_f32_e32 v44, v33, v18
	v_mul_f32_e32 v18, v32, v32
	v_fma_f32 v33, v32, v32, -v18
	v_add_f32_e32 v34, v44, v44
	v_fmac_f32_e32 v33, v32, v34
	v_add_f32_e32 v34, v18, v33
	v_mov_b32_e32 v35, 0x3e91f4c4
	v_fmac_f32_e32 v35, 0x3e76c4e1, v34
	v_fma_f32 v35, v34, v35, v25
	v_sub_f32_e32 v18, v34, v18
	v_sub_f32_e32 v45, v33, v18
	v_mul_f32_e32 v33, v34, v35
	v_fma_f32 v18, v34, v35, -v33
	v_fmac_f32_e32 v18, v45, v35
	v_add_f32_e32 v37, v33, v18
	v_sub_f32_e32 v36, v37, v33
	v_pk_add_f32 v[38:39], v[18:19], v[36:37] neg_lo:[0,1] neg_hi:[0,1]
	v_pk_add_f32 v[40:41], v[36:37], s[26:27]
	v_mov_b32_e32 v39, v41
	v_pk_add_f32 v[42:43], v[38:39], s[28:29]
	v_sub_f32_e32 v35, v37, v43
	v_mov_b32_e32 v33, v42
	v_pk_mul_f32 v[36:37], v[32:33], v[34:35]
	v_fma_f32 v38, v34, v32, -v36
	v_pk_add_f32 v[42:43], v[32:33], v[34:35]
	v_fmac_f32_e32 v38, v34, v44
	v_mov_b32_e32 v37, v43
	v_fmac_f32_e32 v38, v45, v32
	v_pk_add_f32 v[34:35], v[36:37], v[38:39]
	v_sub_f32_e32 v18, v34, v36
	v_sub_f32_e32 v33, v38, v18
	;; [unrolled: 1-line block ×3, first 2 shown]
	v_add_f32_e32 v40, v43, v18
	v_mov_b32_e32 v18, v35
	v_cvt_f64_f32_e32 v[38:39], v51
	v_pk_mul_f32 v[36:37], v[34:35], v[18:19]
	v_frexp_exp_i32_f64_e32 v18, v[38:39]
	v_subbrev_co_u32_e64 v18, s[8:9], 0, v18, s[8:9]
	v_cvt_f32_i32_e32 v18, v18
	v_fma_f32 v38, v34, v35, -v36
	v_fmac_f32_e32 v38, v34, v40
	v_fmac_f32_e32 v38, v33, v35
	v_mul_f32_e32 v34, 0x3f317218, v18
	v_fma_f32 v40, v18, s39, -v34
	v_fmac_f32_e32 v40, 0xb102e308, v18
	v_ldexp_f32 v41, v32, 1
	v_add_f32_e32 v35, v36, v38
	v_pk_add_f32 v[32:33], v[34:35], v[40:41]
	v_mov_b32_e32 v42, v35
	v_mov_b32_e32 v43, v33
	;; [unrolled: 1-line block ×3, first 2 shown]
	v_pk_add_f32 v[36:37], v[42:43], v[36:37] neg_lo:[0,1] neg_hi:[0,1]
	v_mov_b32_e32 v39, v35
	v_ldexp_f32 v18, v44, 1
	v_pk_add_f32 v[36:37], v[38:39], v[36:37] neg_lo:[0,1] neg_hi:[0,1]
	v_add_f32_e32 v18, v18, v36
	v_add_f32_e32 v35, v18, v37
	v_pk_add_f32 v[36:37], v[32:33], v[34:35] neg_lo:[0,1] neg_hi:[0,1]
	v_pk_add_f32 v[38:39], v[32:33], v[34:35]
	v_mov_b32_e32 v42, v36
	v_mov_b32_e32 v43, v39
	;; [unrolled: 1-line block ×3, first 2 shown]
	v_pk_add_f32 v[42:43], v[40:41], v[42:43]
	v_mov_b32_e32 v18, v43
	v_pk_add_f32 v[44:45], v[18:19], v[32:33] neg_lo:[0,1] neg_hi:[0,1]
	v_mov_b32_e32 v45, v44
	v_mov_b32_e32 v42, v39
	;; [unrolled: 1-line block ×4, first 2 shown]
	v_pk_add_f32 v[36:37], v[40:41], v[36:37] neg_lo:[0,1] neg_hi:[0,1]
	v_pk_add_f32 v[46:47], v[38:39], v[44:45] neg_lo:[0,1] neg_hi:[0,1]
	;; [unrolled: 1-line block ×3, first 2 shown]
	v_mov_b32_e32 v40, v35
	v_pk_add_f32 v[32:33], v[40:41], v[32:33] neg_lo:[0,1] neg_hi:[0,1]
	v_mov_b32_e32 v46, v36
	v_pk_add_f32 v[34:35], v[46:47], v[32:33]
	v_mov_b32_e32 v38, v35
	v_pk_add_f32 v[38:39], v[34:35], v[38:39]
	v_pk_add_f32 v[40:41], v[18:19], v[38:39]
	v_mov_b32_e32 v37, v43
	v_mov_b32_e32 v35, v40
	v_pk_add_f32 v[42:43], v[34:35], v[36:37] neg_lo:[0,1] neg_hi:[0,1]
	v_mov_b32_e32 v33, v38
	v_sub_f32_e32 v18, v34, v42
	v_pk_add_f32 v[32:33], v[32:33], v[42:43] neg_lo:[0,1] neg_hi:[0,1]
	v_sub_f32_e32 v18, v36, v18
	v_add_f32_e32 v18, v32, v18
	v_add_f32_e32 v18, v18, v33
	;; [unrolled: 1-line block ×3, first 2 shown]
	v_sub_f32_e32 v33, v32, v40
	v_sub_f32_e32 v18, v18, v33
	v_mul_f32_e32 v33, v50, v32
	v_fma_f32 v32, v50, v32, -v33
	v_fmac_f32_e32 v32, v50, v18
	v_add_f32_e32 v18, v33, v32
	v_cmp_class_f32_e64 s[8:9], v33, s40
	v_sub_f32_e32 v34, v18, v33
	v_cndmask_b32_e64 v18, v18, v33, s[8:9]
	v_cmp_eq_f32_e64 s[8:9], s41, v18
	v_cndmask_b32_e64 v33, 0, v27, s[8:9]
	v_sub_f32_e32 v32, v32, v34
	v_sub_f32_e32 v34, v18, v33
	v_mul_f32_e32 v35, 0x3fb8aa3b, v34
	v_fma_f32 v36, v34, s42, -v35
	v_rndne_f32_e32 v37, v35
	v_fmac_f32_e32 v36, 0x32a5705f, v34
	v_sub_f32_e32 v35, v35, v37
	v_add_f32_e32 v35, v35, v36
	v_exp_f32_e32 v35, v35
	v_cvt_i32_f32_e32 v36, v37
	v_cmp_neq_f32_e64 s[8:9], |v18|, s36
	v_cndmask_b32_e64 v18, 0, v32, s[8:9]
	v_cmp_ngt_f32_e64 s[8:9], s43, v34
	v_ldexp_f32 v32, v35, v36
	v_cndmask_b32_e64 v32, 0, v32, s[8:9]
	v_cmp_nlt_f32_e64 s[8:9], s41, v34
	v_add_f32_e32 v18, v33, v18
	v_cndmask_b32_e64 v32, v26, v32, s[8:9]
	v_fma_f32 v18, v32, v18, v32
	v_cmp_class_f32_e64 s[8:9], v32, s40
	v_trunc_f32_e32 v33, v50
	v_cndmask_b32_e64 v18, v18, v32, s[8:9]
	v_cndmask_b32_e64 v32, v48, 1.0, s[6:7]
	v_cmp_eq_f32_e64 s[6:7], v33, v50
	v_mul_f32_e32 v33, 0.5, v50
	v_trunc_f32_e32 v34, v33
	v_cmp_neq_f32_e64 s[8:9], v34, v33
	s_and_b64 s[8:9], s[6:7], s[8:9]
	v_cndmask_b32_e64 v33, 1.0, v32, s[8:9]
	v_bfi_b32 v18, s37, v18, v33
	v_cndmask_b32_e64 v33, v28, v18, s[6:7]
	v_cmp_gt_f32_e64 s[6:7], 0, v32
	v_cndmask_b32_e64 v18, v18, v33, s[6:7]
	v_cndmask_b32_e64 v33, |v49|, 1.0, s[2:3]
	v_cmp_neq_f32_e64 s[2:3], v50, v33
	v_cmp_gt_f32_e64 s[6:7], 1.0, v51
	s_xor_b64 s[2:3], s[2:3], s[6:7]
	v_cndmask_b32_e64 v34, v33, 0, s[2:3]
	v_cmp_eq_f32_e64 s[2:3], 1.0, v51
	v_cmp_eq_f32_e64 s[6:7], 0, v32
	v_cmp_gt_f32_e64 s[10:11], 0, v50
	v_cndmask_b32_e64 v34, v34, v51, s[2:3]
	v_cmp_eq_f32_e64 s[2:3], s36, v33
	s_xor_b64 s[10:11], s[10:11], s[6:7]
	v_cndmask_b32_e64 v18, v18, v34, s[2:3]
	v_cmp_eq_f32_e64 s[2:3], s36, v51
	v_cndmask_b32_e64 v33, v26, 0, s[10:11]
	v_cndmask_b32_e64 v34, 0, v32, s[8:9]
	v_bfi_b32 v33, s37, v33, v34
	s_or_b64 s[2:3], s[2:3], s[6:7]
	v_cndmask_b32_e64 v18, v18, v33, s[2:3]
	v_cmp_o_f32_e64 s[2:3], v32, v50
	v_cndmask_b32_e64 v18, v28, v18, s[2:3]
	v_bfe_u32 v32, v18, 16, 1
	v_add3_u32 v32, v18, v32, s44
	v_lshrrev_b32_e32 v32, 16, v32
	v_cmp_o_f32_e64 s[2:3], v18, v18
	v_cndmask_b32_e64 v18, v29, v32, s[2:3]
	v_mov_b32_e32 v33, s21
	v_add_co_u32_e64 v32, s[2:3], s20, v16
	v_addc_co_u32_e64 v33, s[2:3], v15, v33, s[2:3]
	global_store_short v[32:33], v18, off
	s_or_b64 exec, exec, s[12:13]
	s_and_saveexec_b64 s[10:11], s[0:1]
	s_cbranch_execz .LBB71_14
.LBB71_18:                              ;   in Loop: Header=BB71_4 Depth=1
	s_waitcnt vmcnt(0)
	v_lshlrev_b32_e32 v48, 16, v31
	v_mov_b32_e32 v49, s26
	v_cmp_eq_f32_e64 s[0:1], 1.0, v48
	v_cndmask_b32_e64 v50, v49, 1.0, s[0:1]
	v_cmp_eq_f32_e64 s[2:3], 0, v50
	v_cndmask_b32_e64 v51, |v48|, 1.0, s[2:3]
	v_frexp_mant_f32_e32 v18, v51
	v_cmp_gt_f32_e64 s[6:7], s38, v18
	v_cndmask_b32_e64 v31, 1.0, 2.0, s[6:7]
	v_mul_f32_e32 v18, v18, v31
	v_add_f32_e32 v31, 1.0, v18
	v_rcp_f32_e32 v40, v31
	v_add_f32_e32 v32, -1.0, v31
	v_add_f32_e32 v33, -1.0, v18
	v_sub_f32_e32 v32, v18, v32
	v_mul_f32_e32 v18, v33, v40
	v_mul_f32_e32 v34, v31, v18
	v_fma_f32 v36, v18, v31, -v34
	v_fmac_f32_e32 v36, v18, v32
	v_add_f32_e32 v32, v34, v36
	v_sub_f32_e32 v35, v33, v32
	v_pk_add_f32 v[38:39], v[32:33], v[34:35] neg_lo:[0,1] neg_hi:[0,1]
	v_mov_b32_e32 v37, v32
	v_pk_add_f32 v[32:33], v[38:39], v[36:37] neg_lo:[0,1] neg_hi:[0,1]
	v_add_f32_e32 v31, v32, v33
	v_add_f32_e32 v31, v35, v31
	v_mul_f32_e32 v31, v40, v31
	v_add_f32_e32 v32, v18, v31
	v_sub_f32_e32 v18, v32, v18
	v_sub_f32_e32 v31, v31, v18
	v_mul_f32_e32 v18, v32, v32
	v_fma_f32 v33, v32, v32, -v18
	v_add_f32_e32 v34, v31, v31
	v_fmac_f32_e32 v33, v32, v34
	v_add_f32_e32 v34, v18, v33
	v_mov_b32_e32 v35, 0x3e91f4c4
	v_fmac_f32_e32 v35, 0x3e76c4e1, v34
	v_fma_f32 v35, v34, v35, v25
	v_sub_f32_e32 v18, v34, v18
	v_sub_f32_e32 v44, v33, v18
	v_mul_f32_e32 v33, v34, v35
	v_fma_f32 v18, v34, v35, -v33
	v_fmac_f32_e32 v18, v44, v35
	v_add_f32_e32 v37, v33, v18
	v_sub_f32_e32 v36, v37, v33
	v_pk_add_f32 v[38:39], v[18:19], v[36:37] neg_lo:[0,1] neg_hi:[0,1]
	v_pk_add_f32 v[40:41], v[36:37], s[26:27]
	v_mov_b32_e32 v39, v41
	v_pk_add_f32 v[42:43], v[38:39], s[28:29]
	v_sub_f32_e32 v35, v37, v43
	v_mov_b32_e32 v33, v42
	v_pk_mul_f32 v[36:37], v[32:33], v[34:35]
	v_fma_f32 v38, v34, v32, -v36
	v_pk_add_f32 v[42:43], v[32:33], v[34:35]
	v_fmac_f32_e32 v38, v34, v31
	v_mov_b32_e32 v37, v43
	v_fmac_f32_e32 v38, v44, v32
	v_pk_add_f32 v[34:35], v[36:37], v[38:39]
	v_sub_f32_e32 v18, v34, v36
	v_sub_f32_e32 v33, v38, v18
	;; [unrolled: 1-line block ×3, first 2 shown]
	v_add_f32_e32 v40, v43, v18
	v_mov_b32_e32 v18, v35
	v_cvt_f64_f32_e32 v[38:39], v51
	v_pk_mul_f32 v[36:37], v[34:35], v[18:19]
	v_frexp_exp_i32_f64_e32 v18, v[38:39]
	v_subbrev_co_u32_e64 v18, s[6:7], 0, v18, s[6:7]
	v_cvt_f32_i32_e32 v18, v18
	v_fma_f32 v38, v34, v35, -v36
	v_fmac_f32_e32 v38, v34, v40
	v_fmac_f32_e32 v38, v33, v35
	v_mul_f32_e32 v34, 0x3f317218, v18
	v_fma_f32 v40, v18, s39, -v34
	v_fmac_f32_e32 v40, 0xb102e308, v18
	v_ldexp_f32 v41, v32, 1
	v_add_f32_e32 v35, v36, v38
	v_pk_add_f32 v[32:33], v[34:35], v[40:41]
	v_mov_b32_e32 v42, v35
	v_mov_b32_e32 v43, v33
	;; [unrolled: 1-line block ×3, first 2 shown]
	v_pk_add_f32 v[36:37], v[42:43], v[36:37] neg_lo:[0,1] neg_hi:[0,1]
	v_mov_b32_e32 v39, v35
	v_ldexp_f32 v18, v31, 1
	v_pk_add_f32 v[36:37], v[38:39], v[36:37] neg_lo:[0,1] neg_hi:[0,1]
	v_add_f32_e32 v18, v18, v36
	v_add_f32_e32 v35, v18, v37
	v_pk_add_f32 v[36:37], v[32:33], v[34:35] neg_lo:[0,1] neg_hi:[0,1]
	v_pk_add_f32 v[38:39], v[32:33], v[34:35]
	v_mov_b32_e32 v42, v36
	v_mov_b32_e32 v43, v39
	;; [unrolled: 1-line block ×3, first 2 shown]
	v_pk_add_f32 v[42:43], v[40:41], v[42:43]
	v_mov_b32_e32 v18, v43
	v_pk_add_f32 v[44:45], v[18:19], v[32:33] neg_lo:[0,1] neg_hi:[0,1]
	v_mov_b32_e32 v31, v44
	v_mov_b32_e32 v42, v39
	;; [unrolled: 1-line block ×4, first 2 shown]
	v_pk_add_f32 v[36:37], v[40:41], v[36:37] neg_lo:[0,1] neg_hi:[0,1]
	v_pk_add_f32 v[46:47], v[38:39], v[30:31] neg_lo:[0,1] neg_hi:[0,1]
	;; [unrolled: 1-line block ×3, first 2 shown]
	v_mov_b32_e32 v40, v35
	v_pk_add_f32 v[32:33], v[40:41], v[32:33] neg_lo:[0,1] neg_hi:[0,1]
	v_mov_b32_e32 v46, v36
	v_pk_add_f32 v[34:35], v[46:47], v[32:33]
	v_mov_b32_e32 v38, v35
	v_pk_add_f32 v[38:39], v[34:35], v[38:39]
	v_pk_add_f32 v[40:41], v[18:19], v[38:39]
	v_mov_b32_e32 v37, v43
	v_mov_b32_e32 v35, v40
	v_pk_add_f32 v[42:43], v[34:35], v[36:37] neg_lo:[0,1] neg_hi:[0,1]
	v_mov_b32_e32 v33, v38
	v_sub_f32_e32 v18, v34, v42
	v_pk_add_f32 v[32:33], v[32:33], v[42:43] neg_lo:[0,1] neg_hi:[0,1]
	v_sub_f32_e32 v18, v36, v18
	v_add_f32_e32 v18, v32, v18
	v_add_f32_e32 v18, v18, v33
	;; [unrolled: 1-line block ×3, first 2 shown]
	v_sub_f32_e32 v32, v31, v40
	v_sub_f32_e32 v18, v18, v32
	v_mul_f32_e32 v32, v50, v31
	v_fma_f32 v31, v50, v31, -v32
	v_fmac_f32_e32 v31, v50, v18
	v_add_f32_e32 v18, v32, v31
	v_cmp_class_f32_e64 s[6:7], v32, s40
	v_sub_f32_e32 v33, v18, v32
	v_cndmask_b32_e64 v18, v18, v32, s[6:7]
	v_cmp_eq_f32_e64 s[6:7], s41, v18
	v_cndmask_b32_e64 v32, 0, v27, s[6:7]
	v_sub_f32_e32 v31, v31, v33
	v_sub_f32_e32 v33, v18, v32
	v_mul_f32_e32 v34, 0x3fb8aa3b, v33
	v_fma_f32 v35, v33, s42, -v34
	v_rndne_f32_e32 v36, v34
	v_fmac_f32_e32 v35, 0x32a5705f, v33
	v_sub_f32_e32 v34, v34, v36
	v_add_f32_e32 v34, v34, v35
	v_exp_f32_e32 v34, v34
	v_cvt_i32_f32_e32 v35, v36
	v_cmp_neq_f32_e64 s[6:7], |v18|, s36
	v_cndmask_b32_e64 v18, 0, v31, s[6:7]
	v_cmp_ngt_f32_e64 s[6:7], s43, v33
	v_ldexp_f32 v31, v34, v35
	v_cndmask_b32_e64 v31, 0, v31, s[6:7]
	v_cmp_nlt_f32_e64 s[6:7], s41, v33
	v_add_f32_e32 v18, v32, v18
	v_cndmask_b32_e64 v31, v26, v31, s[6:7]
	v_fma_f32 v18, v31, v18, v31
	v_cmp_class_f32_e64 s[6:7], v31, s40
	v_trunc_f32_e32 v32, v50
	v_cndmask_b32_e64 v18, v18, v31, s[6:7]
	v_cndmask_b32_e64 v31, v48, 1.0, s[2:3]
	v_cmp_eq_f32_e64 s[2:3], v32, v50
	v_mul_f32_e32 v32, 0.5, v50
	v_trunc_f32_e32 v33, v32
	v_cmp_neq_f32_e64 s[6:7], v33, v32
	s_and_b64 s[6:7], s[2:3], s[6:7]
	v_cndmask_b32_e64 v32, 1.0, v31, s[6:7]
	v_bfi_b32 v18, s37, v18, v32
	v_cndmask_b32_e64 v32, v28, v18, s[2:3]
	v_cmp_gt_f32_e64 s[2:3], 0, v31
	v_cndmask_b32_e64 v18, v18, v32, s[2:3]
	v_cndmask_b32_e64 v32, |v49|, 1.0, s[0:1]
	v_cmp_neq_f32_e64 s[0:1], v50, v32
	v_cmp_gt_f32_e64 s[2:3], 1.0, v51
	s_xor_b64 s[0:1], s[0:1], s[2:3]
	v_cndmask_b32_e64 v33, v32, 0, s[0:1]
	v_cmp_eq_f32_e64 s[0:1], 1.0, v51
	v_cmp_eq_f32_e64 s[2:3], 0, v31
	v_cmp_gt_f32_e64 s[8:9], 0, v50
	v_cndmask_b32_e64 v33, v33, v51, s[0:1]
	v_cmp_eq_f32_e64 s[0:1], s36, v32
	s_xor_b64 s[8:9], s[8:9], s[2:3]
	v_cndmask_b32_e64 v18, v18, v33, s[0:1]
	v_cmp_eq_f32_e64 s[0:1], s36, v51
	v_cndmask_b32_e64 v32, v26, 0, s[8:9]
	v_cndmask_b32_e64 v33, 0, v31, s[6:7]
	v_bfi_b32 v32, s37, v32, v33
	s_or_b64 s[0:1], s[0:1], s[2:3]
	v_cndmask_b32_e64 v18, v18, v32, s[0:1]
	v_cmp_o_f32_e64 s[0:1], v31, v50
	v_cndmask_b32_e64 v18, v28, v18, s[0:1]
	v_bfe_u32 v31, v18, 16, 1
	v_add3_u32 v31, v18, v31, s44
	v_lshrrev_b32_e32 v31, 16, v31
	v_cmp_o_f32_e64 s[0:1], v18, v18
	v_cndmask_b32_e64 v18, v29, v31, s[0:1]
	v_mov_b32_e32 v31, s21
	v_add_co_u32_e64 v32, s[0:1], s20, v12
	v_addc_co_u32_e64 v33, s[0:1], v11, v31, s[0:1]
	global_store_short v[32:33], v18, off
	s_or_b64 exec, exec, s[10:11]
	s_and_saveexec_b64 s[8:9], vcc
	s_cbranch_execz .LBB71_3
.LBB71_19:                              ;   in Loop: Header=BB71_4 Depth=1
	s_waitcnt vmcnt(0)
	v_lshlrev_b32_e32 v46, 16, v30
	v_mov_b32_e32 v47, s26
	v_cmp_eq_f32_e32 vcc, 1.0, v46
	v_cndmask_b32_e64 v48, v47, 1.0, vcc
	v_cmp_eq_f32_e64 s[0:1], 0, v48
	v_cndmask_b32_e64 v49, |v46|, 1.0, s[0:1]
	v_frexp_mant_f32_e32 v18, v49
	v_cmp_gt_f32_e64 s[2:3], s38, v18
	v_cndmask_b32_e64 v30, 1.0, 2.0, s[2:3]
	v_mul_f32_e32 v18, v18, v30
	v_add_f32_e32 v30, 1.0, v18
	v_rcp_f32_e32 v38, v30
	v_add_f32_e32 v31, -1.0, v30
	v_sub_f32_e32 v33, v18, v31
	v_add_f32_e32 v31, -1.0, v18
	v_mul_f32_e32 v18, v31, v38
	v_mul_f32_e32 v32, v30, v18
	v_fma_f32 v34, v18, v30, -v32
	v_fmac_f32_e32 v34, v18, v33
	v_add_f32_e32 v30, v32, v34
	v_sub_f32_e32 v33, v31, v30
	v_pk_add_f32 v[36:37], v[30:31], v[32:33] neg_lo:[0,1] neg_hi:[0,1]
	v_mov_b32_e32 v35, v30
	v_pk_add_f32 v[30:31], v[36:37], v[34:35] neg_lo:[0,1] neg_hi:[0,1]
	v_add_f32_e32 v30, v30, v31
	v_add_f32_e32 v30, v33, v30
	v_mul_f32_e32 v31, v38, v30
	v_add_f32_e32 v30, v18, v31
	v_sub_f32_e32 v18, v30, v18
	v_sub_f32_e32 v42, v31, v18
	v_mul_f32_e32 v18, v30, v30
	v_fma_f32 v31, v30, v30, -v18
	v_add_f32_e32 v32, v42, v42
	v_fmac_f32_e32 v31, v30, v32
	v_add_f32_e32 v32, v18, v31
	v_mov_b32_e32 v33, 0x3e91f4c4
	v_fmac_f32_e32 v33, 0x3e76c4e1, v32
	v_fma_f32 v33, v32, v33, v25
	v_sub_f32_e32 v18, v32, v18
	v_sub_f32_e32 v43, v31, v18
	v_mul_f32_e32 v31, v32, v33
	v_fma_f32 v18, v32, v33, -v31
	v_fmac_f32_e32 v18, v43, v33
	v_add_f32_e32 v35, v31, v18
	v_sub_f32_e32 v34, v35, v31
	v_pk_add_f32 v[36:37], v[18:19], v[34:35] neg_lo:[0,1] neg_hi:[0,1]
	v_pk_add_f32 v[38:39], v[34:35], s[26:27]
	v_mov_b32_e32 v37, v39
	v_pk_add_f32 v[40:41], v[36:37], s[28:29]
	v_sub_f32_e32 v33, v35, v41
	v_mov_b32_e32 v31, v40
	v_pk_mul_f32 v[34:35], v[30:31], v[32:33]
	v_fma_f32 v36, v32, v30, -v34
	v_pk_add_f32 v[40:41], v[30:31], v[32:33]
	v_fmac_f32_e32 v36, v32, v42
	v_mov_b32_e32 v35, v41
	v_fmac_f32_e32 v36, v43, v30
	v_pk_add_f32 v[32:33], v[34:35], v[36:37]
	v_sub_f32_e32 v18, v32, v34
	v_sub_f32_e32 v31, v36, v18
	;; [unrolled: 1-line block ×3, first 2 shown]
	v_add_f32_e32 v38, v41, v18
	v_mov_b32_e32 v18, v33
	v_cvt_f64_f32_e32 v[36:37], v49
	v_pk_mul_f32 v[34:35], v[32:33], v[18:19]
	v_frexp_exp_i32_f64_e32 v18, v[36:37]
	v_subbrev_co_u32_e64 v18, s[2:3], 0, v18, s[2:3]
	v_cvt_f32_i32_e32 v18, v18
	v_fma_f32 v36, v32, v33, -v34
	v_fmac_f32_e32 v36, v32, v38
	v_fmac_f32_e32 v36, v31, v33
	v_mul_f32_e32 v32, 0x3f317218, v18
	v_fma_f32 v38, v18, s39, -v32
	v_fmac_f32_e32 v38, 0xb102e308, v18
	v_ldexp_f32 v39, v30, 1
	v_add_f32_e32 v33, v34, v36
	v_pk_add_f32 v[30:31], v[32:33], v[38:39]
	v_mov_b32_e32 v40, v33
	v_mov_b32_e32 v41, v31
	;; [unrolled: 1-line block ×3, first 2 shown]
	v_pk_add_f32 v[34:35], v[40:41], v[34:35] neg_lo:[0,1] neg_hi:[0,1]
	v_mov_b32_e32 v37, v33
	v_ldexp_f32 v18, v42, 1
	v_pk_add_f32 v[34:35], v[36:37], v[34:35] neg_lo:[0,1] neg_hi:[0,1]
	v_add_f32_e32 v18, v18, v34
	v_add_f32_e32 v33, v18, v35
	v_pk_add_f32 v[34:35], v[30:31], v[32:33] neg_lo:[0,1] neg_hi:[0,1]
	v_pk_add_f32 v[36:37], v[30:31], v[32:33]
	v_mov_b32_e32 v40, v34
	v_mov_b32_e32 v41, v37
	;; [unrolled: 1-line block ×3, first 2 shown]
	v_pk_add_f32 v[40:41], v[38:39], v[40:41]
	v_mov_b32_e32 v18, v41
	v_pk_add_f32 v[42:43], v[18:19], v[30:31] neg_lo:[0,1] neg_hi:[0,1]
	v_mov_b32_e32 v43, v42
	v_mov_b32_e32 v40, v37
	;; [unrolled: 1-line block ×4, first 2 shown]
	v_pk_add_f32 v[34:35], v[38:39], v[34:35] neg_lo:[0,1] neg_hi:[0,1]
	v_pk_add_f32 v[44:45], v[36:37], v[42:43] neg_lo:[0,1] neg_hi:[0,1]
	;; [unrolled: 1-line block ×3, first 2 shown]
	v_mov_b32_e32 v38, v33
	v_pk_add_f32 v[30:31], v[38:39], v[30:31] neg_lo:[0,1] neg_hi:[0,1]
	v_mov_b32_e32 v44, v34
	v_pk_add_f32 v[32:33], v[44:45], v[30:31]
	v_mov_b32_e32 v36, v33
	v_pk_add_f32 v[36:37], v[32:33], v[36:37]
	v_pk_add_f32 v[38:39], v[18:19], v[36:37]
	v_mov_b32_e32 v35, v41
	v_mov_b32_e32 v33, v38
	v_pk_add_f32 v[40:41], v[32:33], v[34:35] neg_lo:[0,1] neg_hi:[0,1]
	v_mov_b32_e32 v31, v36
	v_sub_f32_e32 v18, v32, v40
	v_pk_add_f32 v[30:31], v[30:31], v[40:41] neg_lo:[0,1] neg_hi:[0,1]
	v_sub_f32_e32 v18, v34, v18
	v_add_f32_e32 v18, v30, v18
	v_add_f32_e32 v18, v18, v31
	;; [unrolled: 1-line block ×3, first 2 shown]
	v_sub_f32_e32 v31, v30, v38
	v_sub_f32_e32 v18, v18, v31
	v_mul_f32_e32 v31, v48, v30
	v_fma_f32 v30, v48, v30, -v31
	v_fmac_f32_e32 v30, v48, v18
	v_add_f32_e32 v18, v31, v30
	v_cmp_class_f32_e64 s[2:3], v31, s40
	v_sub_f32_e32 v32, v18, v31
	v_cndmask_b32_e64 v18, v18, v31, s[2:3]
	v_cmp_eq_f32_e64 s[2:3], s41, v18
	v_cndmask_b32_e64 v31, 0, v27, s[2:3]
	v_sub_f32_e32 v30, v30, v32
	v_sub_f32_e32 v32, v18, v31
	v_mul_f32_e32 v33, 0x3fb8aa3b, v32
	v_fma_f32 v34, v32, s42, -v33
	v_rndne_f32_e32 v35, v33
	v_fmac_f32_e32 v34, 0x32a5705f, v32
	v_sub_f32_e32 v33, v33, v35
	v_add_f32_e32 v33, v33, v34
	v_exp_f32_e32 v33, v33
	v_cvt_i32_f32_e32 v34, v35
	v_cmp_neq_f32_e64 s[2:3], |v18|, s36
	v_cndmask_b32_e64 v18, 0, v30, s[2:3]
	v_cmp_ngt_f32_e64 s[2:3], s43, v32
	v_ldexp_f32 v30, v33, v34
	v_cndmask_b32_e64 v30, 0, v30, s[2:3]
	v_cmp_nlt_f32_e64 s[2:3], s41, v32
	v_add_f32_e32 v18, v31, v18
	v_cndmask_b32_e64 v30, v26, v30, s[2:3]
	v_fma_f32 v18, v30, v18, v30
	v_cmp_class_f32_e64 s[2:3], v30, s40
	v_trunc_f32_e32 v31, v48
	v_cndmask_b32_e64 v18, v18, v30, s[2:3]
	v_cndmask_b32_e64 v30, v46, 1.0, s[0:1]
	v_cmp_eq_f32_e64 s[0:1], v31, v48
	v_mul_f32_e32 v31, 0.5, v48
	v_trunc_f32_e32 v32, v31
	v_cmp_neq_f32_e64 s[2:3], v32, v31
	s_and_b64 s[2:3], s[0:1], s[2:3]
	v_cndmask_b32_e64 v31, 1.0, v30, s[2:3]
	v_bfi_b32 v18, s37, v18, v31
	v_cndmask_b32_e64 v31, v28, v18, s[0:1]
	v_cmp_gt_f32_e64 s[0:1], 0, v30
	v_cndmask_b32_e64 v18, v18, v31, s[0:1]
	v_cndmask_b32_e64 v31, |v47|, 1.0, vcc
	v_cmp_neq_f32_e32 vcc, v48, v31
	v_cmp_gt_f32_e64 s[0:1], 1.0, v49
	s_xor_b64 s[0:1], vcc, s[0:1]
	v_cndmask_b32_e64 v32, v31, 0, s[0:1]
	v_cmp_eq_f32_e32 vcc, 1.0, v49
	v_cmp_eq_f32_e64 s[0:1], 0, v30
	v_cmp_gt_f32_e64 s[6:7], 0, v48
	v_cndmask_b32_e32 v32, v32, v49, vcc
	v_cmp_eq_f32_e32 vcc, s36, v31
	s_xor_b64 s[6:7], s[6:7], s[0:1]
	v_cndmask_b32_e32 v18, v18, v32, vcc
	v_cmp_eq_f32_e32 vcc, s36, v49
	v_cndmask_b32_e64 v31, v26, 0, s[6:7]
	v_cndmask_b32_e64 v32, 0, v30, s[2:3]
	v_bfi_b32 v31, s37, v31, v32
	s_or_b64 vcc, vcc, s[0:1]
	v_cndmask_b32_e32 v18, v18, v31, vcc
	v_cmp_o_f32_e32 vcc, v30, v48
	v_cndmask_b32_e32 v18, v28, v18, vcc
	v_bfe_u32 v30, v18, 16, 1
	v_add3_u32 v30, v18, v30, s44
	v_lshrrev_b32_e32 v30, 16, v30
	v_cmp_o_f32_e32 vcc, v18, v18
	v_cndmask_b32_e32 v18, v29, v30, vcc
	v_mov_b32_e32 v31, s21
	v_add_co_u32_e32 v30, vcc, s20, v8
	v_addc_co_u32_e32 v31, vcc, v7, v31, vcc
	global_store_short v[30:31], v18, off
	s_branch .LBB71_3
.LBB71_20:
	s_mov_b64 s[0:1], 0
.LBB71_21:
	s_andn2_b64 vcc, exec, s[0:1]
	s_cbranch_vccnz .LBB71_25
; %bb.22:
	v_mov_b32_e32 v3, 0
	v_lshlrev_b32_e32 v2, 2, v0
	s_mov_b32 s0, 0
	v_cmp_gt_i64_e32 vcc, s[52:53], v[2:3]
	s_and_saveexec_b64 s[2:3], vcc
	s_cbranch_execz .LBB71_25
; %bb.23:
	s_load_dword s1, s[4:5], 0xc5c
	v_lshlrev_b32_e32 v1, 3, v0
	v_mov_b32_e32 v2, s21
	v_add_co_u32_e32 v4, vcc, s20, v1
	s_waitcnt lgkmcnt(0)
	s_and_b32 s1, s1, 0xffff
	s_mov_b32 s56, 0x31739010
	v_addc_co_u32_e32 v1, vcc, 0, v2, vcc
	s_lshl_b32 s33, s1, 3
	v_add_lshl_u32 v2, v0, s1, 2
	s_lshl_b32 s60, s1, 2
	s_mov_b64 s[54:55], 0
	v_mov_b32_e32 v0, s49
	v_mov_b32_e32 v5, s26
	s_mov_b32 s61, 0x3f2aaaab
	v_mov_b32_e32 v10, 0x3ecccdef
	s_mov_b32 s49, 0x3f2aaaaa
	s_mov_b32 s57, 0xbf2aaaaa
	;; [unrolled: 1-line block ×3, first 2 shown]
	s_movk_i32 s63, 0x204
	s_mov_b32 s64, 0x7f800000
	s_mov_b32 s65, 0x42b17218
	v_mov_b32_e32 v11, 0x37000000
	s_mov_b32 s66, 0x3fb8aa3b
	s_mov_b32 s67, 0xc2ce8ed0
	v_mov_b32_e32 v12, 0x7f800000
	s_brev_b32 s68, -2
	v_mov_b32_e32 v13, 0x7fc00000
	s_movk_i32 s69, 0x7fff
	v_mov_b32_e32 v14, s51
	v_mov_b32_e32 v15, 0x7fc0
	s_mov_b64 s[58:59], 0xffff
	v_mov_b32_e32 v16, s0
	v_mov_b32_e32 v17, s0
	;; [unrolled: 1-line block ×3, first 2 shown]
.LBB71_24:                              ; =>This Inner Loop Header: Depth=1
	v_add_co_u32_e32 v8, vcc, s48, v4
	v_addc_co_u32_e32 v9, vcc, v0, v1, vcc
	global_load_dwordx2 v[8:9], v[8:9], off
	v_mov_b32_e32 v6, 0x3e91f4c4
	s_waitcnt vmcnt(0)
	v_lshlrev_b32_e32 v19, 16, v8
	v_and_b32_e32 v18, 0xffff0000, v8
	v_cmp_eq_f32_e64 s[10:11], 1.0, v19
	v_cndmask_b32_e64 v21, v5, 1.0, s[10:11]
	v_cmp_eq_f32_e64 s[8:9], 1.0, v18
	v_and_b32_e32 v26, 0xffff0000, v9
	v_cndmask_b32_e64 v20, v5, 1.0, s[8:9]
	v_cmp_eq_f32_e64 s[4:5], 0, v21
	v_alignbit_b32 v8, v9, v8, 16
	v_cmp_eq_f32_e64 s[6:7], 1.0, v26
	v_cndmask_b32_e64 v24, |v19|, 1.0, s[4:5]
	v_cmp_eq_f32_e64 s[2:3], 0, v20
	v_and_b32_e32 v25, 0xffff0000, v8
	v_cndmask_b32_e64 v8, v5, 1.0, s[6:7]
	v_cndmask_b32_e64 v23, |v18|, 1.0, s[2:3]
	v_frexp_mant_f32_e32 v31, v24
	v_mul_f32_e32 v28, 0.5, v21
	v_mul_f32_e32 v30, 0.5, v8
	v_frexp_mant_f32_e32 v33, v23
	v_cmp_gt_f32_e64 s[28:29], s61, v31
	v_trunc_f32_e32 v32, v28
	v_trunc_f32_e32 v37, v30
	v_cndmask_b32_e64 v38, 1.0, 2.0, s[28:29]
	v_cmp_gt_f32_e64 s[26:27], s61, v33
	v_cmp_eq_f32_e32 vcc, 1.0, v25
	v_cmp_eq_f32_e64 s[0:1], 0, v8
	v_cmp_neq_f32_e64 s[18:19], v32, v28
	v_cndmask_b32_e64 v28, 1.0, 2.0, s[26:27]
	v_cmp_neq_f32_e64 s[14:15], v37, v30
	v_mul_f32_e32 v30, v31, v38
	v_cndmask_b32_e64 v9, v5, 1.0, vcc
	v_cndmask_b32_e64 v22, |v26|, 1.0, s[0:1]
	v_mul_f32_e32 v28, v33, v28
	v_add_f32_e32 v37, 1.0, v30
	v_mul_f32_e32 v29, 0.5, v20
	v_cmp_eq_f32_e64 s[20:21], 0, v9
	v_frexp_mant_f32_e32 v36, v22
	v_add_f32_e32 v39, 1.0, v28
	v_rcp_f32_e32 v48, v37
	v_trunc_f32_e32 v34, v29
	v_cndmask_b32_e64 v27, |v25|, 1.0, s[20:21]
	v_mul_f32_e32 v35, 0.5, v9
	v_cmp_gt_f32_e64 s[22:23], s61, v36
	v_rcp_f32_e32 v49, v39
	v_cmp_neq_f32_e64 s[16:17], v34, v29
	v_frexp_mant_f32_e32 v32, v27
	v_trunc_f32_e32 v29, v35
	v_cndmask_b32_e64 v34, 1.0, 2.0, s[22:23]
	v_cmp_gt_f32_e64 s[24:25], s61, v32
	v_cmp_neq_f32_e64 s[12:13], v29, v35
	v_mul_f32_e32 v34, v36, v34
	v_add_f32_e32 v29, -1.0, v30
	v_cndmask_b32_e64 v33, 1.0, 2.0, s[24:25]
	v_add_f32_e32 v31, -1.0, v28
	v_add_f32_e32 v44, 1.0, v34
	v_add_f32_e32 v36, -1.0, v37
	v_mul_f32_e32 v51, v29, v48
	v_mul_f32_e32 v32, v32, v33
	v_add_f32_e32 v38, -1.0, v39
	v_add_f32_e32 v40, -1.0, v44
	v_sub_f32_e32 v30, v30, v36
	v_mul_f32_e32 v52, v31, v49
	v_mul_f32_e32 v36, v37, v51
	v_add_f32_e32 v33, -1.0, v34
	v_add_f32_e32 v45, 1.0, v32
	v_rcp_f32_e32 v54, v44
	v_sub_f32_e32 v43, v28, v38
	v_sub_f32_e32 v34, v34, v40
	v_mul_f32_e32 v38, v39, v52
	v_fma_f32 v40, v51, v37, -v36
	v_add_f32_e32 v28, -1.0, v45
	v_rcp_f32_e32 v50, v45
	v_fmac_f32_e32 v40, v51, v30
	v_fma_f32 v42, v52, v39, -v38
	v_add_f32_e32 v35, -1.0, v32
	v_sub_f32_e32 v32, v32, v28
	v_add_f32_e32 v28, v36, v40
	v_fmac_f32_e32 v42, v52, v43
	v_sub_f32_e32 v37, v29, v28
	v_add_f32_e32 v30, v38, v42
	v_mul_f32_e32 v55, v33, v54
	v_mov_b32_e32 v41, v28
	v_pk_add_f32 v[28:29], v[28:29], v[36:37] neg_lo:[0,1] neg_hi:[0,1]
	v_sub_f32_e32 v39, v31, v30
	v_mul_f32_e32 v53, v35, v50
	v_pk_add_f32 v[28:29], v[28:29], v[40:41] neg_lo:[0,1] neg_hi:[0,1]
	v_mul_f32_e32 v40, v44, v55
	v_mov_b32_e32 v43, v30
	v_pk_add_f32 v[30:31], v[30:31], v[38:39] neg_lo:[0,1] neg_hi:[0,1]
	v_pk_add_f32 v[30:31], v[30:31], v[42:43] neg_lo:[0,1] neg_hi:[0,1]
	v_mul_f32_e32 v42, v45, v53
	v_fma_f32 v44, v55, v44, -v40
	v_fmac_f32_e32 v44, v55, v34
	v_fma_f32 v46, v53, v45, -v42
	v_fmac_f32_e32 v46, v53, v32
	v_add_f32_e32 v32, v40, v44
	v_add_f32_e32 v34, v42, v46
	v_sub_f32_e32 v41, v33, v32
	v_mov_b32_e32 v45, v32
	v_sub_f32_e32 v43, v35, v34
	v_pk_add_f32 v[32:33], v[32:33], v[40:41] neg_lo:[0,1] neg_hi:[0,1]
	v_mov_b32_e32 v47, v34
	v_pk_add_f32 v[34:35], v[34:35], v[42:43] neg_lo:[0,1] neg_hi:[0,1]
	v_pk_add_f32 v[32:33], v[32:33], v[44:45] neg_lo:[0,1] neg_hi:[0,1]
	v_add_f32_e32 v38, v28, v29
	v_add_f32_e32 v30, v30, v31
	v_pk_add_f32 v[28:29], v[34:35], v[46:47] neg_lo:[0,1] neg_hi:[0,1]
	v_add_f32_e32 v31, v32, v33
	v_add_f32_e32 v32, v37, v38
	;; [unrolled: 1-line block ×4, first 2 shown]
	v_mul_f32_e32 v29, v48, v32
	v_add_f32_e32 v56, v41, v31
	v_mul_f32_e32 v31, v49, v30
	v_add_f32_e32 v32, v43, v28
	v_add_f32_e32 v28, v51, v29
	;; [unrolled: 1-line block ×3, first 2 shown]
	v_mul_f32_e32 v48, v50, v32
	v_sub_f32_e32 v32, v28, v51
	v_mul_f32_e32 v33, v28, v28
	v_sub_f32_e32 v34, v30, v52
	v_sub_f32_e32 v57, v29, v32
	v_mul_f32_e32 v35, v30, v30
	v_fma_f32 v29, v28, v28, -v33
	v_sub_f32_e32 v60, v31, v34
	v_add_f32_e32 v32, v57, v57
	v_fma_f32 v31, v30, v30, -v35
	v_add_f32_e32 v34, v60, v60
	v_fmac_f32_e32 v29, v28, v32
	v_fmac_f32_e32 v31, v30, v34
	v_add_f32_e32 v32, v33, v29
	v_add_f32_e32 v34, v35, v31
	v_fmac_f32_e32 v6, 0x3e76c4e1, v32
	v_sub_f32_e32 v35, v34, v35
	v_fma_f32 v37, v32, v6, v10
	v_sub_f32_e32 v33, v32, v33
	v_sub_f32_e32 v50, v31, v35
	v_mul_f32_e32 v31, v32, v37
	v_mov_b32_e32 v36, 0x3e91f4c4
	v_sub_f32_e32 v49, v29, v33
	v_fma_f32 v6, v32, v37, -v31
	v_fmac_f32_e32 v36, 0x3e76c4e1, v34
	v_fmac_f32_e32 v6, v49, v37
	v_fma_f32 v29, v34, v36, v10
	v_add_f32_e32 v37, v31, v6
	v_mul_f32_e32 v35, v34, v29
	v_sub_f32_e32 v36, v37, v31
	v_pk_add_f32 v[38:39], v[6:7], v[36:37] neg_lo:[0,1] neg_hi:[0,1]
	v_fma_f32 v6, v34, v29, -v35
	v_pk_add_f32 v[40:41], v[36:37], s[48:49]
	v_fmac_f32_e32 v6, v50, v29
	v_mov_b32_e32 v39, v41
	v_add_f32_e32 v45, v35, v6
	v_pk_add_f32 v[42:43], v[38:39], s[56:57]
	v_sub_f32_e32 v44, v45, v35
	v_sub_f32_e32 v33, v37, v43
	v_mov_b32_e32 v29, v42
	v_pk_add_f32 v[36:37], v[6:7], v[44:45] neg_lo:[0,1] neg_hi:[0,1]
	v_pk_add_f32 v[42:43], v[44:45], s[48:49]
	v_mov_b32_e32 v37, v43
	v_add_f32_e32 v40, v53, v48
	v_pk_add_f32 v[46:47], v[36:37], s[56:57]
	v_sub_f32_e32 v6, v40, v53
	v_sub_f32_e32 v35, v45, v47
	v_mul_f32_e32 v36, v40, v40
	v_sub_f32_e32 v61, v48, v6
	v_pk_mul_f32 v[44:45], v[28:29], v[32:33]
	v_fma_f32 v6, v40, v40, -v36
	v_add_f32_e32 v31, v61, v61
	v_fma_f32 v38, v32, v28, -v44
	v_fmac_f32_e32 v6, v40, v31
	v_fmac_f32_e32 v38, v32, v57
	v_pk_add_f32 v[32:33], v[28:29], v[32:33]
	v_add_f32_e32 v32, v36, v6
	v_sub_f32_e32 v36, v32, v36
	v_sub_f32_e32 v58, v6, v36
	v_mov_b32_e32 v6, 0x3e91f4c4
	v_mov_b32_e32 v45, v33
	v_fmac_f32_e32 v38, v49, v28
	v_fmac_f32_e32 v6, 0x3e76c4e1, v32
	v_mov_b32_e32 v31, v46
	v_pk_add_f32 v[46:47], v[44:45], v[38:39]
	v_fma_f32 v36, v32, v6, v10
	v_sub_f32_e32 v29, v46, v44
	v_mul_f32_e32 v44, v32, v36
	v_fma_f32 v6, v32, v36, -v44
	v_fmac_f32_e32 v6, v58, v36
	v_sub_f32_e32 v36, v41, v47
	v_add_f32_e32 v33, v33, v36
	v_mov_b32_e32 v36, v47
	v_sub_f32_e32 v29, v38, v29
	v_pk_mul_f32 v[38:39], v[46:47], v[36:37]
	v_fma_f32 v42, v46, v47, -v38
	v_fmac_f32_e32 v42, v46, v33
	v_fmac_f32_e32 v42, v29, v47
	v_pk_mul_f32 v[46:47], v[30:31], v[34:35]
	v_fma_f32 v36, v34, v30, -v46
	v_fmac_f32_e32 v36, v34, v60
	v_pk_add_f32 v[34:35], v[30:31], v[34:35]
	v_mov_b32_e32 v47, v35
	v_fmac_f32_e32 v36, v50, v30
	v_pk_add_f32 v[48:49], v[46:47], v[36:37]
	v_sub_f32_e32 v31, v43, v49
	v_mov_b32_e32 v34, v49
	v_sub_f32_e32 v29, v48, v46
	v_add_f32_e32 v31, v35, v31
	v_pk_mul_f32 v[34:35], v[48:49], v[34:35]
	v_add_f32_e32 v45, v44, v6
	v_sub_f32_e32 v29, v36, v29
	v_fma_f32 v36, v48, v49, -v34
	v_sub_f32_e32 v44, v45, v44
	v_fmac_f32_e32 v36, v48, v31
	v_pk_add_f32 v[46:47], v[6:7], v[44:45] neg_lo:[0,1] neg_hi:[0,1]
	v_fmac_f32_e32 v36, v29, v49
	v_pk_add_f32 v[48:49], v[44:45], s[48:49]
	v_mov_b32_e32 v47, v49
	v_pk_add_f32 v[50:51], v[46:47], s[56:57]
	v_sub_f32_e32 v33, v45, v51
	v_cvt_f64_f32_e32 v[44:45], v24
	v_frexp_exp_i32_f64_e32 v6, v[44:45]
	v_subbrev_co_u32_e64 v6, s[28:29], 0, v6, s[28:29]
	v_cvt_f32_i32_e32 v6, v6
	v_ldexp_f32 v29, v28, 1
	v_add_f32_e32 v45, v38, v42
	v_mov_b32_e32 v41, v50
	v_mul_f32_e32 v44, 0x3f317218, v6
	v_fma_f32 v28, v6, s62, -v44
	v_fmac_f32_e32 v28, 0xb102e308, v6
	v_pk_add_f32 v[50:51], v[44:45], v[28:29]
	v_mov_b32_e32 v39, v29
	v_mov_b32_e32 v52, v45
	;; [unrolled: 1-line block ×3, first 2 shown]
	v_pk_add_f32 v[38:39], v[52:53], v[38:39] neg_lo:[0,1] neg_hi:[0,1]
	v_mov_b32_e32 v43, v45
	v_pk_add_f32 v[38:39], v[42:43], v[38:39] neg_lo:[0,1] neg_hi:[0,1]
	v_pk_mul_f32 v[42:43], v[40:41], v[32:33]
	v_fma_f32 v46, v32, v40, -v42
	v_mul_f32_e32 v6, v54, v56
	v_fmac_f32_e32 v46, v32, v61
	v_pk_add_f32 v[32:33], v[40:41], v[32:33]
	v_add_f32_e32 v32, v55, v6
	v_sub_f32_e32 v31, v32, v55
	v_sub_f32_e32 v62, v6, v31
	v_mul_f32_e32 v6, v32, v32
	v_mov_b32_e32 v43, v33
	v_fmac_f32_e32 v46, v58, v40
	v_fma_f32 v31, v32, v32, -v6
	v_add_f32_e32 v35, v62, v62
	v_pk_add_f32 v[52:53], v[42:43], v[46:47]
	v_fmac_f32_e32 v31, v32, v35
	v_sub_f32_e32 v29, v52, v42
	v_add_f32_e32 v42, v6, v31
	v_sub_f32_e32 v6, v42, v6
	v_sub_f32_e32 v41, v31, v6
	v_mov_b32_e32 v6, 0x3e91f4c4
	v_fmac_f32_e32 v6, 0x3e76c4e1, v42
	v_sub_f32_e32 v35, v49, v53
	v_fma_f32 v31, v42, v6, v10
	v_add_f32_e32 v33, v33, v35
	v_mul_f32_e32 v35, v42, v31
	v_fma_f32 v6, v42, v31, -v35
	v_fmac_f32_e32 v6, v41, v31
	v_ldexp_f32 v31, v57, 1
	v_add_f32_e32 v31, v31, v38
	v_mov_b32_e32 v38, v53
	v_add_f32_e32 v45, v31, v39
	v_pk_mul_f32 v[38:39], v[52:53], v[38:39]
	v_sub_f32_e32 v29, v46, v29
	v_fma_f32 v46, v52, v53, -v38
	v_add_f32_e32 v49, v35, v6
	v_fmac_f32_e32 v46, v52, v33
	v_sub_f32_e32 v48, v49, v35
	v_fmac_f32_e32 v46, v29, v53
	v_pk_add_f32 v[52:53], v[6:7], v[48:49] neg_lo:[0,1] neg_hi:[0,1]
	v_pk_add_f32 v[54:55], v[48:49], s[48:49]
	v_mov_b32_e32 v53, v55
	v_pk_add_f32 v[56:57], v[52:53], s[56:57]
	v_sub_f32_e32 v43, v49, v57
	v_cvt_f64_f32_e32 v[48:49], v23
	v_frexp_exp_i32_f64_e32 v6, v[48:49]
	v_subbrev_co_u32_e64 v6, s[26:27], 0, v6, s[26:27]
	v_cvt_f32_i32_e32 v6, v6
	v_ldexp_f32 v31, v30, 1
	v_add_f32_e32 v49, v34, v36
	v_mov_b32_e32 v33, v56
	v_mul_f32_e32 v48, 0x3f317218, v6
	v_fma_f32 v30, v6, s62, -v48
	v_fmac_f32_e32 v30, 0xb102e308, v6
	v_pk_add_f32 v[56:57], v[48:49], v[30:31]
	v_mov_b32_e32 v35, v31
	v_mov_b32_e32 v58, v49
	;; [unrolled: 1-line block ×3, first 2 shown]
	v_pk_add_f32 v[34:35], v[58:59], v[34:35] neg_lo:[0,1] neg_hi:[0,1]
	v_mov_b32_e32 v37, v49
	v_pk_add_f32 v[34:35], v[36:37], v[34:35] neg_lo:[0,1] neg_hi:[0,1]
	v_pk_mul_f32 v[36:37], v[32:33], v[42:43]
	v_fma_f32 v52, v42, v32, -v36
	v_fmac_f32_e32 v52, v42, v62
	v_pk_add_f32 v[42:43], v[32:33], v[42:43]
	v_fmac_f32_e32 v52, v41, v32
	v_mov_b32_e32 v37, v43
	v_pk_add_f32 v[58:59], v[36:37], v[52:53]
	v_sub_f32_e32 v6, v58, v36
	v_sub_f32_e32 v29, v52, v6
	;; [unrolled: 1-line block ×3, first 2 shown]
	v_add_f32_e32 v31, v43, v6
	v_ldexp_f32 v6, v60, 1
	v_cvt_f64_f32_e32 v[36:37], v27
	v_add_f32_e32 v6, v6, v34
	v_frexp_exp_i32_f64_e32 v33, v[36:37]
	v_add_f32_e32 v49, v6, v35
	v_mov_b32_e32 v6, v59
	v_pk_mul_f32 v[34:35], v[58:59], v[6:7]
	v_subbrev_co_u32_e64 v6, s[24:25], 0, v33, s[24:25]
	v_cvt_f32_i32_e32 v6, v6
	v_ldexp_f32 v53, v40, 1
	v_add_f32_e32 v43, v38, v46
	v_mov_b32_e32 v39, v53
	v_mul_f32_e32 v42, 0x3f317218, v6
	v_fma_f32 v52, v6, s62, -v42
	v_fmac_f32_e32 v52, 0xb102e308, v6
	v_pk_add_f32 v[40:41], v[42:43], v[52:53]
	v_mov_b32_e32 v54, v43
	v_mov_b32_e32 v55, v41
	v_pk_add_f32 v[38:39], v[54:55], v[38:39] neg_lo:[0,1] neg_hi:[0,1]
	v_mov_b32_e32 v47, v43
	v_pk_add_f32 v[38:39], v[46:47], v[38:39] neg_lo:[0,1] neg_hi:[0,1]
	v_cvt_f64_f32_e32 v[46:47], v22
	v_frexp_exp_i32_f64_e32 v6, v[46:47]
	v_subbrev_co_u32_e64 v6, s[22:23], 0, v6, s[22:23]
	v_cvt_f32_i32_e32 v6, v6
	v_fma_f32 v36, v58, v59, -v34
	v_fmac_f32_e32 v36, v58, v31
	v_ldexp_f32 v33, v32, 1
	v_mul_f32_e32 v46, 0x3f317218, v6
	v_fma_f32 v32, v6, s62, -v46
	v_fmac_f32_e32 v36, v29, v59
	v_fmac_f32_e32 v32, 0xb102e308, v6
	v_ldexp_f32 v6, v61, 1
	v_add_f32_e32 v47, v34, v36
	v_add_f32_e32 v6, v6, v38
	;; [unrolled: 1-line block ×3, first 2 shown]
	v_pk_add_f32 v[38:39], v[46:47], v[32:33]
	v_mov_b32_e32 v35, v33
	v_mov_b32_e32 v54, v47
	;; [unrolled: 1-line block ×3, first 2 shown]
	v_pk_add_f32 v[34:35], v[54:55], v[34:35] neg_lo:[0,1] neg_hi:[0,1]
	v_mov_b32_e32 v37, v47
	v_ldexp_f32 v6, v62, 1
	v_pk_add_f32 v[34:35], v[36:37], v[34:35] neg_lo:[0,1] neg_hi:[0,1]
	v_add_f32_e32 v6, v6, v34
	v_mov_b32_e32 v29, v50
	v_add_f32_e32 v47, v6, v35
	v_pk_add_f32 v[34:35], v[50:51], v[44:45] neg_lo:[0,1] neg_hi:[0,1]
	v_pk_add_f32 v[36:37], v[50:51], v[44:45]
	v_pk_add_f32 v[54:55], v[28:29], v[34:35] neg_lo:[0,1] neg_hi:[0,1]
	v_mov_b32_e32 v35, v37
	v_pk_add_f32 v[34:35], v[28:29], v[34:35]
	v_mov_b32_e32 v6, v35
	v_mov_b32_e32 v44, v51
	v_pk_add_f32 v[50:51], v[6:7], v[50:51] neg_lo:[0,1] neg_hi:[0,1]
	v_mov_b32_e32 v28, v45
	v_mov_b32_e32 v34, v37
	;; [unrolled: 1-line block ×5, first 2 shown]
	v_pk_add_f32 v[34:35], v[34:35], v[44:45] neg_lo:[0,1] neg_hi:[0,1]
	v_pk_add_f32 v[44:45], v[56:57], v[48:49] neg_lo:[0,1] neg_hi:[0,1]
	v_pk_add_f32 v[50:51], v[56:57], v[48:49]
	v_pk_add_f32 v[36:37], v[36:37], v[30:31] neg_lo:[0,1] neg_hi:[0,1]
	v_pk_add_f32 v[30:31], v[30:31], v[44:45] neg_lo:[0,1] neg_hi:[0,1]
	v_mov_b32_e32 v45, v51
	v_mov_b32_e32 v59, v56
	v_pk_add_f32 v[44:45], v[58:59], v[44:45]
	v_mov_b32_e32 v48, v45
	v_pk_add_f32 v[28:29], v[28:29], v[34:35] neg_lo:[0,1] neg_hi:[0,1]
	v_mov_b32_e32 v34, v57
	v_pk_add_f32 v[56:57], v[48:49], v[56:57] neg_lo:[0,1] neg_hi:[0,1]
	v_mov_b32_e32 v44, v51
	v_mov_b32_e32 v35, v56
	;; [unrolled: 1-line block ×4, first 2 shown]
	v_pk_add_f32 v[50:51], v[50:51], v[30:31] neg_lo:[0,1] neg_hi:[0,1]
	v_mov_b32_e32 v31, v45
	v_pk_add_f32 v[34:35], v[44:45], v[34:35] neg_lo:[0,1] neg_hi:[0,1]
	v_pk_add_f32 v[44:45], v[40:41], v[42:43] neg_lo:[0,1] neg_hi:[0,1]
	v_pk_add_f32 v[56:57], v[40:41], v[42:43]
	v_pk_add_f32 v[36:37], v[36:37], v[28:29]
	v_pk_add_f32 v[52:53], v[52:53], v[44:45] neg_lo:[0,1] neg_hi:[0,1]
	v_mov_b32_e32 v45, v57
	v_mov_b32_e32 v61, v40
	v_mov_b32_e32 v42, v37
	v_pk_add_f32 v[44:45], v[60:61], v[44:45]
	v_mov_b32_e32 v60, v43
	v_pk_add_f32 v[42:43], v[36:37], v[42:43]
	v_pk_add_f32 v[62:63], v[6:7], v[42:43]
	v_mov_b32_e32 v37, v62
	v_mov_b32_e32 v29, v42
	v_pk_add_f32 v[42:43], v[36:37], v[54:55] neg_lo:[0,1] neg_hi:[0,1]
	v_mov_b32_e32 v6, v45
	v_mov_b32_e32 v58, v49
	v_sub_f32_e32 v49, v36, v42
	v_mov_b32_e32 v36, v41
	v_pk_add_f32 v[40:41], v[6:7], v[40:41] neg_lo:[0,1] neg_hi:[0,1]
	v_mov_b32_e32 v44, v57
	v_mov_b32_e32 v37, v40
	v_pk_add_f32 v[28:29], v[28:29], v[42:43] neg_lo:[0,1] neg_hi:[0,1]
	v_mov_b32_e32 v33, v40
	v_mov_b32_e32 v53, v45
	v_pk_add_f32 v[36:37], v[44:45], v[36:37] neg_lo:[0,1] neg_hi:[0,1]
	v_pk_add_f32 v[42:43], v[38:39], v[46:47] neg_lo:[0,1] neg_hi:[0,1]
	v_pk_add_f32 v[44:45], v[38:39], v[46:47]
	v_pk_add_f32 v[34:35], v[58:59], v[34:35] neg_lo:[0,1] neg_hi:[0,1]
	v_pk_add_f32 v[40:41], v[56:57], v[32:33] neg_lo:[0,1] neg_hi:[0,1]
	;; [unrolled: 1-line block ×3, first 2 shown]
	v_mov_b32_e32 v43, v45
	v_mov_b32_e32 v57, v38
	;; [unrolled: 1-line block ×3, first 2 shown]
	v_pk_add_f32 v[42:43], v[56:57], v[42:43]
	v_mov_b32_e32 v56, v47
	v_pk_add_f32 v[46:47], v[50:51], v[34:35]
	v_mov_b32_e32 v40, v47
	v_pk_add_f32 v[50:51], v[46:47], v[40:41]
	v_sub_f32_e32 v33, v54, v49
	v_pk_add_f32 v[48:49], v[48:49], v[50:51]
	v_add_f32_e32 v28, v28, v33
	v_mov_b32_e32 v47, v48
	v_add_f32_e32 v49, v28, v29
	v_pk_add_f32 v[28:29], v[46:47], v[30:31] neg_lo:[0,1] neg_hi:[0,1]
	v_mov_b32_e32 v35, v50
	v_sub_f32_e32 v47, v46, v28
	v_mov_b32_e32 v46, v43
	v_pk_add_f32 v[36:37], v[60:61], v[36:37] neg_lo:[0,1] neg_hi:[0,1]
	v_pk_add_f32 v[28:29], v[34:35], v[28:29] neg_lo:[0,1] neg_hi:[0,1]
	v_mov_b32_e32 v34, v39
	v_pk_add_f32 v[38:39], v[46:47], v[38:39] neg_lo:[0,1] neg_hi:[0,1]
	v_mov_b32_e32 v40, v52
	v_mov_b32_e32 v31, v38
	v_pk_add_f32 v[40:41], v[40:41], v[36:37]
	v_mov_b32_e32 v42, v45
	v_mov_b32_e32 v35, v38
	v_pk_add_f32 v[38:39], v[44:45], v[30:31] neg_lo:[0,1] neg_hi:[0,1]
	v_sub_f32_e32 v45, v30, v47
	v_mov_b32_e32 v30, v41
	v_pk_add_f32 v[30:31], v[40:41], v[30:31]
	v_mov_b32_e32 v33, v43
	v_pk_add_f32 v[34:35], v[42:43], v[34:35] neg_lo:[0,1] neg_hi:[0,1]
	v_pk_add_f32 v[42:43], v[6:7], v[30:31]
	v_cndmask_b32_e64 v44, |v5|, 1.0, s[10:11]
	v_cndmask_b32_e64 v43, |v5|, 1.0, s[8:9]
	v_trunc_f32_e32 v6, v20
	v_cndmask_b32_e64 v47, |v5|, 1.0, s[6:7]
	v_cmp_neq_f32_e64 s[6:7], v21, v44
	v_cmp_gt_f32_e64 s[10:11], 1.0, v24
	v_cndmask_b32_e64 v51, v18, 1.0, s[2:3]
	v_cmp_neq_f32_e64 s[2:3], v20, v43
	v_cmp_gt_f32_e64 s[26:27], 1.0, v23
	v_mov_b32_e32 v37, v30
	v_trunc_f32_e32 v30, v8
	v_cmp_eq_f32_e64 s[8:9], v6, v20
	v_trunc_f32_e32 v6, v9
	s_xor_b64 s[6:7], s[6:7], s[10:11]
	s_xor_b64 s[2:3], s[2:3], s[26:27]
	v_trunc_f32_e32 v38, v21
	v_cndmask_b32_e64 v50, v19, 1.0, s[4:5]
	v_cndmask_b32_e64 v26, v26, 1.0, s[0:1]
	v_cmp_eq_f32_e64 s[0:1], v30, v8
	v_cndmask_b32_e64 v30, v44, 0, s[6:7]
	v_cmp_eq_f32_e64 s[10:11], v6, v9
	v_cndmask_b32_e64 v6, v43, 0, s[2:3]
	v_cmp_eq_f32_e64 s[2:3], 1.0, v24
	v_cmp_gt_f32_e64 s[30:31], 0, v21
	v_cmp_eq_f32_e64 s[22:23], v38, v21
	v_cmp_eq_f32_e64 s[24:25], s64, v24
	v_pk_add_f32 v[18:19], v[56:57], v[34:35] neg_lo:[0,1] neg_hi:[0,1]
	v_cmp_eq_f32_e64 s[28:29], 0, v50
	v_cndmask_b32_e64 v56, v30, v24, s[2:3]
	v_add_f32_e32 v24, v28, v45
	v_mov_b32_e32 v41, v42
	v_mov_b32_e32 v38, v32
	v_cmp_gt_f32_e64 s[34:35], 0, v20
	v_cndmask_b32_e64 v54, |v5|, 1.0, vcc
	v_cmp_neq_f32_e64 s[40:41], v8, v47
	v_cmp_gt_f32_e64 s[42:43], 1.0, v22
	v_cmp_eq_f32_e64 s[44:45], 1.0, v23
	v_cmp_eq_f32_e64 s[26:27], 0, v51
	v_cndmask_b32_e64 v55, v25, 1.0, s[20:21]
	v_add_f32_e32 v45, v24, v29
	v_pk_add_f32 v[24:25], v[40:41], v[52:53] neg_lo:[0,1] neg_hi:[0,1]
	s_xor_b64 s[30:31], s[30:31], s[28:29]
	v_pk_add_f32 v[28:29], v[38:39], v[18:19]
	v_cmp_gt_f32_e64 s[36:37], 0, v8
	v_cmp_neq_f32_e64 s[20:21], v9, v54
	v_cmp_gt_f32_e64 s[46:47], 1.0, v27
	s_xor_b64 s[40:41], s[40:41], s[42:43]
	v_cmp_eq_f32_e64 s[2:3], 0, v26
	v_sub_f32_e32 v30, v40, v24
	v_pk_add_f32 v[24:25], v[36:37], v[24:25] neg_lo:[0,1] neg_hi:[0,1]
	v_cndmask_b32_e64 v36, v12, 0, s[30:31]
	s_and_b64 s[30:31], s[8:9], s[16:17]
	v_cndmask_b32_e64 v41, v6, v23, s[44:45]
	s_xor_b64 s[16:17], s[34:35], s[26:27]
	v_mov_b32_e32 v6, v29
	v_cmp_eq_f32_e64 s[4:5], s64, v23
	v_cndmask_b32_e64 v57, v47, 0, s[40:41]
	v_cmp_eq_f32_e64 s[40:41], 1.0, v22
	v_cndmask_b32_e64 v23, v12, 0, s[16:17]
	s_xor_b64 s[16:17], s[20:21], s[46:47]
	v_sub_f32_e32 v38, v52, v30
	v_pk_add_f32 v[30:31], v[28:29], v[6:7]
	s_xor_b64 s[20:21], s[36:37], s[2:3]
	v_cmp_gt_f32_e64 s[38:39], 0, v9
	v_cmp_eq_f32_e32 vcc, s64, v22
	s_and_b64 s[18:19], s[22:23], s[18:19]
	v_pk_add_f32 v[34:35], v[46:47], v[30:31]
	v_cndmask_b32_e64 v6, v54, 0, s[16:17]
	v_cmp_eq_f32_e64 s[16:17], 0, v55
	s_and_b64 s[14:15], s[0:1], s[14:15]
	v_cndmask_b32_e64 v31, v57, v22, s[40:41]
	v_cndmask_b32_e64 v22, v12, 0, s[20:21]
	v_cmp_eq_f32_e64 s[20:21], 1.0, v27
	v_cndmask_b32_e64 v29, 0, v51, s[30:31]
	v_cmp_eq_f32_e64 s[6:7], s64, v27
	v_mov_b32_e32 v19, v30
	v_cndmask_b32_e64 v30, 1.0, v26, s[14:15]
	v_cndmask_b32_e64 v6, v6, v27, s[20:21]
	v_cndmask_b32_e64 v27, 0, v50, s[18:19]
	v_bfi_b32 v35, s68, v23, v29
	v_cndmask_b32_e64 v23, 0, v26, s[14:15]
	s_and_b64 s[12:13], s[10:11], s[12:13]
	s_xor_b64 s[14:15], s[38:39], s[16:17]
	v_bfi_b32 v27, s68, v36, v27
	v_bfi_b32 v36, s68, v22, v23
	v_cndmask_b32_e64 v22, v12, 0, s[14:15]
	v_cndmask_b32_e64 v23, 0, v55, s[12:13]
	v_bfi_b32 v46, s68, v22, v23
	v_add_f32_e32 v22, v62, v49
	v_sub_f32_e32 v23, v22, v62
	v_mul_f32_e32 v29, v21, v22
	v_sub_f32_e32 v23, v49, v23
	v_fma_f32 v22, v21, v22, -v29
	v_fmac_f32_e32 v22, v21, v23
	v_cndmask_b32_e64 v39, 1.0, v55, s[12:13]
	v_add_f32_e32 v23, v29, v22
	v_cmp_class_f32_e64 s[12:13], v29, s63
	v_sub_f32_e32 v49, v23, v29
	v_cndmask_b32_e64 v23, v23, v29, s[12:13]
	v_add_f32_e32 v29, v48, v45
	v_sub_f32_e32 v48, v29, v48
	v_sub_f32_e32 v45, v45, v48
	v_mul_f32_e32 v48, v20, v29
	v_sub_f32_e32 v22, v22, v49
	v_fma_f32 v49, v20, v29, -v48
	v_cmp_eq_f32_e64 s[12:13], s65, v23
	v_fmac_f32_e32 v49, v20, v45
	v_cndmask_b32_e64 v45, 0, v11, s[12:13]
	v_add_f32_e32 v24, v24, v38
	v_cmp_neq_f32_e64 s[12:13], |v23|, s64
	v_cndmask_b32_e64 v40, 1.0, v50, s[18:19]
	v_cndmask_b32_e64 v38, 0, v22, s[12:13]
	v_add_f32_e32 v53, v24, v25
	v_add_co_u32_e64 v24, s[12:13], s50, v4
	v_add_co_u32_e64 v4, s[18:19], s33, v4
	v_mov_b32_e32 v29, v34
	v_addc_co_u32_e64 v25, s[12:13], v14, v1, s[12:13]
	v_addc_co_u32_e64 v1, s[18:19], v1, v16, s[18:19]
	v_sub_f32_e32 v52, v23, v45
	v_pk_add_f32 v[22:23], v[28:29], v[32:33] neg_lo:[0,1] neg_hi:[0,1]
	v_cmp_le_i64_e64 s[12:13], s[52:53], v[2:3]
	v_cmp_lt_u64_e64 s[14:15], s[58:59], v[2:3]
	v_add_co_u32_e64 v2, s[18:19], s60, v2
	v_sub_f32_e32 v28, v28, v22
	v_addc_co_u32_e64 v3, s[18:19], v3, v17, s[18:19]
	s_or_b64 s[18:19], s[12:13], s[14:15]
	v_pk_add_f32 v[18:19], v[18:19], v[22:23] neg_lo:[0,1] neg_hi:[0,1]
	v_mul_f32_e32 v22, 0x3fb8aa3b, v52
	v_add_f32_e32 v23, v48, v49
	v_sub_f32_e32 v28, v32, v28
	v_add_f32_e32 v32, v42, v53
	v_cmp_class_f32_e64 s[12:13], v48, s63
	v_add_f32_e32 v29, v45, v38
	v_sub_f32_e32 v33, v23, v48
	v_cndmask_b32_e64 v23, v23, v48, s[12:13]
	v_fma_f32 v38, v52, s66, -v22
	v_sub_f32_e32 v42, v32, v42
	v_rndne_f32_e32 v45, v22
	v_mul_f32_e32 v48, v9, v32
	v_fmac_f32_e32 v38, 0x32a5705f, v52
	v_sub_f32_e32 v22, v22, v45
	v_sub_f32_e32 v42, v53, v42
	v_cmp_eq_f32_e64 s[12:13], s65, v23
	v_fma_f32 v32, v9, v32, -v48
	v_add_f32_e32 v18, v18, v28
	v_sub_f32_e32 v33, v49, v33
	v_cndmask_b32_e64 v49, 0, v11, s[12:13]
	v_cmp_neq_f32_e64 s[12:13], |v23|, s64
	v_add_f32_e32 v22, v22, v38
	v_fmac_f32_e32 v32, v9, v42
	v_add_f32_e32 v18, v18, v19
	v_cvt_i32_f32_e32 v45, v45
	v_cndmask_b32_e64 v28, 0, v33, s[12:13]
	v_sub_f32_e32 v23, v23, v49
	v_exp_f32_e32 v19, v22
	v_add_f32_e32 v33, v48, v32
	v_add_f32_e32 v38, v34, v18
	v_cmp_class_f32_e64 s[12:13], v48, s63
	v_add_f32_e32 v22, v49, v28
	v_mul_f32_e32 v28, 0x3fb8aa3b, v23
	v_sub_f32_e32 v49, v33, v48
	v_cndmask_b32_e64 v33, v33, v48, s[12:13]
	v_sub_f32_e32 v34, v38, v34
	v_mul_f32_e32 v53, v8, v38
	v_fma_f32 v42, v23, s66, -v28
	v_rndne_f32_e32 v48, v28
	v_cmp_eq_f32_e64 s[12:13], s65, v33
	v_sub_f32_e32 v18, v18, v34
	v_fma_f32 v34, v8, v38, -v53
	v_fmac_f32_e32 v42, 0x32a5705f, v23
	v_sub_f32_e32 v28, v28, v48
	v_sub_f32_e32 v32, v32, v49
	v_cndmask_b32_e64 v49, 0, v11, s[12:13]
	v_cmp_neq_f32_e64 s[12:13], |v33|, s64
	v_fmac_f32_e32 v34, v8, v18
	v_add_f32_e32 v28, v28, v42
	v_cndmask_b32_e64 v32, 0, v32, s[12:13]
	v_sub_f32_e32 v33, v33, v49
	v_ldexp_f32 v18, v19, v45
	v_add_f32_e32 v38, v53, v34
	v_cmp_class_f32_e64 s[12:13], v53, s63
	v_cmp_ngt_f32_e64 s[14:15], s67, v52
	v_cvt_i32_f32_e32 v48, v48
	v_exp_f32_e32 v19, v28
	v_add_f32_e32 v28, v49, v32
	v_mul_f32_e32 v32, 0x3fb8aa3b, v33
	v_cndmask_b32_e64 v18, 0, v18, s[14:15]
	v_sub_f32_e32 v49, v38, v53
	v_cndmask_b32_e64 v38, v38, v53, s[12:13]
	v_cmp_nlt_f32_e64 s[12:13], s65, v52
	v_fma_f32 v42, v33, s66, -v32
	v_rndne_f32_e32 v45, v32
	v_cndmask_b32_e64 v18, v12, v18, s[12:13]
	v_cmp_eq_f32_e64 s[12:13], s65, v38
	v_fmac_f32_e32 v42, 0x32a5705f, v33
	v_sub_f32_e32 v32, v32, v45
	v_sub_f32_e32 v34, v34, v49
	v_cndmask_b32_e64 v49, 0, v11, s[12:13]
	v_cmp_neq_f32_e64 s[12:13], |v38|, s64
	v_fma_f32 v29, v18, v29, v18
	v_add_f32_e32 v32, v32, v42
	v_cndmask_b32_e64 v34, 0, v34, s[12:13]
	v_sub_f32_e32 v38, v38, v49
	v_cmp_class_f32_e64 s[12:13], v18, s63
	v_cvt_i32_f32_e32 v45, v45
	v_cndmask_b32_e64 v18, v29, v18, s[12:13]
	v_ldexp_f32 v19, v19, v48
	v_exp_f32_e32 v29, v32
	v_add_f32_e32 v32, v49, v34
	v_mul_f32_e32 v34, 0x3fb8aa3b, v38
	v_cmp_ngt_f32_e64 s[12:13], s67, v23
	v_bfi_b32 v18, s68, v18, v40
	v_cndmask_b32_e64 v19, 0, v19, s[12:13]
	v_cmp_nlt_f32_e64 s[12:13], s65, v23
	v_fma_f32 v23, v38, s66, -v34
	v_rndne_f32_e32 v40, v34
	v_cndmask_b32_e64 v42, v13, v18, s[22:23]
	v_cndmask_b32_e64 v19, v12, v19, s[12:13]
	v_fmac_f32_e32 v23, 0x32a5705f, v38
	v_sub_f32_e32 v34, v34, v40
	v_cmp_gt_f32_e64 s[12:13], 0, v50
	v_cndmask_b32_e64 v18, v18, v42, s[12:13]
	v_fma_f32 v22, v19, v22, v19
	v_cmp_class_f32_e64 s[12:13], v19, s63
	v_add_f32_e32 v23, v34, v23
	v_cndmask_b32_e64 v37, 1.0, v51, s[30:31]
	v_cvt_i32_f32_e32 v40, v40
	v_cmp_eq_f32_e64 s[14:15], s64, v44
	v_cndmask_b32_e64 v19, v22, v19, s[12:13]
	v_ldexp_f32 v22, v29, v45
	v_cmp_ngt_f32_e64 s[12:13], s67, v33
	v_exp_f32_e32 v23, v23
	v_cndmask_b32_e64 v18, v18, v56, s[14:15]
	s_or_b64 s[14:15], s[24:25], s[28:29]
	v_bfi_b32 v19, s68, v19, v37
	v_cndmask_b32_e64 v22, 0, v22, s[12:13]
	v_cmp_nlt_f32_e64 s[12:13], s65, v33
	v_cndmask_b32_e64 v18, v18, v27, s[14:15]
	v_cmp_o_f32_e64 s[14:15], v50, v21
	v_cndmask_b32_e64 v21, v13, v19, s[8:9]
	v_cndmask_b32_e64 v22, v12, v22, s[12:13]
	v_cmp_gt_f32_e64 s[8:9], 0, v51
	v_cndmask_b32_e64 v18, v13, v18, s[14:15]
	v_cndmask_b32_e64 v19, v19, v21, s[8:9]
	v_fma_f32 v21, v22, v28, v22
	v_cmp_class_f32_e64 s[8:9], v22, s63
	v_cmp_eq_f32_e64 s[12:13], s64, v43
	v_bfe_u32 v27, v18, 16, 1
	v_cndmask_b32_e64 v19, v19, v41, s[12:13]
	v_cndmask_b32_e64 v21, v21, v22, s[8:9]
	v_ldexp_f32 v22, v23, v40
	v_cmp_ngt_f32_e64 s[8:9], s67, v38
	s_or_b64 s[4:5], s[4:5], s[26:27]
	v_add3_u32 v27, v18, v27, s69
	v_cndmask_b32_e64 v19, v19, v35, s[4:5]
	v_bfi_b32 v21, s68, v21, v39
	v_cndmask_b32_e64 v22, 0, v22, s[8:9]
	v_cmp_nlt_f32_e64 s[4:5], s65, v38
	v_cmp_o_f32_e64 s[12:13], v51, v20
	v_lshrrev_b32_e32 v23, 16, v27
	v_cmp_o_f32_e64 s[8:9], v18, v18
	v_cndmask_b32_e64 v18, v13, v19, s[12:13]
	v_cndmask_b32_e64 v19, v13, v21, s[10:11]
	;; [unrolled: 1-line block ×3, first 2 shown]
	v_cmp_gt_f32_e64 s[4:5], 0, v55
	v_cndmask_b32_e64 v22, v15, v23, s[8:9]
	v_cndmask_b32_e64 v19, v21, v19, s[4:5]
	v_fma_f32 v21, v20, v32, v20
	v_cmp_class_f32_e64 s[4:5], v20, s63
	v_cmp_eq_f32_e64 s[8:9], s64, v54
	v_cndmask_b32_e64 v6, v19, v6, s[8:9]
	v_cndmask_b32_e64 v19, v21, v20, s[4:5]
	v_bfi_b32 v19, s68, v19, v30
	v_bfe_u32 v23, v18, 16, 1
	s_or_b64 s[4:5], s[6:7], s[16:17]
	v_cmp_o_f32_e64 s[6:7], v55, v9
	v_cndmask_b32_e64 v9, v13, v19, s[0:1]
	v_cmp_gt_f32_e64 s[0:1], 0, v26
	v_add3_u32 v23, v18, v23, s69
	v_cndmask_b32_e64 v6, v6, v46, s[4:5]
	v_cndmask_b32_e64 v9, v19, v9, s[0:1]
	v_cmp_eq_f32_e64 s[0:1], s64, v47
	v_and_b32_e32 v20, 0xffff0000, v23
	v_cmp_o_f32_e64 s[4:5], v18, v18
	v_cndmask_b32_e64 v6, v13, v6, s[6:7]
	v_cndmask_b32_e64 v9, v9, v31, s[0:1]
	s_or_b64 vcc, vcc, s[2:3]
	v_cndmask_b32_e64 v18, v13, v20, s[4:5]
	v_bfe_u32 v20, v6, 16, 1
	v_cndmask_b32_e32 v9, v9, v36, vcc
	v_cmp_o_f32_e64 s[0:1], v26, v8
	v_add3_u32 v19, v6, v20, s69
	v_cmp_o_f32_e32 vcc, v6, v6
	v_cndmask_b32_e64 v6, v13, v9, s[0:1]
	v_bfe_u32 v9, v6, 16, 1
	v_lshrrev_b32_e32 v19, 16, v19
	v_add3_u32 v9, v6, v9, s69
	v_cndmask_b32_e32 v8, v15, v19, vcc
	v_and_b32_e32 v9, 0xffff0000, v9
	v_cmp_o_f32_e32 vcc, v6, v6
	v_or_b32_e32 v18, v22, v18
	s_and_b64 s[2:3], exec, s[18:19]
	v_cndmask_b32_e32 v6, v13, v9, vcc
	v_or3_b32 v18, v18, 0, 0
	s_or_b64 s[54:55], s[2:3], s[54:55]
	v_or3_b32 v19, 0, v8, v6
	global_store_dwordx2 v[24:25], v[18:19], off
	s_andn2_b64 exec, exec, s[54:55]
	s_cbranch_execnz .LBB71_24
.LBB71_25:
	s_endpgm
	.section	.rodata,"a",@progbits
	.p2align	6, 0x0
	.amdhsa_kernel _ZN2at6native12_GLOBAL__N_125multi_tensor_apply_kernelINS1_18TensorListMetadataILi2EEENS1_21BinaryOpScalarFunctorIN3c108BFloat16ELi2ELi1ELi1EEEJNS1_13power_functorIfEEfEEEvT_T0_DpT1_
		.amdhsa_group_segment_fixed_size 0
		.amdhsa_private_segment_fixed_size 0
		.amdhsa_kernarg_size 3408
		.amdhsa_user_sgpr_count 6
		.amdhsa_user_sgpr_private_segment_buffer 1
		.amdhsa_user_sgpr_dispatch_ptr 0
		.amdhsa_user_sgpr_queue_ptr 0
		.amdhsa_user_sgpr_kernarg_segment_ptr 1
		.amdhsa_user_sgpr_dispatch_id 0
		.amdhsa_user_sgpr_flat_scratch_init 0
		.amdhsa_user_sgpr_kernarg_preload_length 0
		.amdhsa_user_sgpr_kernarg_preload_offset 0
		.amdhsa_user_sgpr_private_segment_size 0
		.amdhsa_uses_dynamic_stack 0
		.amdhsa_system_sgpr_private_segment_wavefront_offset 0
		.amdhsa_system_sgpr_workgroup_id_x 1
		.amdhsa_system_sgpr_workgroup_id_y 0
		.amdhsa_system_sgpr_workgroup_id_z 0
		.amdhsa_system_sgpr_workgroup_info 0
		.amdhsa_system_vgpr_workitem_id 0
		.amdhsa_next_free_vgpr 64
		.amdhsa_next_free_sgpr 70
		.amdhsa_accum_offset 64
		.amdhsa_reserve_vcc 1
		.amdhsa_reserve_flat_scratch 0
		.amdhsa_float_round_mode_32 0
		.amdhsa_float_round_mode_16_64 0
		.amdhsa_float_denorm_mode_32 3
		.amdhsa_float_denorm_mode_16_64 3
		.amdhsa_dx10_clamp 1
		.amdhsa_ieee_mode 1
		.amdhsa_fp16_overflow 0
		.amdhsa_tg_split 0
		.amdhsa_exception_fp_ieee_invalid_op 0
		.amdhsa_exception_fp_denorm_src 0
		.amdhsa_exception_fp_ieee_div_zero 0
		.amdhsa_exception_fp_ieee_overflow 0
		.amdhsa_exception_fp_ieee_underflow 0
		.amdhsa_exception_fp_ieee_inexact 0
		.amdhsa_exception_int_div_zero 0
	.end_amdhsa_kernel
	.section	.text._ZN2at6native12_GLOBAL__N_125multi_tensor_apply_kernelINS1_18TensorListMetadataILi2EEENS1_21BinaryOpScalarFunctorIN3c108BFloat16ELi2ELi1ELi1EEEJNS1_13power_functorIfEEfEEEvT_T0_DpT1_,"axG",@progbits,_ZN2at6native12_GLOBAL__N_125multi_tensor_apply_kernelINS1_18TensorListMetadataILi2EEENS1_21BinaryOpScalarFunctorIN3c108BFloat16ELi2ELi1ELi1EEEJNS1_13power_functorIfEEfEEEvT_T0_DpT1_,comdat
.Lfunc_end71:
	.size	_ZN2at6native12_GLOBAL__N_125multi_tensor_apply_kernelINS1_18TensorListMetadataILi2EEENS1_21BinaryOpScalarFunctorIN3c108BFloat16ELi2ELi1ELi1EEEJNS1_13power_functorIfEEfEEEvT_T0_DpT1_, .Lfunc_end71-_ZN2at6native12_GLOBAL__N_125multi_tensor_apply_kernelINS1_18TensorListMetadataILi2EEENS1_21BinaryOpScalarFunctorIN3c108BFloat16ELi2ELi1ELi1EEEJNS1_13power_functorIfEEfEEEvT_T0_DpT1_
                                        ; -- End function
	.section	.AMDGPU.csdata,"",@progbits
; Kernel info:
; codeLenInByte = 10336
; NumSgprs: 74
; NumVgprs: 64
; NumAgprs: 0
; TotalNumVgprs: 64
; ScratchSize: 0
; MemoryBound: 0
; FloatMode: 240
; IeeeMode: 1
; LDSByteSize: 0 bytes/workgroup (compile time only)
; SGPRBlocks: 9
; VGPRBlocks: 7
; NumSGPRsForWavesPerEU: 74
; NumVGPRsForWavesPerEU: 64
; AccumOffset: 64
; Occupancy: 8
; WaveLimiterHint : 0
; COMPUTE_PGM_RSRC2:SCRATCH_EN: 0
; COMPUTE_PGM_RSRC2:USER_SGPR: 6
; COMPUTE_PGM_RSRC2:TRAP_HANDLER: 0
; COMPUTE_PGM_RSRC2:TGID_X_EN: 1
; COMPUTE_PGM_RSRC2:TGID_Y_EN: 0
; COMPUTE_PGM_RSRC2:TGID_Z_EN: 0
; COMPUTE_PGM_RSRC2:TIDIG_COMP_CNT: 0
; COMPUTE_PGM_RSRC3_GFX90A:ACCUM_OFFSET: 15
; COMPUTE_PGM_RSRC3_GFX90A:TG_SPLIT: 0
	.section	.text._ZN2at6native12_GLOBAL__N_125multi_tensor_apply_kernelINS1_18TensorListMetadataILi2EEENS1_21BinaryOpScalarFunctorIhLi2ELi1ELi1EEEJNS1_21reverse_power_functorIhEEhEEEvT_T0_DpT1_,"axG",@progbits,_ZN2at6native12_GLOBAL__N_125multi_tensor_apply_kernelINS1_18TensorListMetadataILi2EEENS1_21BinaryOpScalarFunctorIhLi2ELi1ELi1EEEJNS1_21reverse_power_functorIhEEhEEEvT_T0_DpT1_,comdat
	.globl	_ZN2at6native12_GLOBAL__N_125multi_tensor_apply_kernelINS1_18TensorListMetadataILi2EEENS1_21BinaryOpScalarFunctorIhLi2ELi1ELi1EEEJNS1_21reverse_power_functorIhEEhEEEvT_T0_DpT1_ ; -- Begin function _ZN2at6native12_GLOBAL__N_125multi_tensor_apply_kernelINS1_18TensorListMetadataILi2EEENS1_21BinaryOpScalarFunctorIhLi2ELi1ELi1EEEJNS1_21reverse_power_functorIhEEhEEEvT_T0_DpT1_
	.p2align	8
	.type	_ZN2at6native12_GLOBAL__N_125multi_tensor_apply_kernelINS1_18TensorListMetadataILi2EEENS1_21BinaryOpScalarFunctorIhLi2ELi1ELi1EEEJNS1_21reverse_power_functorIhEEhEEEvT_T0_DpT1_,@function
_ZN2at6native12_GLOBAL__N_125multi_tensor_apply_kernelINS1_18TensorListMetadataILi2EEENS1_21BinaryOpScalarFunctorIhLi2ELi1ELi1EEEJNS1_21reverse_power_functorIhEEhEEEvT_T0_DpT1_: ; @_ZN2at6native12_GLOBAL__N_125multi_tensor_apply_kernelINS1_18TensorListMetadataILi2EEENS1_21BinaryOpScalarFunctorIhLi2ELi1ELi1EEEJNS1_21reverse_power_functorIhEEhEEEvT_T0_DpT1_
; %bb.0:
	v_mov_b32_e32 v1, s6
	global_load_ubyte v1, v1, s[4:5] offset:1536
	s_load_dword s0, s[4:5], 0xc48
	s_mul_i32 s2, s6, 3
	s_mul_hi_u32 s1, s6, 3
	s_waitcnt lgkmcnt(0)
	s_lshr_b32 s22, s0, 16
	s_add_u32 s0, s4, s6
	s_addc_u32 s3, s5, 0
	s_add_u32 s0, s0, s2
	s_addc_u32 s1, s3, s1
	s_load_dword s0, s[0:1], 0x740
	s_waitcnt vmcnt(0)
	v_readfirstlane_b32 s2, v1
	s_lshl_b32 s1, s2, 3
	s_load_dwordx2 s[2:3], s[4:5], s1 offset:0x0
	s_load_dwordx2 s[6:7], s[4:5], s1 offset:0x400
	;; [unrolled: 1-line block ×3, first 2 shown]
	s_waitcnt lgkmcnt(0)
	s_ashr_i32 s1, s0, 31
	s_lshl_b64 s[0:1], s[0:1], 16
	s_add_u32 s10, s2, s0
	s_addc_u32 s11, s3, s1
	s_add_u32 s23, s8, s0
	s_addc_u32 s24, s9, s1
	s_or_b64 s[2:3], s[6:7], s[10:11]
	s_or_b32 s2, s23, s2
	s_and_b32 s2, s2, 3
	s_sub_u32 s12, s6, s0
	s_subb_u32 s13, s7, s1
	s_cmp_eq_u32 s2, 0
	s_mov_b64 s[0:1], -1
	s_cbranch_scc1 .LBB72_37
; %bb.1:
	v_cmp_lt_i64_e64 s[0:1], s[12:13], 1
	s_and_b64 vcc, exec, s[0:1]
	s_cbranch_vccnz .LBB72_36
; %bb.2:
	s_load_dword s0, s[4:5], 0xc5c
	v_mov_b32_e32 v2, 0x10000
	v_mov_b32_e32 v3, 0
	v_cmp_lt_u64_e32 vcc, s[12:13], v[2:3]
	s_mov_b32 s2, 0
	s_waitcnt lgkmcnt(0)
	s_and_b32 s25, s0, 0xffff
	s_and_b64 s[0:1], vcc, exec
	v_mov_b32_e32 v1, 0
	s_cselect_b32 s15, s13, 0
	s_cselect_b32 s14, s12, 0x10000
	s_lshl_b32 s26, s25, 1
	s_mul_i32 s27, s25, 3
	s_lshl_b32 s28, s25, 2
	s_mov_b64 s[16:17], 0
	v_mov_b32_e32 v12, s2
	v_mov_b32_e32 v13, s2
	;; [unrolled: 1-line block ×3, first 2 shown]
	v_pk_mov_b32 v[2:3], s[12:13], s[12:13] op_sel:[0,1]
	v_mov_b32_e32 v15, 1
	v_mov_b32_e32 v16, 2
	s_branch .LBB72_4
.LBB72_3:                               ;   in Loop: Header=BB72_4 Depth=1
	s_or_b64 exec, exec, s[0:1]
	s_add_u32 s16, s16, s28
	v_mov_b32_e32 v4, 0xffff
	s_addc_u32 s17, s17, 0
	v_mov_b32_e32 v5, 0
	v_cmp_ge_i64_e32 vcc, s[16:17], v[2:3]
	v_cmp_gt_u64_e64 s[0:1], s[16:17], v[4:5]
	s_or_b64 s[0:1], vcc, s[0:1]
	s_and_b64 vcc, exec, s[0:1]
	s_cbranch_vccnz .LBB72_36
.LBB72_4:                               ; =>This Loop Header: Depth=1
                                        ;     Child Loop BB72_14 Depth 2
                                        ;     Child Loop BB72_18 Depth 2
	;; [unrolled: 1-line block ×4, first 2 shown]
	v_mov_b32_e32 v5, s17
	v_add_co_u32_e32 v4, vcc, s16, v0
	v_addc_co_u32_e32 v5, vcc, 0, v5, vcc
	v_cmp_gt_u64_e32 vcc, s[14:15], v[4:5]
	v_mov_b32_e32 v19, 0
	s_and_saveexec_b64 s[2:3], vcc
	s_cbranch_execz .LBB72_6
; %bb.5:                                ;   in Loop: Header=BB72_4 Depth=1
	v_mov_b32_e32 v7, s11
	v_add_co_u32_e64 v6, s[0:1], s10, v4
	v_addc_co_u32_e64 v7, s[0:1], v7, v5, s[0:1]
	global_load_ubyte v19, v[6:7], off
.LBB72_6:                               ;   in Loop: Header=BB72_4 Depth=1
	s_or_b64 exec, exec, s[2:3]
	v_add_co_u32_e64 v6, s[0:1], s25, v4
	v_addc_co_u32_e64 v7, s[0:1], v5, v12, s[0:1]
	v_cmp_gt_u64_e64 s[0:1], s[14:15], v[6:7]
	v_mov_b32_e32 v21, 0
	s_and_saveexec_b64 s[6:7], s[0:1]
	s_cbranch_execz .LBB72_8
; %bb.7:                                ;   in Loop: Header=BB72_4 Depth=1
	v_mov_b32_e32 v9, s11
	v_add_co_u32_e64 v8, s[2:3], s10, v6
	v_addc_co_u32_e64 v9, s[2:3], v9, v7, s[2:3]
	global_load_ubyte v21, v[8:9], off
.LBB72_8:                               ;   in Loop: Header=BB72_4 Depth=1
	s_or_b64 exec, exec, s[6:7]
	v_add_co_u32_e64 v8, s[2:3], s26, v4
	v_addc_co_u32_e64 v9, s[2:3], v5, v13, s[2:3]
	v_cmp_gt_u64_e64 s[2:3], s[14:15], v[8:9]
	v_mov_b32_e32 v17, 0
	v_mov_b32_e32 v20, 0
	s_and_saveexec_b64 s[8:9], s[2:3]
	s_cbranch_execz .LBB72_10
; %bb.9:                                ;   in Loop: Header=BB72_4 Depth=1
	v_mov_b32_e32 v11, s11
	v_add_co_u32_e64 v10, s[6:7], s10, v8
	v_addc_co_u32_e64 v11, s[6:7], v11, v9, s[6:7]
	global_load_ubyte v20, v[10:11], off
.LBB72_10:                              ;   in Loop: Header=BB72_4 Depth=1
	s_or_b64 exec, exec, s[8:9]
	v_add_co_u32_e64 v10, s[6:7], s27, v4
	v_addc_co_u32_e64 v11, s[6:7], v5, v14, s[6:7]
	v_cmp_gt_u64_e64 s[6:7], s[14:15], v[10:11]
	s_and_saveexec_b64 s[18:19], s[6:7]
	s_cbranch_execz .LBB72_12
; %bb.11:                               ;   in Loop: Header=BB72_4 Depth=1
	v_mov_b32_e32 v17, s11
	v_add_co_u32_e64 v22, s[8:9], s10, v10
	v_addc_co_u32_e64 v23, s[8:9], v17, v11, s[8:9]
	global_load_ubyte v17, v[22:23], off
.LBB72_12:                              ;   in Loop: Header=BB72_4 Depth=1
	s_or_b64 exec, exec, s[18:19]
	s_waitcnt vmcnt(0)
	v_cmp_ne_u16_sdwa s[8:9], v19, v1 src0_sel:BYTE_0 src1_sel:DWORD
	v_mov_b32_e32 v18, 1
	s_and_saveexec_b64 s[18:19], s[8:9]
	s_cbranch_execz .LBB72_16
; %bb.13:                               ;   in Loop: Header=BB72_4 Depth=1
	s_mov_b64 s[20:21], 0
	v_mov_b32_e32 v18, 1
	s_mov_b32 s29, s22
.LBB72_14:                              ;   Parent Loop BB72_4 Depth=1
                                        ; =>  This Inner Loop Header: Depth=2
	v_and_b32_e32 v22, 1, v19
	v_mov_b32_e32 v23, s29
	v_cmp_eq_u32_e64 s[8:9], 1, v22
	v_cndmask_b32_e64 v22, 1, v23, s[8:9]
	s_and_b32 s8, s29, 0xff
	v_mul_lo_u16_e32 v18, v22, v18
	v_lshrrev_b16_sdwa v22, v15, v19 dst_sel:DWORD dst_unused:UNUSED_PAD src0_sel:DWORD src1_sel:BYTE_0
	s_mul_i32 s29, s8, s8
	v_cmp_lt_u16_sdwa s[8:9], v19, v16 src0_sel:BYTE_0 src1_sel:DWORD
	s_or_b64 s[20:21], s[8:9], s[20:21]
	v_mov_b32_e32 v19, v22
	s_andn2_b64 exec, exec, s[20:21]
	s_cbranch_execnz .LBB72_14
; %bb.15:                               ;   in Loop: Header=BB72_4 Depth=1
	s_or_b64 exec, exec, s[20:21]
.LBB72_16:                              ;   in Loop: Header=BB72_4 Depth=1
	s_or_b64 exec, exec, s[18:19]
	v_cmp_ne_u16_sdwa s[8:9], v21, v1 src0_sel:BYTE_0 src1_sel:DWORD
	v_mov_b32_e32 v19, 1
	s_and_saveexec_b64 s[18:19], s[8:9]
	s_cbranch_execz .LBB72_20
; %bb.17:                               ;   in Loop: Header=BB72_4 Depth=1
	s_mov_b64 s[20:21], 0
	v_mov_b32_e32 v19, 1
	s_mov_b32 s29, s22
.LBB72_18:                              ;   Parent Loop BB72_4 Depth=1
                                        ; =>  This Inner Loop Header: Depth=2
	v_and_b32_e32 v22, 1, v21
	v_mov_b32_e32 v23, s29
	v_cmp_eq_u32_e64 s[8:9], 1, v22
	v_cndmask_b32_e64 v22, 1, v23, s[8:9]
	s_and_b32 s8, s29, 0xff
	v_mul_lo_u16_e32 v19, v22, v19
	v_lshrrev_b16_sdwa v22, v15, v21 dst_sel:DWORD dst_unused:UNUSED_PAD src0_sel:DWORD src1_sel:BYTE_0
	s_mul_i32 s29, s8, s8
	v_cmp_lt_u16_sdwa s[8:9], v21, v16 src0_sel:BYTE_0 src1_sel:DWORD
	s_or_b64 s[20:21], s[8:9], s[20:21]
	v_mov_b32_e32 v21, v22
	s_andn2_b64 exec, exec, s[20:21]
	s_cbranch_execnz .LBB72_18
; %bb.19:                               ;   in Loop: Header=BB72_4 Depth=1
	s_or_b64 exec, exec, s[20:21]
.LBB72_20:                              ;   in Loop: Header=BB72_4 Depth=1
	s_or_b64 exec, exec, s[18:19]
	;; [unrolled: 27-line block ×3, first 2 shown]
	v_cmp_ne_u16_sdwa s[8:9], v17, v1 src0_sel:BYTE_0 src1_sel:DWORD
	v_mov_b32_e32 v20, 1
	s_and_saveexec_b64 s[18:19], s[8:9]
	s_cbranch_execnz .LBB72_29
; %bb.25:                               ;   in Loop: Header=BB72_4 Depth=1
	s_or_b64 exec, exec, s[18:19]
	s_and_saveexec_b64 s[8:9], vcc
	s_xor_b64 s[8:9], exec, s[8:9]
	s_cbranch_execnz .LBB72_32
.LBB72_26:                              ;   in Loop: Header=BB72_4 Depth=1
	s_or_b64 exec, exec, s[8:9]
	s_and_saveexec_b64 s[8:9], s[0:1]
	s_cbranch_execnz .LBB72_33
.LBB72_27:                              ;   in Loop: Header=BB72_4 Depth=1
	s_or_b64 exec, exec, s[8:9]
	s_and_saveexec_b64 s[0:1], s[2:3]
	s_cbranch_execnz .LBB72_34
.LBB72_28:                              ;   in Loop: Header=BB72_4 Depth=1
	s_or_b64 exec, exec, s[0:1]
	s_and_saveexec_b64 s[0:1], s[6:7]
	s_cbranch_execz .LBB72_3
	s_branch .LBB72_35
.LBB72_29:                              ;   in Loop: Header=BB72_4 Depth=1
	s_mov_b64 s[20:21], 0
	v_mov_b32_e32 v20, 1
	s_mov_b32 s29, s22
.LBB72_30:                              ;   Parent Loop BB72_4 Depth=1
                                        ; =>  This Inner Loop Header: Depth=2
	v_and_b32_e32 v22, 1, v17
	v_mov_b32_e32 v23, s29
	v_cmp_eq_u32_e64 s[8:9], 1, v22
	v_cndmask_b32_e64 v22, 1, v23, s[8:9]
	s_and_b32 s8, s29, 0xff
	v_mul_lo_u16_e32 v20, v22, v20
	v_lshrrev_b16_sdwa v22, v15, v17 dst_sel:DWORD dst_unused:UNUSED_PAD src0_sel:DWORD src1_sel:BYTE_0
	s_mul_i32 s29, s8, s8
	v_cmp_lt_u16_sdwa s[8:9], v17, v16 src0_sel:BYTE_0 src1_sel:DWORD
	s_or_b64 s[20:21], s[8:9], s[20:21]
	v_mov_b32_e32 v17, v22
	s_andn2_b64 exec, exec, s[20:21]
	s_cbranch_execnz .LBB72_30
; %bb.31:                               ;   in Loop: Header=BB72_4 Depth=1
	s_or_b64 exec, exec, s[20:21]
	s_or_b64 exec, exec, s[18:19]
	s_and_saveexec_b64 s[8:9], vcc
	s_xor_b64 s[8:9], exec, s[8:9]
	s_cbranch_execz .LBB72_26
.LBB72_32:                              ;   in Loop: Header=BB72_4 Depth=1
	v_mov_b32_e32 v17, s24
	v_add_co_u32_e32 v4, vcc, s23, v4
	v_addc_co_u32_e32 v5, vcc, v17, v5, vcc
	global_store_byte v[4:5], v18, off
	s_or_b64 exec, exec, s[8:9]
	s_and_saveexec_b64 s[8:9], s[0:1]
	s_cbranch_execz .LBB72_27
.LBB72_33:                              ;   in Loop: Header=BB72_4 Depth=1
	v_mov_b32_e32 v5, s24
	v_add_co_u32_e32 v4, vcc, s23, v6
	v_addc_co_u32_e32 v5, vcc, v5, v7, vcc
	global_store_byte v[4:5], v19, off
	s_or_b64 exec, exec, s[8:9]
	s_and_saveexec_b64 s[0:1], s[2:3]
	s_cbranch_execz .LBB72_28
.LBB72_34:                              ;   in Loop: Header=BB72_4 Depth=1
	v_mov_b32_e32 v5, s24
	v_add_co_u32_e32 v4, vcc, s23, v8
	v_addc_co_u32_e32 v5, vcc, v5, v9, vcc
	global_store_byte v[4:5], v21, off
	s_or_b64 exec, exec, s[0:1]
	s_and_saveexec_b64 s[0:1], s[6:7]
	s_cbranch_execz .LBB72_3
.LBB72_35:                              ;   in Loop: Header=BB72_4 Depth=1
	v_mov_b32_e32 v5, s24
	v_add_co_u32_e32 v4, vcc, s23, v10
	v_addc_co_u32_e32 v5, vcc, v5, v11, vcc
	global_store_byte v[4:5], v20, off
	s_branch .LBB72_3
.LBB72_36:
	s_mov_b64 s[0:1], 0
.LBB72_37:
	s_andn2_b64 vcc, exec, s[0:1]
	s_cbranch_vccnz .LBB72_57
; %bb.38:
	v_mov_b32_e32 v3, 0
	v_lshlrev_b32_e32 v2, 2, v0
	s_mov_b32 s0, 0
	v_cmp_gt_i64_e32 vcc, s[12:13], v[2:3]
	s_and_saveexec_b64 s[2:3], vcc
	s_cbranch_execz .LBB72_57
; %bb.39:
	s_load_dword s1, s[4:5], 0xc5c
	v_mov_b32_e32 v1, v3
	s_mov_b64 s[2:3], 0
	v_mov_b32_e32 v2, s11
	s_mov_b32 s8, 0xffffff
	s_waitcnt lgkmcnt(0)
	s_and_b32 s9, s1, 0xffff
	v_mov_b32_e32 v6, s24
	v_mov_b32_e32 v7, s0
	s_mov_b64 s[4:5], 0xffff
	v_mov_b32_e32 v8, 1
	v_mov_b32_e32 v9, 2
	;; [unrolled: 1-line block ×3, first 2 shown]
	s_branch .LBB72_41
.LBB72_40:                              ;   in Loop: Header=BB72_41 Depth=1
	s_or_b64 exec, exec, s[0:1]
	v_add_co_u32_e32 v4, vcc, s23, v4
	v_addc_co_u32_e32 v5, vcc, v6, v5, vcc
	v_and_b32_e32 v12, 0xff, v14
	v_lshlrev_b32_e32 v12, 16, v12
	v_add_co_u32_e32 v0, vcc, s9, v0
	v_lshl_or_b32 v12, v15, 24, v12
	v_lshlrev_b32_sdwa v13, v10, v13 dst_sel:DWORD dst_unused:UNUSED_PAD src0_sel:DWORD src1_sel:BYTE_0
	v_and_b32_e32 v11, 0xff, v11
	v_addc_co_u32_e32 v1, vcc, v1, v7, vcc
	v_or3_b32 v11, v12, v13, v11
	v_lshlrev_b64 v[12:13], 2, v[0:1]
	v_cmp_le_i64_e32 vcc, s[12:13], v[12:13]
	v_cmp_lt_u64_e64 s[0:1], s[4:5], v[12:13]
	s_or_b64 s[0:1], vcc, s[0:1]
	s_and_b64 s[0:1], exec, s[0:1]
	s_or_b64 s[2:3], s[0:1], s[2:3]
	global_store_dword v[4:5], v11, off
	s_andn2_b64 exec, exec, s[2:3]
	s_cbranch_execz .LBB72_57
.LBB72_41:                              ; =>This Loop Header: Depth=1
                                        ;     Child Loop BB72_43 Depth 2
                                        ;     Child Loop BB72_47 Depth 2
	;; [unrolled: 1-line block ×4, first 2 shown]
	v_lshlrev_b64 v[4:5], 2, v[0:1]
	v_add_co_u32_e32 v12, vcc, s10, v4
	v_addc_co_u32_e32 v13, vcc, v2, v5, vcc
	global_load_dword v12, v[12:13], off
	v_mov_b32_e32 v11, 1
	s_waitcnt vmcnt(0)
	v_cmp_ne_u16_sdwa s[6:7], v12, v3 src0_sel:BYTE_0 src1_sel:DWORD
	s_and_saveexec_b64 s[0:1], s[6:7]
	s_cbranch_execz .LBB72_45
; %bb.42:                               ;   in Loop: Header=BB72_41 Depth=1
	s_mov_b64 s[6:7], 0
	v_mov_b32_e32 v11, 1
	v_mov_b32_e32 v13, v12
	s_mov_b32 s11, s22
.LBB72_43:                              ;   Parent Loop BB72_41 Depth=1
                                        ; =>  This Inner Loop Header: Depth=2
	v_and_b32_e32 v14, 1, v13
	v_mov_b32_e32 v15, s11
	v_cmp_eq_u32_e32 vcc, 1, v14
	v_cndmask_b32_e32 v14, 1, v15, vcc
	v_mul_lo_u16_e32 v11, v14, v11
	v_lshrrev_b16_sdwa v14, v8, v13 dst_sel:DWORD dst_unused:UNUSED_PAD src0_sel:DWORD src1_sel:BYTE_0
	s_and_b32 s11, s11, 0xff
	v_cmp_lt_u16_sdwa s[14:15], v13, v9 src0_sel:BYTE_0 src1_sel:DWORD
	s_mul_i32 s11, s11, s11
	s_or_b64 s[6:7], s[14:15], s[6:7]
	v_mov_b32_e32 v13, v14
	s_andn2_b64 exec, exec, s[6:7]
	s_cbranch_execnz .LBB72_43
; %bb.44:                               ;   in Loop: Header=BB72_41 Depth=1
	s_or_b64 exec, exec, s[6:7]
.LBB72_45:                              ;   in Loop: Header=BB72_41 Depth=1
	s_or_b64 exec, exec, s[0:1]
	v_lshrrev_b32_e32 v14, 8, v12
	v_cmp_ne_u16_sdwa s[6:7], v14, v3 src0_sel:BYTE_0 src1_sel:DWORD
	v_mov_b32_e32 v13, 1
	s_and_saveexec_b64 s[0:1], s[6:7]
	s_cbranch_execz .LBB72_49
; %bb.46:                               ;   in Loop: Header=BB72_41 Depth=1
	s_mov_b64 s[6:7], 0
	v_mov_b32_e32 v13, 1
	s_mov_b32 s11, s22
.LBB72_47:                              ;   Parent Loop BB72_41 Depth=1
                                        ; =>  This Inner Loop Header: Depth=2
	v_and_b32_e32 v15, 1, v14
	v_mov_b32_e32 v16, s11
	v_cmp_eq_u32_e32 vcc, 1, v15
	v_cndmask_b32_e32 v15, 1, v16, vcc
	v_mul_lo_u16_e32 v13, v15, v13
	v_lshrrev_b16_sdwa v15, v8, v14 dst_sel:DWORD dst_unused:UNUSED_PAD src0_sel:DWORD src1_sel:BYTE_0
	s_and_b32 s11, s11, 0xff
	v_cmp_lt_u16_sdwa s[14:15], v14, v9 src0_sel:BYTE_0 src1_sel:DWORD
	s_mul_i32 s11, s11, s11
	s_or_b64 s[6:7], s[14:15], s[6:7]
	v_mov_b32_e32 v14, v15
	s_andn2_b64 exec, exec, s[6:7]
	s_cbranch_execnz .LBB72_47
; %bb.48:                               ;   in Loop: Header=BB72_41 Depth=1
	s_or_b64 exec, exec, s[6:7]
.LBB72_49:                              ;   in Loop: Header=BB72_41 Depth=1
	s_or_b64 exec, exec, s[0:1]
	v_lshrrev_b32_e32 v15, 16, v12
	v_cmp_ne_u16_sdwa s[6:7], v15, v3 src0_sel:BYTE_0 src1_sel:DWORD
	v_mov_b32_e32 v14, 1
	s_and_saveexec_b64 s[0:1], s[6:7]
	s_cbranch_execz .LBB72_53
; %bb.50:                               ;   in Loop: Header=BB72_41 Depth=1
	s_mov_b64 s[6:7], 0
	v_mov_b32_e32 v14, 1
	s_mov_b32 s11, s22
.LBB72_51:                              ;   Parent Loop BB72_41 Depth=1
                                        ; =>  This Inner Loop Header: Depth=2
	v_and_b32_e32 v16, 1, v15
	v_mov_b32_e32 v17, s11
	v_cmp_eq_u32_e32 vcc, 1, v16
	v_cndmask_b32_e32 v16, 1, v17, vcc
	v_mul_lo_u16_e32 v14, v16, v14
	v_lshrrev_b16_sdwa v16, v8, v15 dst_sel:DWORD dst_unused:UNUSED_PAD src0_sel:DWORD src1_sel:BYTE_0
	s_and_b32 s11, s11, 0xff
	v_cmp_lt_u16_sdwa s[14:15], v15, v9 src0_sel:BYTE_0 src1_sel:DWORD
	s_mul_i32 s11, s11, s11
	s_or_b64 s[6:7], s[14:15], s[6:7]
	v_mov_b32_e32 v15, v16
	s_andn2_b64 exec, exec, s[6:7]
	s_cbranch_execnz .LBB72_51
; %bb.52:                               ;   in Loop: Header=BB72_41 Depth=1
	s_or_b64 exec, exec, s[6:7]
.LBB72_53:                              ;   in Loop: Header=BB72_41 Depth=1
	s_or_b64 exec, exec, s[0:1]
	v_cmp_lt_u32_e32 vcc, s8, v12
	v_mov_b32_e32 v15, 1
	s_and_saveexec_b64 s[0:1], vcc
	s_cbranch_execz .LBB72_40
; %bb.54:                               ;   in Loop: Header=BB72_41 Depth=1
	v_lshrrev_b32_e32 v12, 24, v12
	s_mov_b64 s[6:7], 0
	v_mov_b32_e32 v15, 1
	s_mov_b32 s11, s22
.LBB72_55:                              ;   Parent Loop BB72_41 Depth=1
                                        ; =>  This Inner Loop Header: Depth=2
	v_and_b32_e32 v16, 1, v12
	v_mov_b32_e32 v17, s11
	v_cmp_eq_u32_e32 vcc, 1, v16
	v_cndmask_b32_e32 v16, 1, v17, vcc
	v_mul_lo_u16_e32 v15, v16, v15
	v_lshrrev_b16_sdwa v16, v8, v12 dst_sel:DWORD dst_unused:UNUSED_PAD src0_sel:DWORD src1_sel:BYTE_0
	s_and_b32 s11, s11, 0xff
	v_cmp_lt_u16_sdwa s[14:15], v12, v9 src0_sel:BYTE_0 src1_sel:DWORD
	s_mul_i32 s11, s11, s11
	s_or_b64 s[6:7], s[14:15], s[6:7]
	v_mov_b32_e32 v12, v16
	s_andn2_b64 exec, exec, s[6:7]
	s_cbranch_execnz .LBB72_55
; %bb.56:                               ;   in Loop: Header=BB72_41 Depth=1
	s_or_b64 exec, exec, s[6:7]
	s_branch .LBB72_40
.LBB72_57:
	s_endpgm
	.section	.rodata,"a",@progbits
	.p2align	6, 0x0
	.amdhsa_kernel _ZN2at6native12_GLOBAL__N_125multi_tensor_apply_kernelINS1_18TensorListMetadataILi2EEENS1_21BinaryOpScalarFunctorIhLi2ELi1ELi1EEEJNS1_21reverse_power_functorIhEEhEEEvT_T0_DpT1_
		.amdhsa_group_segment_fixed_size 0
		.amdhsa_private_segment_fixed_size 0
		.amdhsa_kernarg_size 3408
		.amdhsa_user_sgpr_count 6
		.amdhsa_user_sgpr_private_segment_buffer 1
		.amdhsa_user_sgpr_dispatch_ptr 0
		.amdhsa_user_sgpr_queue_ptr 0
		.amdhsa_user_sgpr_kernarg_segment_ptr 1
		.amdhsa_user_sgpr_dispatch_id 0
		.amdhsa_user_sgpr_flat_scratch_init 0
		.amdhsa_user_sgpr_kernarg_preload_length 0
		.amdhsa_user_sgpr_kernarg_preload_offset 0
		.amdhsa_user_sgpr_private_segment_size 0
		.amdhsa_uses_dynamic_stack 0
		.amdhsa_system_sgpr_private_segment_wavefront_offset 0
		.amdhsa_system_sgpr_workgroup_id_x 1
		.amdhsa_system_sgpr_workgroup_id_y 0
		.amdhsa_system_sgpr_workgroup_id_z 0
		.amdhsa_system_sgpr_workgroup_info 0
		.amdhsa_system_vgpr_workitem_id 0
		.amdhsa_next_free_vgpr 24
		.amdhsa_next_free_sgpr 30
		.amdhsa_accum_offset 24
		.amdhsa_reserve_vcc 1
		.amdhsa_reserve_flat_scratch 0
		.amdhsa_float_round_mode_32 0
		.amdhsa_float_round_mode_16_64 0
		.amdhsa_float_denorm_mode_32 3
		.amdhsa_float_denorm_mode_16_64 3
		.amdhsa_dx10_clamp 1
		.amdhsa_ieee_mode 1
		.amdhsa_fp16_overflow 0
		.amdhsa_tg_split 0
		.amdhsa_exception_fp_ieee_invalid_op 0
		.amdhsa_exception_fp_denorm_src 0
		.amdhsa_exception_fp_ieee_div_zero 0
		.amdhsa_exception_fp_ieee_overflow 0
		.amdhsa_exception_fp_ieee_underflow 0
		.amdhsa_exception_fp_ieee_inexact 0
		.amdhsa_exception_int_div_zero 0
	.end_amdhsa_kernel
	.section	.text._ZN2at6native12_GLOBAL__N_125multi_tensor_apply_kernelINS1_18TensorListMetadataILi2EEENS1_21BinaryOpScalarFunctorIhLi2ELi1ELi1EEEJNS1_21reverse_power_functorIhEEhEEEvT_T0_DpT1_,"axG",@progbits,_ZN2at6native12_GLOBAL__N_125multi_tensor_apply_kernelINS1_18TensorListMetadataILi2EEENS1_21BinaryOpScalarFunctorIhLi2ELi1ELi1EEEJNS1_21reverse_power_functorIhEEhEEEvT_T0_DpT1_,comdat
.Lfunc_end72:
	.size	_ZN2at6native12_GLOBAL__N_125multi_tensor_apply_kernelINS1_18TensorListMetadataILi2EEENS1_21BinaryOpScalarFunctorIhLi2ELi1ELi1EEEJNS1_21reverse_power_functorIhEEhEEEvT_T0_DpT1_, .Lfunc_end72-_ZN2at6native12_GLOBAL__N_125multi_tensor_apply_kernelINS1_18TensorListMetadataILi2EEENS1_21BinaryOpScalarFunctorIhLi2ELi1ELi1EEEJNS1_21reverse_power_functorIhEEhEEEvT_T0_DpT1_
                                        ; -- End function
	.section	.AMDGPU.csdata,"",@progbits
; Kernel info:
; codeLenInByte = 1912
; NumSgprs: 34
; NumVgprs: 24
; NumAgprs: 0
; TotalNumVgprs: 24
; ScratchSize: 0
; MemoryBound: 0
; FloatMode: 240
; IeeeMode: 1
; LDSByteSize: 0 bytes/workgroup (compile time only)
; SGPRBlocks: 4
; VGPRBlocks: 2
; NumSGPRsForWavesPerEU: 34
; NumVGPRsForWavesPerEU: 24
; AccumOffset: 24
; Occupancy: 8
; WaveLimiterHint : 0
; COMPUTE_PGM_RSRC2:SCRATCH_EN: 0
; COMPUTE_PGM_RSRC2:USER_SGPR: 6
; COMPUTE_PGM_RSRC2:TRAP_HANDLER: 0
; COMPUTE_PGM_RSRC2:TGID_X_EN: 1
; COMPUTE_PGM_RSRC2:TGID_Y_EN: 0
; COMPUTE_PGM_RSRC2:TGID_Z_EN: 0
; COMPUTE_PGM_RSRC2:TIDIG_COMP_CNT: 0
; COMPUTE_PGM_RSRC3_GFX90A:ACCUM_OFFSET: 5
; COMPUTE_PGM_RSRC3_GFX90A:TG_SPLIT: 0
	.section	.text._ZN2at6native12_GLOBAL__N_125multi_tensor_apply_kernelINS1_18TensorListMetadataILi2EEENS1_21BinaryOpScalarFunctorIaLi2ELi1ELi1EEEJNS1_21reverse_power_functorIaEEaEEEvT_T0_DpT1_,"axG",@progbits,_ZN2at6native12_GLOBAL__N_125multi_tensor_apply_kernelINS1_18TensorListMetadataILi2EEENS1_21BinaryOpScalarFunctorIaLi2ELi1ELi1EEEJNS1_21reverse_power_functorIaEEaEEEvT_T0_DpT1_,comdat
	.globl	_ZN2at6native12_GLOBAL__N_125multi_tensor_apply_kernelINS1_18TensorListMetadataILi2EEENS1_21BinaryOpScalarFunctorIaLi2ELi1ELi1EEEJNS1_21reverse_power_functorIaEEaEEEvT_T0_DpT1_ ; -- Begin function _ZN2at6native12_GLOBAL__N_125multi_tensor_apply_kernelINS1_18TensorListMetadataILi2EEENS1_21BinaryOpScalarFunctorIaLi2ELi1ELi1EEEJNS1_21reverse_power_functorIaEEaEEEvT_T0_DpT1_
	.p2align	8
	.type	_ZN2at6native12_GLOBAL__N_125multi_tensor_apply_kernelINS1_18TensorListMetadataILi2EEENS1_21BinaryOpScalarFunctorIaLi2ELi1ELi1EEEJNS1_21reverse_power_functorIaEEaEEEvT_T0_DpT1_,@function
_ZN2at6native12_GLOBAL__N_125multi_tensor_apply_kernelINS1_18TensorListMetadataILi2EEENS1_21BinaryOpScalarFunctorIaLi2ELi1ELi1EEEJNS1_21reverse_power_functorIaEEaEEEvT_T0_DpT1_: ; @_ZN2at6native12_GLOBAL__N_125multi_tensor_apply_kernelINS1_18TensorListMetadataILi2EEENS1_21BinaryOpScalarFunctorIaLi2ELi1ELi1EEEJNS1_21reverse_power_functorIaEEaEEEvT_T0_DpT1_
; %bb.0:
	v_mov_b32_e32 v1, s6
	global_load_ubyte v1, v1, s[4:5] offset:1536
	s_load_dword s0, s[4:5], 0xc48
	s_mul_i32 s2, s6, 3
	s_mul_hi_u32 s1, s6, 3
	s_waitcnt lgkmcnt(0)
	s_lshr_b32 s26, s0, 16
	s_add_u32 s0, s4, s6
	s_addc_u32 s3, s5, 0
	s_add_u32 s0, s0, s2
	s_addc_u32 s1, s3, s1
	s_load_dword s0, s[0:1], 0x740
	s_waitcnt vmcnt(0)
	v_readfirstlane_b32 s2, v1
	s_lshl_b32 s1, s2, 3
	s_load_dwordx2 s[2:3], s[4:5], s1 offset:0x0
	s_load_dwordx2 s[6:7], s[4:5], s1 offset:0x400
	;; [unrolled: 1-line block ×3, first 2 shown]
	s_waitcnt lgkmcnt(0)
	s_ashr_i32 s1, s0, 31
	s_lshl_b64 s[0:1], s[0:1], 16
	s_add_u32 s10, s2, s0
	s_addc_u32 s11, s3, s1
	s_add_u32 s27, s8, s0
	s_addc_u32 s28, s9, s1
	s_or_b64 s[2:3], s[6:7], s[10:11]
	s_or_b32 s2, s27, s2
	s_and_b32 s2, s2, 3
	s_sub_u32 s12, s6, s0
	s_subb_u32 s13, s7, s1
	s_cmp_eq_u32 s2, 0
	s_mov_b64 s[0:1], -1
	s_cbranch_scc1 .LBB73_73
; %bb.1:
	v_cmp_lt_i64_e64 s[0:1], s[12:13], 1
	s_and_b64 vcc, exec, s[0:1]
	s_cbranch_vccnz .LBB73_72
; %bb.2:
	s_load_dword s0, s[4:5], 0xc5c
	v_mov_b32_e32 v2, 0x10000
	v_mov_b32_e32 v3, 0
	v_cmp_lt_u64_e32 vcc, s[12:13], v[2:3]
	s_mov_b32 s2, 0
	s_waitcnt lgkmcnt(0)
	s_and_b32 s29, s0, 0xffff
	s_and_b64 s[0:1], vcc, exec
	v_mov_b32_e32 v14, 1
	v_mov_b32_e32 v1, 0
	s_cselect_b32 s15, s13, 0
	s_cselect_b32 s14, s12, 0x10000
	s_lshl_b32 s30, s29, 1
	s_mul_i32 s31, s29, 3
	s_lshl_b32 s33, s29, 2
	s_mov_b64 s[16:17], 0
	v_mov_b32_e32 v10, s2
	v_mov_b32_e32 v11, s2
	;; [unrolled: 1-line block ×3, first 2 shown]
	v_mov_b32_e32 v13, -1
	v_mov_b32_e32 v15, 3
	v_cmp_ne_u16_sdwa s[18:19], s26, v14 src0_sel:BYTE_0 src1_sel:DWORD
	s_branch .LBB73_4
.LBB73_3:                               ;   in Loop: Header=BB73_4 Depth=1
	s_or_b64 exec, exec, s[0:1]
	s_add_u32 s16, s16, s33
	s_addc_u32 s17, s17, 0
	v_pk_mov_b32 v[2:3], s[12:13], s[12:13] op_sel:[0,1]
	v_cmp_ge_i64_e32 vcc, s[16:17], v[2:3]
	v_mov_b32_e32 v2, 0xffff
	v_mov_b32_e32 v3, 0
	v_cmp_gt_u64_e64 s[0:1], s[16:17], v[2:3]
	s_or_b64 s[0:1], vcc, s[0:1]
	s_and_b64 vcc, exec, s[0:1]
	s_cbranch_vccnz .LBB73_72
.LBB73_4:                               ; =>This Loop Header: Depth=1
                                        ;     Child Loop BB73_15 Depth 2
                                        ;     Child Loop BB73_28 Depth 2
	;; [unrolled: 1-line block ×4, first 2 shown]
	v_mov_b32_e32 v3, s17
	v_add_co_u32_e32 v2, vcc, s16, v0
	v_addc_co_u32_e32 v3, vcc, 0, v3, vcc
	v_cmp_gt_u64_e64 s[0:1], s[14:15], v[2:3]
	v_mov_b32_e32 v18, 0
	s_and_saveexec_b64 s[2:3], s[0:1]
	s_cbranch_execz .LBB73_6
; %bb.5:                                ;   in Loop: Header=BB73_4 Depth=1
	v_mov_b32_e32 v5, s11
	v_add_co_u32_e32 v4, vcc, s10, v2
	v_addc_co_u32_e32 v5, vcc, v5, v3, vcc
	global_load_ubyte v18, v[4:5], off
.LBB73_6:                               ;   in Loop: Header=BB73_4 Depth=1
	s_or_b64 exec, exec, s[2:3]
	v_add_co_u32_e32 v4, vcc, s29, v2
	v_addc_co_u32_e32 v5, vcc, v3, v10, vcc
	v_cmp_gt_u64_e64 s[2:3], s[14:15], v[4:5]
	v_mov_b32_e32 v20, 0
	s_and_saveexec_b64 s[6:7], s[2:3]
	s_cbranch_execz .LBB73_8
; %bb.7:                                ;   in Loop: Header=BB73_4 Depth=1
	v_mov_b32_e32 v7, s11
	v_add_co_u32_e32 v6, vcc, s10, v4
	v_addc_co_u32_e32 v7, vcc, v7, v5, vcc
	global_load_ubyte v20, v[6:7], off
.LBB73_8:                               ;   in Loop: Header=BB73_4 Depth=1
	s_or_b64 exec, exec, s[6:7]
	v_add_co_u32_e32 v6, vcc, s30, v2
	v_addc_co_u32_e32 v7, vcc, v3, v11, vcc
	v_cmp_gt_u64_e64 s[6:7], s[14:15], v[6:7]
	v_mov_b32_e32 v17, 0
	v_mov_b32_e32 v19, 0
	s_and_saveexec_b64 s[8:9], s[6:7]
	s_cbranch_execz .LBB73_10
; %bb.9:                                ;   in Loop: Header=BB73_4 Depth=1
	v_mov_b32_e32 v9, s11
	v_add_co_u32_e32 v8, vcc, s10, v6
	v_addc_co_u32_e32 v9, vcc, v9, v7, vcc
	global_load_ubyte v19, v[8:9], off
.LBB73_10:                              ;   in Loop: Header=BB73_4 Depth=1
	s_or_b64 exec, exec, s[8:9]
	v_add_co_u32_e32 v8, vcc, s31, v2
	v_addc_co_u32_e32 v9, vcc, v3, v12, vcc
	v_cmp_gt_u64_e64 s[8:9], s[14:15], v[8:9]
	s_and_saveexec_b64 s[20:21], s[8:9]
	s_cbranch_execz .LBB73_12
; %bb.11:                               ;   in Loop: Header=BB73_4 Depth=1
	v_mov_b32_e32 v17, s11
	v_add_co_u32_e32 v16, vcc, s10, v8
	v_addc_co_u32_e32 v17, vcc, v17, v9, vcc
	global_load_ubyte v17, v[16:17], off
.LBB73_12:                              ;   in Loop: Header=BB73_4 Depth=1
	s_or_b64 exec, exec, s[20:21]
	s_waitcnt vmcnt(0)
	v_cmp_gt_i16_sdwa s[20:21], sext(v18), v13 src0_sel:BYTE_0 src1_sel:DWORD
                                        ; implicit-def: $vgpr16
	s_and_saveexec_b64 s[22:23], s[20:21]
	s_xor_b64 s[20:21], exec, s[22:23]
	s_cbranch_execz .LBB73_18
; %bb.13:                               ;   in Loop: Header=BB73_4 Depth=1
	v_cmp_ne_u16_sdwa s[24:25], v18, v1 src0_sel:BYTE_0 src1_sel:DWORD
	v_mov_b32_e32 v16, 1
	s_and_saveexec_b64 s[22:23], s[24:25]
	s_cbranch_execz .LBB73_17
; %bb.14:                               ;   in Loop: Header=BB73_4 Depth=1
	s_mov_b64 s[24:25], 0
	v_mov_b32_e32 v16, 1
	s_mov_b32 s34, s26
.LBB73_15:                              ;   Parent Loop BB73_4 Depth=1
                                        ; =>  This Inner Loop Header: Depth=2
	v_and_b32_e32 v21, 1, v18
	v_mov_b32_e32 v22, s34
	v_cmp_eq_u32_e32 vcc, 1, v21
	v_cndmask_b32_e32 v21, 1, v22, vcc
	v_mul_lo_u16_e32 v16, v21, v16
	v_lshrrev_b16_e32 v21, 7, v18
	v_and_b32_e32 v21, 1, v21
	v_add_u16_e32 v21, v18, v21
	v_add_u16_e32 v18, 1, v18
	v_ashrrev_i16_sdwa v21, v14, sext(v21) dst_sel:DWORD dst_unused:UNUSED_PAD src0_sel:DWORD src1_sel:BYTE_0
	s_and_b32 s34, s34, 0xff
	v_cmp_lt_u16_sdwa s[36:37], v18, v15 src0_sel:BYTE_0 src1_sel:DWORD
	s_mul_i32 s34, s34, s34
	s_or_b64 s[24:25], s[36:37], s[24:25]
	v_mov_b32_e32 v18, v21
	s_andn2_b64 exec, exec, s[24:25]
	s_cbranch_execnz .LBB73_15
; %bb.16:                               ;   in Loop: Header=BB73_4 Depth=1
	s_or_b64 exec, exec, s[24:25]
.LBB73_17:                              ;   in Loop: Header=BB73_4 Depth=1
	s_or_b64 exec, exec, s[22:23]
                                        ; implicit-def: $vgpr18
.LBB73_18:                              ;   in Loop: Header=BB73_4 Depth=1
	s_andn2_saveexec_b64 s[20:21], s[20:21]
	s_cbranch_execz .LBB73_25
; %bb.19:                               ;   in Loop: Header=BB73_4 Depth=1
	v_mov_b32_e32 v16, 0xfe
	v_cmp_gt_i16_sdwa s[22:23], s26, v16 src0_sel:BYTE_0 src1_sel:DWORD
	s_and_b64 vcc, exec, s[22:23]
	s_cbranch_vccz .LBB73_21
; %bb.20:                               ;   in Loop: Header=BB73_4 Depth=1
	v_and_b32_e32 v16, 1, v18
	v_cmp_eq_u16_e32 vcc, 0, v16
	v_cndmask_b32_e64 v16, -1, 1, vcc
	s_cbranch_execz .LBB73_22
	s_branch .LBB73_25
.LBB73_21:                              ;   in Loop: Header=BB73_4 Depth=1
                                        ; implicit-def: $vgpr16
.LBB73_22:                              ;   in Loop: Header=BB73_4 Depth=1
	s_mov_b32 s22, 1
	s_and_b64 vcc, exec, s[18:19]
	s_cbranch_vccz .LBB73_24
; %bb.23:                               ;   in Loop: Header=BB73_4 Depth=1
	s_mov_b32 s22, 0
.LBB73_24:                              ;   in Loop: Header=BB73_4 Depth=1
	v_mov_b32_e32 v16, s22
.LBB73_25:                              ;   in Loop: Header=BB73_4 Depth=1
	s_or_b64 exec, exec, s[20:21]
	v_cmp_gt_i16_sdwa s[20:21], sext(v20), v13 src0_sel:BYTE_0 src1_sel:DWORD
                                        ; implicit-def: $vgpr18
	s_and_saveexec_b64 s[22:23], s[20:21]
	s_xor_b64 s[20:21], exec, s[22:23]
	s_cbranch_execz .LBB73_31
; %bb.26:                               ;   in Loop: Header=BB73_4 Depth=1
	v_cmp_ne_u16_sdwa s[24:25], v20, v1 src0_sel:BYTE_0 src1_sel:DWORD
	v_mov_b32_e32 v18, 1
	s_and_saveexec_b64 s[22:23], s[24:25]
	s_cbranch_execz .LBB73_30
; %bb.27:                               ;   in Loop: Header=BB73_4 Depth=1
	s_mov_b64 s[24:25], 0
	v_mov_b32_e32 v18, 1
	s_mov_b32 s34, s26
.LBB73_28:                              ;   Parent Loop BB73_4 Depth=1
                                        ; =>  This Inner Loop Header: Depth=2
	v_and_b32_e32 v21, 1, v20
	v_mov_b32_e32 v22, s34
	v_cmp_eq_u32_e32 vcc, 1, v21
	v_cndmask_b32_e32 v21, 1, v22, vcc
	v_mul_lo_u16_e32 v18, v21, v18
	v_lshrrev_b16_e32 v21, 7, v20
	v_and_b32_e32 v21, 1, v21
	v_add_u16_e32 v21, v20, v21
	v_add_u16_e32 v20, 1, v20
	v_ashrrev_i16_sdwa v21, v14, sext(v21) dst_sel:DWORD dst_unused:UNUSED_PAD src0_sel:DWORD src1_sel:BYTE_0
	s_and_b32 s34, s34, 0xff
	v_cmp_lt_u16_sdwa s[36:37], v20, v15 src0_sel:BYTE_0 src1_sel:DWORD
	s_mul_i32 s34, s34, s34
	s_or_b64 s[24:25], s[36:37], s[24:25]
	v_mov_b32_e32 v20, v21
	s_andn2_b64 exec, exec, s[24:25]
	s_cbranch_execnz .LBB73_28
; %bb.29:                               ;   in Loop: Header=BB73_4 Depth=1
	s_or_b64 exec, exec, s[24:25]
.LBB73_30:                              ;   in Loop: Header=BB73_4 Depth=1
	s_or_b64 exec, exec, s[22:23]
                                        ; implicit-def: $vgpr20
.LBB73_31:                              ;   in Loop: Header=BB73_4 Depth=1
	s_andn2_saveexec_b64 s[20:21], s[20:21]
	s_cbranch_execz .LBB73_38
; %bb.32:                               ;   in Loop: Header=BB73_4 Depth=1
	v_mov_b32_e32 v18, 0xfe
	v_cmp_gt_i16_sdwa s[22:23], s26, v18 src0_sel:BYTE_0 src1_sel:DWORD
	s_and_b64 vcc, exec, s[22:23]
	s_cbranch_vccz .LBB73_34
; %bb.33:                               ;   in Loop: Header=BB73_4 Depth=1
	v_and_b32_e32 v18, 1, v20
	v_cmp_eq_u16_e32 vcc, 0, v18
	v_cndmask_b32_e64 v18, -1, 1, vcc
	s_cbranch_execz .LBB73_35
	s_branch .LBB73_38
.LBB73_34:                              ;   in Loop: Header=BB73_4 Depth=1
                                        ; implicit-def: $vgpr18
.LBB73_35:                              ;   in Loop: Header=BB73_4 Depth=1
	s_mov_b32 s22, 1
	s_and_b64 vcc, exec, s[18:19]
	s_cbranch_vccz .LBB73_37
; %bb.36:                               ;   in Loop: Header=BB73_4 Depth=1
	s_mov_b32 s22, 0
.LBB73_37:                              ;   in Loop: Header=BB73_4 Depth=1
	v_mov_b32_e32 v18, s22
.LBB73_38:                              ;   in Loop: Header=BB73_4 Depth=1
	s_or_b64 exec, exec, s[20:21]
	v_cmp_gt_i16_sdwa s[20:21], sext(v19), v13 src0_sel:BYTE_0 src1_sel:DWORD
                                        ; implicit-def: $vgpr20
	s_and_saveexec_b64 s[22:23], s[20:21]
	s_xor_b64 s[20:21], exec, s[22:23]
	s_cbranch_execz .LBB73_44
; %bb.39:                               ;   in Loop: Header=BB73_4 Depth=1
	v_cmp_ne_u16_sdwa s[24:25], v19, v1 src0_sel:BYTE_0 src1_sel:DWORD
	v_mov_b32_e32 v20, 1
	s_and_saveexec_b64 s[22:23], s[24:25]
	s_cbranch_execz .LBB73_43
; %bb.40:                               ;   in Loop: Header=BB73_4 Depth=1
	s_mov_b64 s[24:25], 0
	v_mov_b32_e32 v20, 1
	s_mov_b32 s34, s26
.LBB73_41:                              ;   Parent Loop BB73_4 Depth=1
                                        ; =>  This Inner Loop Header: Depth=2
	v_and_b32_e32 v21, 1, v19
	v_mov_b32_e32 v22, s34
	v_cmp_eq_u32_e32 vcc, 1, v21
	v_cndmask_b32_e32 v21, 1, v22, vcc
	v_mul_lo_u16_e32 v20, v21, v20
	v_lshrrev_b16_e32 v21, 7, v19
	v_and_b32_e32 v21, 1, v21
	v_add_u16_e32 v21, v19, v21
	v_add_u16_e32 v19, 1, v19
	v_ashrrev_i16_sdwa v21, v14, sext(v21) dst_sel:DWORD dst_unused:UNUSED_PAD src0_sel:DWORD src1_sel:BYTE_0
	s_and_b32 s34, s34, 0xff
	v_cmp_lt_u16_sdwa s[36:37], v19, v15 src0_sel:BYTE_0 src1_sel:DWORD
	s_mul_i32 s34, s34, s34
	s_or_b64 s[24:25], s[36:37], s[24:25]
	v_mov_b32_e32 v19, v21
	s_andn2_b64 exec, exec, s[24:25]
	s_cbranch_execnz .LBB73_41
; %bb.42:                               ;   in Loop: Header=BB73_4 Depth=1
	s_or_b64 exec, exec, s[24:25]
.LBB73_43:                              ;   in Loop: Header=BB73_4 Depth=1
	s_or_b64 exec, exec, s[22:23]
                                        ; implicit-def: $vgpr19
.LBB73_44:                              ;   in Loop: Header=BB73_4 Depth=1
	s_andn2_saveexec_b64 s[20:21], s[20:21]
	s_cbranch_execz .LBB73_51
; %bb.45:                               ;   in Loop: Header=BB73_4 Depth=1
	v_mov_b32_e32 v20, 0xfe
	v_cmp_gt_i16_sdwa s[22:23], s26, v20 src0_sel:BYTE_0 src1_sel:DWORD
	s_and_b64 vcc, exec, s[22:23]
	s_cbranch_vccz .LBB73_47
; %bb.46:                               ;   in Loop: Header=BB73_4 Depth=1
	v_and_b32_e32 v19, 1, v19
	v_cmp_eq_u16_e32 vcc, 0, v19
	v_cndmask_b32_e64 v20, -1, 1, vcc
	s_cbranch_execz .LBB73_48
	s_branch .LBB73_51
.LBB73_47:                              ;   in Loop: Header=BB73_4 Depth=1
                                        ; implicit-def: $vgpr20
.LBB73_48:                              ;   in Loop: Header=BB73_4 Depth=1
	s_mov_b32 s22, 1
	s_and_b64 vcc, exec, s[18:19]
	s_cbranch_vccz .LBB73_50
; %bb.49:                               ;   in Loop: Header=BB73_4 Depth=1
	s_mov_b32 s22, 0
.LBB73_50:                              ;   in Loop: Header=BB73_4 Depth=1
	v_mov_b32_e32 v20, s22
.LBB73_51:                              ;   in Loop: Header=BB73_4 Depth=1
	s_or_b64 exec, exec, s[20:21]
	v_cmp_gt_i16_sdwa s[20:21], sext(v17), v13 src0_sel:BYTE_0 src1_sel:DWORD
                                        ; implicit-def: $vgpr19
	s_and_saveexec_b64 s[22:23], s[20:21]
	s_xor_b64 s[20:21], exec, s[22:23]
	s_cbranch_execz .LBB73_57
; %bb.52:                               ;   in Loop: Header=BB73_4 Depth=1
	v_cmp_ne_u16_sdwa s[24:25], v17, v1 src0_sel:BYTE_0 src1_sel:DWORD
	v_mov_b32_e32 v19, 1
	s_and_saveexec_b64 s[22:23], s[24:25]
	s_cbranch_execz .LBB73_56
; %bb.53:                               ;   in Loop: Header=BB73_4 Depth=1
	s_mov_b64 s[24:25], 0
	v_mov_b32_e32 v19, 1
	s_mov_b32 s34, s26
.LBB73_54:                              ;   Parent Loop BB73_4 Depth=1
                                        ; =>  This Inner Loop Header: Depth=2
	v_and_b32_e32 v21, 1, v17
	v_mov_b32_e32 v22, s34
	v_cmp_eq_u32_e32 vcc, 1, v21
	v_cndmask_b32_e32 v21, 1, v22, vcc
	v_mul_lo_u16_e32 v19, v21, v19
	v_lshrrev_b16_e32 v21, 7, v17
	v_and_b32_e32 v21, 1, v21
	v_add_u16_e32 v21, v17, v21
	v_add_u16_e32 v17, 1, v17
	v_ashrrev_i16_sdwa v21, v14, sext(v21) dst_sel:DWORD dst_unused:UNUSED_PAD src0_sel:DWORD src1_sel:BYTE_0
	s_and_b32 s34, s34, 0xff
	v_cmp_lt_u16_sdwa s[36:37], v17, v15 src0_sel:BYTE_0 src1_sel:DWORD
	s_mul_i32 s34, s34, s34
	s_or_b64 s[24:25], s[36:37], s[24:25]
	v_mov_b32_e32 v17, v21
	s_andn2_b64 exec, exec, s[24:25]
	s_cbranch_execnz .LBB73_54
; %bb.55:                               ;   in Loop: Header=BB73_4 Depth=1
	s_or_b64 exec, exec, s[24:25]
.LBB73_56:                              ;   in Loop: Header=BB73_4 Depth=1
	s_or_b64 exec, exec, s[22:23]
                                        ; implicit-def: $vgpr17
.LBB73_57:                              ;   in Loop: Header=BB73_4 Depth=1
	s_andn2_saveexec_b64 s[20:21], s[20:21]
	s_cbranch_execz .LBB73_64
; %bb.58:                               ;   in Loop: Header=BB73_4 Depth=1
	v_mov_b32_e32 v19, 0xfe
	v_cmp_gt_i16_sdwa s[22:23], s26, v19 src0_sel:BYTE_0 src1_sel:DWORD
	s_and_b64 vcc, exec, s[22:23]
	s_cbranch_vccz .LBB73_60
; %bb.59:                               ;   in Loop: Header=BB73_4 Depth=1
	v_and_b32_e32 v17, 1, v17
	v_cmp_eq_u16_e32 vcc, 0, v17
	v_cndmask_b32_e64 v19, -1, 1, vcc
	s_cbranch_execz .LBB73_61
	s_branch .LBB73_64
.LBB73_60:                              ;   in Loop: Header=BB73_4 Depth=1
                                        ; implicit-def: $vgpr19
.LBB73_61:                              ;   in Loop: Header=BB73_4 Depth=1
	s_mov_b32 s22, 1
	s_and_b64 vcc, exec, s[18:19]
	s_cbranch_vccz .LBB73_63
; %bb.62:                               ;   in Loop: Header=BB73_4 Depth=1
	s_mov_b32 s22, 0
.LBB73_63:                              ;   in Loop: Header=BB73_4 Depth=1
	v_mov_b32_e32 v19, s22
.LBB73_64:                              ;   in Loop: Header=BB73_4 Depth=1
	s_or_b64 exec, exec, s[20:21]
	s_and_saveexec_b64 s[20:21], s[0:1]
	s_xor_b64 s[0:1], exec, s[20:21]
	s_cbranch_execnz .LBB73_68
; %bb.65:                               ;   in Loop: Header=BB73_4 Depth=1
	s_or_b64 exec, exec, s[0:1]
	s_and_saveexec_b64 s[0:1], s[2:3]
	s_cbranch_execnz .LBB73_69
.LBB73_66:                              ;   in Loop: Header=BB73_4 Depth=1
	s_or_b64 exec, exec, s[0:1]
	s_and_saveexec_b64 s[0:1], s[6:7]
	s_cbranch_execnz .LBB73_70
.LBB73_67:                              ;   in Loop: Header=BB73_4 Depth=1
	s_or_b64 exec, exec, s[0:1]
	s_and_saveexec_b64 s[0:1], s[8:9]
	s_cbranch_execz .LBB73_3
	s_branch .LBB73_71
.LBB73_68:                              ;   in Loop: Header=BB73_4 Depth=1
	v_mov_b32_e32 v17, s28
	v_add_co_u32_e32 v2, vcc, s27, v2
	v_addc_co_u32_e32 v3, vcc, v17, v3, vcc
	global_store_byte v[2:3], v16, off
	s_or_b64 exec, exec, s[0:1]
	s_and_saveexec_b64 s[0:1], s[2:3]
	s_cbranch_execz .LBB73_66
.LBB73_69:                              ;   in Loop: Header=BB73_4 Depth=1
	v_mov_b32_e32 v3, s28
	v_add_co_u32_e32 v2, vcc, s27, v4
	v_addc_co_u32_e32 v3, vcc, v3, v5, vcc
	global_store_byte v[2:3], v18, off
	s_or_b64 exec, exec, s[0:1]
	s_and_saveexec_b64 s[0:1], s[6:7]
	s_cbranch_execz .LBB73_67
.LBB73_70:                              ;   in Loop: Header=BB73_4 Depth=1
	v_mov_b32_e32 v3, s28
	v_add_co_u32_e32 v2, vcc, s27, v6
	v_addc_co_u32_e32 v3, vcc, v3, v7, vcc
	global_store_byte v[2:3], v20, off
	s_or_b64 exec, exec, s[0:1]
	s_and_saveexec_b64 s[0:1], s[8:9]
	s_cbranch_execz .LBB73_3
.LBB73_71:                              ;   in Loop: Header=BB73_4 Depth=1
	v_mov_b32_e32 v3, s28
	v_add_co_u32_e32 v2, vcc, s27, v8
	v_addc_co_u32_e32 v3, vcc, v3, v9, vcc
	global_store_byte v[2:3], v19, off
	s_branch .LBB73_3
.LBB73_72:
	s_mov_b64 s[0:1], 0
.LBB73_73:
	s_andn2_b64 vcc, exec, s[0:1]
	s_cbranch_vccnz .LBB73_129
; %bb.74:
	v_mov_b32_e32 v3, 0
	v_lshlrev_b32_e32 v2, 2, v0
	s_mov_b32 s16, 0
	v_cmp_gt_i64_e32 vcc, s[12:13], v[2:3]
	s_and_saveexec_b64 s[0:1], vcc
	s_cbranch_execz .LBB73_129
; %bb.75:
	s_load_dword s0, s[4:5], 0xc5c
	v_mov_b32_e32 v6, 1
	v_mov_b32_e32 v1, v3
	s_mov_b64 s[2:3], 0
	v_mov_b32_e32 v2, s11
	s_mov_b32 s11, 0xffffff
	s_waitcnt lgkmcnt(0)
	s_and_b32 s17, s0, 0xffff
	s_mov_b64 s[4:5], 0xffff
	v_mov_b32_e32 v7, 3
	v_cmp_ne_u16_sdwa s[6:7], s26, v6 src0_sel:BYTE_0 src1_sel:DWORD
	v_mov_b32_e32 v8, -1
	v_mov_b32_e32 v9, 8
	s_branch .LBB73_78
.LBB73_76:                              ;   in Loop: Header=BB73_78 Depth=1
	v_mov_b32_e32 v14, s8
.LBB73_77:                              ;   in Loop: Header=BB73_78 Depth=1
	s_or_b64 exec, exec, s[0:1]
	v_mov_b32_e32 v11, s28
	v_add_co_u32_e32 v4, vcc, s27, v4
	v_addc_co_u32_e32 v5, vcc, v11, v5, vcc
	v_and_b32_e32 v11, 0xff, v13
	v_lshlrev_b32_e32 v11, 16, v11
	v_lshl_or_b32 v11, v14, 24, v11
	v_lshlrev_b32_sdwa v12, v9, v12 dst_sel:DWORD dst_unused:UNUSED_PAD src0_sel:DWORD src1_sel:BYTE_0
	v_and_b32_e32 v10, 0xff, v10
	v_or3_b32 v12, v11, v12, v10
	v_mov_b32_e32 v10, s16
	v_add_co_u32_e32 v0, vcc, s17, v0
	v_addc_co_u32_e32 v1, vcc, v1, v10, vcc
	v_lshlrev_b64 v[10:11], 2, v[0:1]
	v_cmp_le_i64_e32 vcc, s[12:13], v[10:11]
	v_cmp_lt_u64_e64 s[0:1], s[4:5], v[10:11]
	s_or_b64 s[0:1], vcc, s[0:1]
	s_and_b64 s[0:1], exec, s[0:1]
	s_or_b64 s[2:3], s[0:1], s[2:3]
	global_store_dword v[4:5], v12, off
	s_andn2_b64 exec, exec, s[2:3]
	s_cbranch_execz .LBB73_129
.LBB73_78:                              ; =>This Loop Header: Depth=1
                                        ;     Child Loop BB73_81 Depth 2
                                        ;     Child Loop BB73_94 Depth 2
	;; [unrolled: 1-line block ×4, first 2 shown]
	v_lshlrev_b64 v[4:5], 2, v[0:1]
	v_add_co_u32_e32 v10, vcc, s10, v4
	v_addc_co_u32_e32 v11, vcc, v2, v5, vcc
	global_load_dword v11, v[10:11], off
                                        ; implicit-def: $vgpr10
	s_waitcnt vmcnt(0)
	v_bfe_i32 v12, v11, 0, 8
	v_cmp_lt_i16_e32 vcc, -1, v12
	s_and_saveexec_b64 s[0:1], vcc
	s_xor_b64 s[0:1], exec, s[0:1]
	s_cbranch_execz .LBB73_84
; %bb.79:                               ;   in Loop: Header=BB73_78 Depth=1
	v_cmp_ne_u16_e32 vcc, 0, v12
	v_mov_b32_e32 v10, 1
	s_and_saveexec_b64 s[8:9], vcc
	s_cbranch_execz .LBB73_83
; %bb.80:                               ;   in Loop: Header=BB73_78 Depth=1
	s_mov_b64 s[14:15], 0
	v_mov_b32_e32 v10, 1
	s_mov_b32 s18, s26
.LBB73_81:                              ;   Parent Loop BB73_78 Depth=1
                                        ; =>  This Inner Loop Header: Depth=2
	v_and_b32_e32 v13, 1, v12
	v_mov_b32_e32 v14, s18
	v_cmp_eq_u32_e32 vcc, 1, v13
	v_cndmask_b32_e32 v13, 1, v14, vcc
	v_mul_lo_u16_e32 v10, v13, v10
	v_lshrrev_b16_e32 v13, 7, v12
	v_and_b32_e32 v13, 1, v13
	v_add_u16_e32 v13, v12, v13
	v_add_u16_e32 v12, 1, v12
	v_ashrrev_i16_sdwa v13, v6, sext(v13) dst_sel:DWORD dst_unused:UNUSED_PAD src0_sel:DWORD src1_sel:BYTE_0
	s_and_b32 s18, s18, 0xff
	v_cmp_lt_u16_sdwa s[20:21], v12, v7 src0_sel:BYTE_0 src1_sel:DWORD
	s_mul_i32 s18, s18, s18
	s_or_b64 s[14:15], s[20:21], s[14:15]
	v_mov_b32_e32 v12, v13
	s_andn2_b64 exec, exec, s[14:15]
	s_cbranch_execnz .LBB73_81
; %bb.82:                               ;   in Loop: Header=BB73_78 Depth=1
	s_or_b64 exec, exec, s[14:15]
.LBB73_83:                              ;   in Loop: Header=BB73_78 Depth=1
	s_or_b64 exec, exec, s[8:9]
                                        ; implicit-def: $vgpr12
.LBB73_84:                              ;   in Loop: Header=BB73_78 Depth=1
	s_andn2_saveexec_b64 s[0:1], s[0:1]
	s_cbranch_execz .LBB73_91
; %bb.85:                               ;   in Loop: Header=BB73_78 Depth=1
	v_mov_b32_e32 v10, 0xfe
	v_cmp_gt_i16_sdwa s[8:9], s26, v10 src0_sel:BYTE_0 src1_sel:DWORD
	s_and_b64 vcc, exec, s[8:9]
	s_cbranch_vccz .LBB73_87
; %bb.86:                               ;   in Loop: Header=BB73_78 Depth=1
	v_and_b32_e32 v10, 1, v12
	v_cmp_eq_u16_e32 vcc, 0, v10
	v_cndmask_b32_e64 v10, -1, 1, vcc
	s_cbranch_execz .LBB73_88
	s_branch .LBB73_91
.LBB73_87:                              ;   in Loop: Header=BB73_78 Depth=1
                                        ; implicit-def: $vgpr10
.LBB73_88:                              ;   in Loop: Header=BB73_78 Depth=1
	s_mov_b32 s8, 1
	s_and_b64 vcc, exec, s[6:7]
	s_cbranch_vccz .LBB73_90
; %bb.89:                               ;   in Loop: Header=BB73_78 Depth=1
	s_mov_b32 s8, 0
.LBB73_90:                              ;   in Loop: Header=BB73_78 Depth=1
	v_mov_b32_e32 v10, s8
.LBB73_91:                              ;   in Loop: Header=BB73_78 Depth=1
	s_or_b64 exec, exec, s[0:1]
	v_lshrrev_b32_e32 v13, 8, v11
	v_cmp_gt_i16_sdwa s[0:1], sext(v13), v8 src0_sel:BYTE_0 src1_sel:DWORD
                                        ; implicit-def: $vgpr12
	s_and_saveexec_b64 s[8:9], s[0:1]
	s_xor_b64 s[0:1], exec, s[8:9]
	s_cbranch_execz .LBB73_97
; %bb.92:                               ;   in Loop: Header=BB73_78 Depth=1
	v_cmp_ne_u16_sdwa s[14:15], v13, v3 src0_sel:BYTE_0 src1_sel:DWORD
	v_mov_b32_e32 v12, 1
	s_and_saveexec_b64 s[8:9], s[14:15]
	s_cbranch_execz .LBB73_96
; %bb.93:                               ;   in Loop: Header=BB73_78 Depth=1
	s_mov_b64 s[14:15], 0
	v_mov_b32_e32 v12, 1
	s_mov_b32 s18, s26
.LBB73_94:                              ;   Parent Loop BB73_78 Depth=1
                                        ; =>  This Inner Loop Header: Depth=2
	v_and_b32_e32 v14, 1, v13
	v_mov_b32_e32 v15, s18
	v_cmp_eq_u32_e32 vcc, 1, v14
	v_cndmask_b32_e32 v14, 1, v15, vcc
	v_mul_lo_u16_e32 v12, v14, v12
	v_lshrrev_b16_e32 v14, 7, v13
	v_and_b32_e32 v14, 1, v14
	v_add_u16_e32 v14, v13, v14
	v_add_u16_e32 v13, 1, v13
	v_ashrrev_i16_sdwa v14, v6, sext(v14) dst_sel:DWORD dst_unused:UNUSED_PAD src0_sel:DWORD src1_sel:BYTE_0
	s_and_b32 s18, s18, 0xff
	v_cmp_lt_u16_sdwa s[20:21], v13, v7 src0_sel:BYTE_0 src1_sel:DWORD
	s_mul_i32 s18, s18, s18
	s_or_b64 s[14:15], s[20:21], s[14:15]
	v_mov_b32_e32 v13, v14
	s_andn2_b64 exec, exec, s[14:15]
	s_cbranch_execnz .LBB73_94
; %bb.95:                               ;   in Loop: Header=BB73_78 Depth=1
	s_or_b64 exec, exec, s[14:15]
.LBB73_96:                              ;   in Loop: Header=BB73_78 Depth=1
	s_or_b64 exec, exec, s[8:9]
                                        ; implicit-def: $vgpr13
.LBB73_97:                              ;   in Loop: Header=BB73_78 Depth=1
	s_andn2_saveexec_b64 s[0:1], s[0:1]
	s_cbranch_execz .LBB73_104
; %bb.98:                               ;   in Loop: Header=BB73_78 Depth=1
	v_mov_b32_e32 v12, 0xfe
	v_cmp_gt_i16_sdwa s[8:9], s26, v12 src0_sel:BYTE_0 src1_sel:DWORD
	s_and_b64 vcc, exec, s[8:9]
	s_cbranch_vccz .LBB73_100
; %bb.99:                               ;   in Loop: Header=BB73_78 Depth=1
	v_and_b32_e32 v12, 1, v13
	v_cmp_eq_u16_e32 vcc, 0, v12
	v_cndmask_b32_e64 v12, -1, 1, vcc
	s_cbranch_execz .LBB73_101
	s_branch .LBB73_104
.LBB73_100:                             ;   in Loop: Header=BB73_78 Depth=1
                                        ; implicit-def: $vgpr12
.LBB73_101:                             ;   in Loop: Header=BB73_78 Depth=1
	s_mov_b32 s8, 1
	s_and_b64 vcc, exec, s[6:7]
	s_cbranch_vccz .LBB73_103
; %bb.102:                              ;   in Loop: Header=BB73_78 Depth=1
	s_mov_b32 s8, 0
.LBB73_103:                             ;   in Loop: Header=BB73_78 Depth=1
	v_mov_b32_e32 v12, s8
.LBB73_104:                             ;   in Loop: Header=BB73_78 Depth=1
	s_or_b64 exec, exec, s[0:1]
	v_lshrrev_b32_e32 v14, 16, v11
	v_cmp_gt_i16_sdwa s[0:1], sext(v14), v8 src0_sel:BYTE_0 src1_sel:DWORD
                                        ; implicit-def: $vgpr13
	s_and_saveexec_b64 s[8:9], s[0:1]
	s_xor_b64 s[0:1], exec, s[8:9]
	s_cbranch_execz .LBB73_110
; %bb.105:                              ;   in Loop: Header=BB73_78 Depth=1
	v_cmp_ne_u16_sdwa s[14:15], v14, v3 src0_sel:BYTE_0 src1_sel:DWORD
	v_mov_b32_e32 v13, 1
	s_and_saveexec_b64 s[8:9], s[14:15]
	s_cbranch_execz .LBB73_109
; %bb.106:                              ;   in Loop: Header=BB73_78 Depth=1
	s_mov_b64 s[14:15], 0
	v_mov_b32_e32 v13, 1
	s_mov_b32 s18, s26
.LBB73_107:                             ;   Parent Loop BB73_78 Depth=1
                                        ; =>  This Inner Loop Header: Depth=2
	v_and_b32_e32 v15, 1, v14
	v_mov_b32_e32 v16, s18
	v_cmp_eq_u32_e32 vcc, 1, v15
	v_cndmask_b32_e32 v15, 1, v16, vcc
	v_mul_lo_u16_e32 v13, v15, v13
	v_lshrrev_b16_e32 v15, 7, v14
	v_and_b32_e32 v15, 1, v15
	v_add_u16_e32 v15, v14, v15
	v_add_u16_e32 v14, 1, v14
	v_ashrrev_i16_sdwa v15, v6, sext(v15) dst_sel:DWORD dst_unused:UNUSED_PAD src0_sel:DWORD src1_sel:BYTE_0
	s_and_b32 s18, s18, 0xff
	v_cmp_lt_u16_sdwa s[20:21], v14, v7 src0_sel:BYTE_0 src1_sel:DWORD
	s_mul_i32 s18, s18, s18
	s_or_b64 s[14:15], s[20:21], s[14:15]
	v_mov_b32_e32 v14, v15
	s_andn2_b64 exec, exec, s[14:15]
	s_cbranch_execnz .LBB73_107
; %bb.108:                              ;   in Loop: Header=BB73_78 Depth=1
	s_or_b64 exec, exec, s[14:15]
.LBB73_109:                             ;   in Loop: Header=BB73_78 Depth=1
	s_or_b64 exec, exec, s[8:9]
                                        ; implicit-def: $vgpr14
.LBB73_110:                             ;   in Loop: Header=BB73_78 Depth=1
	s_andn2_saveexec_b64 s[0:1], s[0:1]
	s_cbranch_execz .LBB73_117
; %bb.111:                              ;   in Loop: Header=BB73_78 Depth=1
	v_mov_b32_e32 v13, 0xfe
	v_cmp_gt_i16_sdwa s[8:9], s26, v13 src0_sel:BYTE_0 src1_sel:DWORD
	s_and_b64 vcc, exec, s[8:9]
	s_cbranch_vccz .LBB73_113
; %bb.112:                              ;   in Loop: Header=BB73_78 Depth=1
	v_and_b32_e32 v13, 1, v14
	v_cmp_eq_u16_e32 vcc, 0, v13
	v_cndmask_b32_e64 v13, -1, 1, vcc
	s_cbranch_execz .LBB73_114
	s_branch .LBB73_117
.LBB73_113:                             ;   in Loop: Header=BB73_78 Depth=1
                                        ; implicit-def: $vgpr13
.LBB73_114:                             ;   in Loop: Header=BB73_78 Depth=1
	s_mov_b32 s8, 1
	s_and_b64 vcc, exec, s[6:7]
	s_cbranch_vccz .LBB73_116
; %bb.115:                              ;   in Loop: Header=BB73_78 Depth=1
	s_mov_b32 s8, 0
.LBB73_116:                             ;   in Loop: Header=BB73_78 Depth=1
	v_mov_b32_e32 v13, s8
.LBB73_117:                             ;   in Loop: Header=BB73_78 Depth=1
	s_or_b64 exec, exec, s[0:1]
	v_cmp_lt_i32_e32 vcc, -1, v11
                                        ; implicit-def: $vgpr14
	s_and_saveexec_b64 s[0:1], vcc
	s_xor_b64 s[0:1], exec, s[0:1]
	s_cbranch_execz .LBB73_123
; %bb.118:                              ;   in Loop: Header=BB73_78 Depth=1
	v_cmp_lt_u32_e32 vcc, s11, v11
	v_mov_b32_e32 v14, 1
	s_and_saveexec_b64 s[8:9], vcc
	s_cbranch_execz .LBB73_122
; %bb.119:                              ;   in Loop: Header=BB73_78 Depth=1
	v_lshrrev_b32_e32 v11, 24, v11
	s_mov_b64 s[14:15], 0
	v_mov_b32_e32 v14, 1
	s_mov_b32 s18, s26
.LBB73_120:                             ;   Parent Loop BB73_78 Depth=1
                                        ; =>  This Inner Loop Header: Depth=2
	v_and_b32_e32 v15, 1, v11
	v_mov_b32_e32 v16, s18
	v_cmp_eq_u32_e32 vcc, 1, v15
	v_cndmask_b32_e32 v15, 1, v16, vcc
	v_mul_lo_u16_e32 v14, v15, v14
	v_lshrrev_b16_e32 v15, 7, v11
	v_and_b32_e32 v15, 1, v15
	v_add_u16_e32 v15, v11, v15
	v_add_u16_e32 v11, 1, v11
	v_ashrrev_i16_sdwa v15, v6, sext(v15) dst_sel:DWORD dst_unused:UNUSED_PAD src0_sel:DWORD src1_sel:BYTE_0
	s_and_b32 s18, s18, 0xff
	v_cmp_lt_u16_sdwa s[20:21], v11, v7 src0_sel:BYTE_0 src1_sel:DWORD
	s_mul_i32 s18, s18, s18
	s_or_b64 s[14:15], s[20:21], s[14:15]
	v_mov_b32_e32 v11, v15
	s_andn2_b64 exec, exec, s[14:15]
	s_cbranch_execnz .LBB73_120
; %bb.121:                              ;   in Loop: Header=BB73_78 Depth=1
	s_or_b64 exec, exec, s[14:15]
.LBB73_122:                             ;   in Loop: Header=BB73_78 Depth=1
	s_or_b64 exec, exec, s[8:9]
                                        ; implicit-def: $vgpr11
.LBB73_123:                             ;   in Loop: Header=BB73_78 Depth=1
	s_andn2_saveexec_b64 s[0:1], s[0:1]
	s_cbranch_execz .LBB73_77
; %bb.124:                              ;   in Loop: Header=BB73_78 Depth=1
	v_mov_b32_e32 v14, 0xfe
	v_cmp_gt_i16_sdwa s[8:9], s26, v14 src0_sel:BYTE_0 src1_sel:DWORD
	s_and_b64 vcc, exec, s[8:9]
	s_cbranch_vccz .LBB73_126
; %bb.125:                              ;   in Loop: Header=BB73_78 Depth=1
	v_and_b32_sdwa v11, v11, v6 dst_sel:DWORD dst_unused:UNUSED_PAD src0_sel:BYTE_3 src1_sel:DWORD
	v_cmp_eq_u16_e32 vcc, 0, v11
	v_cndmask_b32_e64 v14, -1, 1, vcc
	s_cbranch_execnz .LBB73_77
	s_branch .LBB73_127
.LBB73_126:                             ;   in Loop: Header=BB73_78 Depth=1
                                        ; implicit-def: $vgpr14
.LBB73_127:                             ;   in Loop: Header=BB73_78 Depth=1
	s_mov_b32 s8, 1
	s_and_b64 vcc, exec, s[6:7]
	s_cbranch_vccz .LBB73_76
; %bb.128:                              ;   in Loop: Header=BB73_78 Depth=1
	s_mov_b32 s8, 0
	s_branch .LBB73_76
.LBB73_129:
	s_endpgm
	.section	.rodata,"a",@progbits
	.p2align	6, 0x0
	.amdhsa_kernel _ZN2at6native12_GLOBAL__N_125multi_tensor_apply_kernelINS1_18TensorListMetadataILi2EEENS1_21BinaryOpScalarFunctorIaLi2ELi1ELi1EEEJNS1_21reverse_power_functorIaEEaEEEvT_T0_DpT1_
		.amdhsa_group_segment_fixed_size 0
		.amdhsa_private_segment_fixed_size 0
		.amdhsa_kernarg_size 3408
		.amdhsa_user_sgpr_count 6
		.amdhsa_user_sgpr_private_segment_buffer 1
		.amdhsa_user_sgpr_dispatch_ptr 0
		.amdhsa_user_sgpr_queue_ptr 0
		.amdhsa_user_sgpr_kernarg_segment_ptr 1
		.amdhsa_user_sgpr_dispatch_id 0
		.amdhsa_user_sgpr_flat_scratch_init 0
		.amdhsa_user_sgpr_kernarg_preload_length 0
		.amdhsa_user_sgpr_kernarg_preload_offset 0
		.amdhsa_user_sgpr_private_segment_size 0
		.amdhsa_uses_dynamic_stack 0
		.amdhsa_system_sgpr_private_segment_wavefront_offset 0
		.amdhsa_system_sgpr_workgroup_id_x 1
		.amdhsa_system_sgpr_workgroup_id_y 0
		.amdhsa_system_sgpr_workgroup_id_z 0
		.amdhsa_system_sgpr_workgroup_info 0
		.amdhsa_system_vgpr_workitem_id 0
		.amdhsa_next_free_vgpr 23
		.amdhsa_next_free_sgpr 38
		.amdhsa_accum_offset 24
		.amdhsa_reserve_vcc 1
		.amdhsa_reserve_flat_scratch 0
		.amdhsa_float_round_mode_32 0
		.amdhsa_float_round_mode_16_64 0
		.amdhsa_float_denorm_mode_32 3
		.amdhsa_float_denorm_mode_16_64 3
		.amdhsa_dx10_clamp 1
		.amdhsa_ieee_mode 1
		.amdhsa_fp16_overflow 0
		.amdhsa_tg_split 0
		.amdhsa_exception_fp_ieee_invalid_op 0
		.amdhsa_exception_fp_denorm_src 0
		.amdhsa_exception_fp_ieee_div_zero 0
		.amdhsa_exception_fp_ieee_overflow 0
		.amdhsa_exception_fp_ieee_underflow 0
		.amdhsa_exception_fp_ieee_inexact 0
		.amdhsa_exception_int_div_zero 0
	.end_amdhsa_kernel
	.section	.text._ZN2at6native12_GLOBAL__N_125multi_tensor_apply_kernelINS1_18TensorListMetadataILi2EEENS1_21BinaryOpScalarFunctorIaLi2ELi1ELi1EEEJNS1_21reverse_power_functorIaEEaEEEvT_T0_DpT1_,"axG",@progbits,_ZN2at6native12_GLOBAL__N_125multi_tensor_apply_kernelINS1_18TensorListMetadataILi2EEENS1_21BinaryOpScalarFunctorIaLi2ELi1ELi1EEEJNS1_21reverse_power_functorIaEEaEEEvT_T0_DpT1_,comdat
.Lfunc_end73:
	.size	_ZN2at6native12_GLOBAL__N_125multi_tensor_apply_kernelINS1_18TensorListMetadataILi2EEENS1_21BinaryOpScalarFunctorIaLi2ELi1ELi1EEEJNS1_21reverse_power_functorIaEEaEEEvT_T0_DpT1_, .Lfunc_end73-_ZN2at6native12_GLOBAL__N_125multi_tensor_apply_kernelINS1_18TensorListMetadataILi2EEENS1_21BinaryOpScalarFunctorIaLi2ELi1ELi1EEEJNS1_21reverse_power_functorIaEEaEEEvT_T0_DpT1_
                                        ; -- End function
	.section	.AMDGPU.csdata,"",@progbits
; Kernel info:
; codeLenInByte = 2760
; NumSgprs: 42
; NumVgprs: 23
; NumAgprs: 0
; TotalNumVgprs: 23
; ScratchSize: 0
; MemoryBound: 0
; FloatMode: 240
; IeeeMode: 1
; LDSByteSize: 0 bytes/workgroup (compile time only)
; SGPRBlocks: 5
; VGPRBlocks: 2
; NumSGPRsForWavesPerEU: 42
; NumVGPRsForWavesPerEU: 23
; AccumOffset: 24
; Occupancy: 8
; WaveLimiterHint : 0
; COMPUTE_PGM_RSRC2:SCRATCH_EN: 0
; COMPUTE_PGM_RSRC2:USER_SGPR: 6
; COMPUTE_PGM_RSRC2:TRAP_HANDLER: 0
; COMPUTE_PGM_RSRC2:TGID_X_EN: 1
; COMPUTE_PGM_RSRC2:TGID_Y_EN: 0
; COMPUTE_PGM_RSRC2:TGID_Z_EN: 0
; COMPUTE_PGM_RSRC2:TIDIG_COMP_CNT: 0
; COMPUTE_PGM_RSRC3_GFX90A:ACCUM_OFFSET: 5
; COMPUTE_PGM_RSRC3_GFX90A:TG_SPLIT: 0
	.section	.text._ZN2at6native12_GLOBAL__N_125multi_tensor_apply_kernelINS1_18TensorListMetadataILi2EEENS1_21BinaryOpScalarFunctorIiLi2ELi1ELi1EEEJNS1_21reverse_power_functorIiEEiEEEvT_T0_DpT1_,"axG",@progbits,_ZN2at6native12_GLOBAL__N_125multi_tensor_apply_kernelINS1_18TensorListMetadataILi2EEENS1_21BinaryOpScalarFunctorIiLi2ELi1ELi1EEEJNS1_21reverse_power_functorIiEEiEEEvT_T0_DpT1_,comdat
	.globl	_ZN2at6native12_GLOBAL__N_125multi_tensor_apply_kernelINS1_18TensorListMetadataILi2EEENS1_21BinaryOpScalarFunctorIiLi2ELi1ELi1EEEJNS1_21reverse_power_functorIiEEiEEEvT_T0_DpT1_ ; -- Begin function _ZN2at6native12_GLOBAL__N_125multi_tensor_apply_kernelINS1_18TensorListMetadataILi2EEENS1_21BinaryOpScalarFunctorIiLi2ELi1ELi1EEEJNS1_21reverse_power_functorIiEEiEEEvT_T0_DpT1_
	.p2align	8
	.type	_ZN2at6native12_GLOBAL__N_125multi_tensor_apply_kernelINS1_18TensorListMetadataILi2EEENS1_21BinaryOpScalarFunctorIiLi2ELi1ELi1EEEJNS1_21reverse_power_functorIiEEiEEEvT_T0_DpT1_,@function
_ZN2at6native12_GLOBAL__N_125multi_tensor_apply_kernelINS1_18TensorListMetadataILi2EEENS1_21BinaryOpScalarFunctorIiLi2ELi1ELi1EEEJNS1_21reverse_power_functorIiEEiEEEvT_T0_DpT1_: ; @_ZN2at6native12_GLOBAL__N_125multi_tensor_apply_kernelINS1_18TensorListMetadataILi2EEENS1_21BinaryOpScalarFunctorIiLi2ELi1ELi1EEEJNS1_21reverse_power_functorIiEEiEEEvT_T0_DpT1_
; %bb.0:
	v_mov_b32_e32 v1, s6
	global_load_ubyte v1, v1, s[4:5] offset:1536
	s_add_u32 s0, s4, s6
	s_mul_hi_u32 s1, s6, 3
	s_mul_i32 s6, s6, 3
	s_addc_u32 s2, s5, 0
	s_add_u32 s0, s0, s6
	s_addc_u32 s1, s2, s1
	s_load_dword s0, s[0:1], 0x740
	s_mov_b32 s3, 0
	s_mov_b32 s9, s3
	;; [unrolled: 1-line block ×3, first 2 shown]
	s_waitcnt lgkmcnt(0)
	s_ashr_i32 s1, s0, 31
	s_lshl_b64 s[16:17], s[0:1], 18
	s_waitcnt vmcnt(0)
	v_readfirstlane_b32 s2, v1
	s_lshl_b32 s2, s2, 3
	s_load_dwordx2 s[10:11], s[4:5], s2 offset:0x0
	s_load_dword s24, s[4:5], 0xc4c
	s_load_dwordx2 s[12:13], s[4:5], s2 offset:0x400
	s_load_dwordx2 s[14:15], s[4:5], s2 offset:0x200
	s_waitcnt lgkmcnt(0)
	s_add_u32 s25, s10, s16
	s_addc_u32 s28, s11, s17
	s_and_b32 s2, s25, 15
	s_add_u32 s26, s14, s16
	s_addc_u32 s27, s15, s17
	s_and_b32 s8, s12, 3
	s_and_b32 s6, s26, 15
	s_or_b64 s[2:3], s[2:3], s[8:9]
	s_or_b64 s[2:3], s[6:7], s[2:3]
	s_lshl_b64 s[0:1], s[0:1], 16
	s_sub_u32 s10, s12, s0
	s_subb_u32 s11, s13, s1
	s_cmp_eq_u64 s[2:3], 0
	s_mov_b64 s[0:1], -1
	s_cbranch_scc1 .LBB74_81
; %bb.1:
	v_cmp_lt_i64_e64 s[0:1], s[10:11], 1
	s_and_b64 vcc, exec, s[0:1]
	s_cbranch_vccnz .LBB74_80
; %bb.2:
	s_load_dword s0, s[4:5], 0xc5c
	v_mov_b32_e32 v2, 0x10000
	v_mov_b32_e32 v3, 0
	v_cmp_lt_u64_e32 vcc, s[10:11], v[2:3]
	s_mov_b32 s2, 0
	s_waitcnt lgkmcnt(0)
	s_and_b32 s29, s0, 0xffff
	s_and_b64 s[0:1], vcc, exec
	s_cselect_b32 s13, s11, 0
	s_cselect_b32 s12, s10, 0x10000
	s_lshl_b32 s30, s29, 1
	s_mul_i32 s31, s29, 3
	s_lshl_b32 s33, s29, 2
	s_mov_b64 s[14:15], 0
	v_mov_b32_e32 v1, s2
	v_mov_b32_e32 v10, s2
	;; [unrolled: 1-line block ×3, first 2 shown]
	s_branch .LBB74_4
.LBB74_3:                               ;   in Loop: Header=BB74_4 Depth=1
	s_or_b64 exec, exec, s[0:1]
	s_add_u32 s14, s14, s33
	s_addc_u32 s15, s15, 0
	v_pk_mov_b32 v[2:3], s[10:11], s[10:11] op_sel:[0,1]
	v_cmp_ge_i64_e32 vcc, s[14:15], v[2:3]
	v_mov_b32_e32 v2, 0xffff
	v_mov_b32_e32 v3, 0
	v_cmp_gt_u64_e64 s[0:1], s[14:15], v[2:3]
	s_or_b64 s[0:1], vcc, s[0:1]
	s_and_b64 vcc, exec, s[0:1]
	s_cbranch_vccnz .LBB74_80
.LBB74_4:                               ; =>This Loop Header: Depth=1
                                        ;     Child Loop BB74_15 Depth 2
                                        ;     Child Loop BB74_27 Depth 2
	;; [unrolled: 1-line block ×4, first 2 shown]
	v_mov_b32_e32 v2, s15
	v_add_co_u32_e32 v8, vcc, s14, v0
	v_addc_co_u32_e32 v9, vcc, 0, v2, vcc
	v_cmp_gt_u64_e64 s[0:1], s[12:13], v[8:9]
	v_lshlrev_b64 v[2:3], 2, v[8:9]
	v_mov_b32_e32 v15, 0
	s_and_saveexec_b64 s[2:3], s[0:1]
	s_cbranch_execz .LBB74_6
; %bb.5:                                ;   in Loop: Header=BB74_4 Depth=1
	v_mov_b32_e32 v5, s28
	v_add_co_u32_e32 v4, vcc, s25, v2
	v_addc_co_u32_e32 v5, vcc, v5, v3, vcc
	global_load_dword v15, v[4:5], off
.LBB74_6:                               ;   in Loop: Header=BB74_4 Depth=1
	s_or_b64 exec, exec, s[2:3]
	v_add_co_u32_e32 v4, vcc, s29, v8
	v_addc_co_u32_e32 v5, vcc, v9, v1, vcc
	v_cmp_gt_u64_e64 s[2:3], s[12:13], v[4:5]
	v_lshlrev_b64 v[4:5], 2, v[4:5]
	v_mov_b32_e32 v16, 0
	s_and_saveexec_b64 s[6:7], s[2:3]
	s_cbranch_execz .LBB74_8
; %bb.7:                                ;   in Loop: Header=BB74_4 Depth=1
	v_mov_b32_e32 v7, s28
	v_add_co_u32_e32 v6, vcc, s25, v4
	v_addc_co_u32_e32 v7, vcc, v7, v5, vcc
	global_load_dword v16, v[6:7], off
.LBB74_8:                               ;   in Loop: Header=BB74_4 Depth=1
	s_or_b64 exec, exec, s[6:7]
	v_add_co_u32_e32 v6, vcc, s30, v8
	v_addc_co_u32_e32 v7, vcc, v9, v10, vcc
	v_cmp_gt_u64_e64 s[6:7], s[12:13], v[6:7]
	v_mov_b32_e32 v12, 0
	v_lshlrev_b64 v[6:7], 2, v[6:7]
	v_mov_b32_e32 v14, 0
	s_and_saveexec_b64 s[8:9], s[6:7]
	s_cbranch_execz .LBB74_10
; %bb.9:                                ;   in Loop: Header=BB74_4 Depth=1
	v_mov_b32_e32 v13, s28
	v_add_co_u32_e32 v18, vcc, s25, v6
	v_addc_co_u32_e32 v19, vcc, v13, v7, vcc
	global_load_dword v14, v[18:19], off
.LBB74_10:                              ;   in Loop: Header=BB74_4 Depth=1
	s_or_b64 exec, exec, s[8:9]
	v_add_co_u32_e32 v8, vcc, s31, v8
	v_addc_co_u32_e32 v9, vcc, v9, v11, vcc
	v_cmp_gt_u64_e64 s[8:9], s[12:13], v[8:9]
	v_lshlrev_b64 v[8:9], 2, v[8:9]
	s_and_saveexec_b64 s[16:17], s[8:9]
	s_cbranch_execz .LBB74_12
; %bb.11:                               ;   in Loop: Header=BB74_4 Depth=1
	v_mov_b32_e32 v13, s28
	v_add_co_u32_e32 v12, vcc, s25, v8
	v_addc_co_u32_e32 v13, vcc, v13, v9, vcc
	global_load_dword v12, v[12:13], off
.LBB74_12:                              ;   in Loop: Header=BB74_4 Depth=1
	s_or_b64 exec, exec, s[16:17]
	s_waitcnt vmcnt(0)
	v_cmp_lt_i32_e32 vcc, -1, v15
                                        ; implicit-def: $vgpr13
	s_and_saveexec_b64 s[16:17], vcc
	s_xor_b64 s[16:17], exec, s[16:17]
	s_cbranch_execz .LBB74_18
; %bb.13:                               ;   in Loop: Header=BB74_4 Depth=1
	v_cmp_ne_u32_e32 vcc, 0, v15
	v_mov_b32_e32 v13, 1
	s_and_saveexec_b64 s[18:19], vcc
	s_cbranch_execz .LBB74_17
; %bb.14:                               ;   in Loop: Header=BB74_4 Depth=1
	s_mov_b64 s[20:21], 0
	v_mov_b32_e32 v13, 1
	s_mov_b32 s22, s24
.LBB74_15:                              ;   Parent Loop BB74_4 Depth=1
                                        ; =>  This Inner Loop Header: Depth=2
	v_and_b32_e32 v17, 1, v15
	v_mov_b32_e32 v18, s22
	v_cmp_eq_u32_e32 vcc, 1, v17
	v_cndmask_b32_e32 v17, 1, v18, vcc
	v_mul_lo_u32 v13, v17, v13
	v_lshrrev_b32_e32 v17, 1, v15
	v_cmp_gt_u32_e32 vcc, 2, v15
	s_mul_i32 s22, s22, s22
	s_or_b64 s[20:21], vcc, s[20:21]
	v_mov_b32_e32 v15, v17
	s_andn2_b64 exec, exec, s[20:21]
	s_cbranch_execnz .LBB74_15
; %bb.16:                               ;   in Loop: Header=BB74_4 Depth=1
	s_or_b64 exec, exec, s[20:21]
.LBB74_17:                              ;   in Loop: Header=BB74_4 Depth=1
	s_or_b64 exec, exec, s[18:19]
                                        ; implicit-def: $vgpr15
.LBB74_18:                              ;   in Loop: Header=BB74_4 Depth=1
	s_andn2_saveexec_b64 s[16:17], s[16:17]
	s_cbranch_execz .LBB74_24
; %bb.19:                               ;   in Loop: Header=BB74_4 Depth=1
	s_mov_b64 s[22:23], -1
	s_mov_b64 s[18:19], 0
	s_cmp_lt_i32 s24, 1
	s_mov_b64 s[20:21], 0
	s_cbranch_scc0 .LBB74_68
; %bb.20:                               ;   in Loop: Header=BB74_4 Depth=1
	s_andn2_b64 vcc, exec, s[22:23]
	s_cbranch_vccz .LBB74_69
.LBB74_21:                              ;   in Loop: Header=BB74_4 Depth=1
	s_andn2_b64 vcc, exec, s[20:21]
	s_mov_b32 s20, s24
	s_cbranch_vccz .LBB74_70
.LBB74_22:                              ;   in Loop: Header=BB74_4 Depth=1
	s_andn2_b64 vcc, exec, s[18:19]
	v_mov_b32_e32 v13, s20
	s_cbranch_vccnz .LBB74_24
.LBB74_23:                              ;   in Loop: Header=BB74_4 Depth=1
	v_and_b32_e32 v13, 1, v15
	v_cmp_eq_u32_e32 vcc, 0, v13
	v_cndmask_b32_e64 v13, -1, 1, vcc
.LBB74_24:                              ;   in Loop: Header=BB74_4 Depth=1
	s_or_b64 exec, exec, s[16:17]
	v_cmp_lt_i32_e32 vcc, -1, v16
                                        ; implicit-def: $vgpr15
	s_and_saveexec_b64 s[16:17], vcc
	s_xor_b64 s[16:17], exec, s[16:17]
	s_cbranch_execz .LBB74_30
; %bb.25:                               ;   in Loop: Header=BB74_4 Depth=1
	v_cmp_ne_u32_e32 vcc, 0, v16
	v_mov_b32_e32 v15, 1
	s_and_saveexec_b64 s[18:19], vcc
	s_cbranch_execz .LBB74_29
; %bb.26:                               ;   in Loop: Header=BB74_4 Depth=1
	s_mov_b64 s[20:21], 0
	v_mov_b32_e32 v15, 1
	s_mov_b32 s22, s24
.LBB74_27:                              ;   Parent Loop BB74_4 Depth=1
                                        ; =>  This Inner Loop Header: Depth=2
	v_and_b32_e32 v17, 1, v16
	v_mov_b32_e32 v18, s22
	v_cmp_eq_u32_e32 vcc, 1, v17
	v_cndmask_b32_e32 v17, 1, v18, vcc
	v_mul_lo_u32 v15, v17, v15
	v_lshrrev_b32_e32 v17, 1, v16
	v_cmp_gt_u32_e32 vcc, 2, v16
	s_mul_i32 s22, s22, s22
	s_or_b64 s[20:21], vcc, s[20:21]
	v_mov_b32_e32 v16, v17
	s_andn2_b64 exec, exec, s[20:21]
	s_cbranch_execnz .LBB74_27
; %bb.28:                               ;   in Loop: Header=BB74_4 Depth=1
	s_or_b64 exec, exec, s[20:21]
.LBB74_29:                              ;   in Loop: Header=BB74_4 Depth=1
	s_or_b64 exec, exec, s[18:19]
                                        ; implicit-def: $vgpr16
.LBB74_30:                              ;   in Loop: Header=BB74_4 Depth=1
	s_andn2_saveexec_b64 s[16:17], s[16:17]
	s_cbranch_execz .LBB74_36
; %bb.31:                               ;   in Loop: Header=BB74_4 Depth=1
	s_mov_b64 s[22:23], -1
	s_mov_b64 s[18:19], 0
	s_cmp_lt_i32 s24, 1
	s_mov_b64 s[20:21], 0
	s_cbranch_scc0 .LBB74_71
; %bb.32:                               ;   in Loop: Header=BB74_4 Depth=1
	s_andn2_b64 vcc, exec, s[22:23]
	s_cbranch_vccz .LBB74_72
.LBB74_33:                              ;   in Loop: Header=BB74_4 Depth=1
	s_andn2_b64 vcc, exec, s[20:21]
	s_mov_b32 s20, s24
	s_cbranch_vccz .LBB74_73
.LBB74_34:                              ;   in Loop: Header=BB74_4 Depth=1
	s_andn2_b64 vcc, exec, s[18:19]
	v_mov_b32_e32 v15, s20
	s_cbranch_vccnz .LBB74_36
.LBB74_35:                              ;   in Loop: Header=BB74_4 Depth=1
	v_and_b32_e32 v15, 1, v16
	v_cmp_eq_u32_e32 vcc, 0, v15
	v_cndmask_b32_e64 v15, -1, 1, vcc
.LBB74_36:                              ;   in Loop: Header=BB74_4 Depth=1
	s_or_b64 exec, exec, s[16:17]
	v_cmp_lt_i32_e32 vcc, -1, v14
                                        ; implicit-def: $vgpr16
	s_and_saveexec_b64 s[16:17], vcc
	s_xor_b64 s[16:17], exec, s[16:17]
	s_cbranch_execz .LBB74_42
; %bb.37:                               ;   in Loop: Header=BB74_4 Depth=1
	v_cmp_ne_u32_e32 vcc, 0, v14
	v_mov_b32_e32 v16, 1
	s_and_saveexec_b64 s[18:19], vcc
	s_cbranch_execz .LBB74_41
; %bb.38:                               ;   in Loop: Header=BB74_4 Depth=1
	s_mov_b64 s[20:21], 0
	v_mov_b32_e32 v16, 1
	s_mov_b32 s22, s24
.LBB74_39:                              ;   Parent Loop BB74_4 Depth=1
                                        ; =>  This Inner Loop Header: Depth=2
	v_and_b32_e32 v17, 1, v14
	v_mov_b32_e32 v18, s22
	v_cmp_eq_u32_e32 vcc, 1, v17
	v_cndmask_b32_e32 v17, 1, v18, vcc
	v_mul_lo_u32 v16, v17, v16
	v_lshrrev_b32_e32 v17, 1, v14
	v_cmp_gt_u32_e32 vcc, 2, v14
	s_mul_i32 s22, s22, s22
	s_or_b64 s[20:21], vcc, s[20:21]
	v_mov_b32_e32 v14, v17
	s_andn2_b64 exec, exec, s[20:21]
	s_cbranch_execnz .LBB74_39
; %bb.40:                               ;   in Loop: Header=BB74_4 Depth=1
	s_or_b64 exec, exec, s[20:21]
.LBB74_41:                              ;   in Loop: Header=BB74_4 Depth=1
	s_or_b64 exec, exec, s[18:19]
                                        ; implicit-def: $vgpr14
.LBB74_42:                              ;   in Loop: Header=BB74_4 Depth=1
	s_andn2_saveexec_b64 s[16:17], s[16:17]
	s_cbranch_execz .LBB74_48
; %bb.43:                               ;   in Loop: Header=BB74_4 Depth=1
	s_mov_b64 s[22:23], -1
	s_mov_b64 s[18:19], 0
	s_cmp_lt_i32 s24, 1
	s_mov_b64 s[20:21], 0
	s_cbranch_scc0 .LBB74_74
; %bb.44:                               ;   in Loop: Header=BB74_4 Depth=1
	s_andn2_b64 vcc, exec, s[22:23]
	s_cbranch_vccz .LBB74_75
.LBB74_45:                              ;   in Loop: Header=BB74_4 Depth=1
	s_andn2_b64 vcc, exec, s[20:21]
	s_mov_b32 s20, s24
	s_cbranch_vccz .LBB74_76
.LBB74_46:                              ;   in Loop: Header=BB74_4 Depth=1
	s_andn2_b64 vcc, exec, s[18:19]
	v_mov_b32_e32 v16, s20
	s_cbranch_vccnz .LBB74_48
.LBB74_47:                              ;   in Loop: Header=BB74_4 Depth=1
	v_and_b32_e32 v14, 1, v14
	v_cmp_eq_u32_e32 vcc, 0, v14
	v_cndmask_b32_e64 v16, -1, 1, vcc
.LBB74_48:                              ;   in Loop: Header=BB74_4 Depth=1
	s_or_b64 exec, exec, s[16:17]
	v_cmp_lt_i32_e32 vcc, -1, v12
                                        ; implicit-def: $vgpr14
	s_and_saveexec_b64 s[16:17], vcc
	s_xor_b64 s[16:17], exec, s[16:17]
	s_cbranch_execz .LBB74_54
; %bb.49:                               ;   in Loop: Header=BB74_4 Depth=1
	v_cmp_ne_u32_e32 vcc, 0, v12
	v_mov_b32_e32 v14, 1
	s_and_saveexec_b64 s[18:19], vcc
	s_cbranch_execz .LBB74_53
; %bb.50:                               ;   in Loop: Header=BB74_4 Depth=1
	s_mov_b64 s[20:21], 0
	v_mov_b32_e32 v14, 1
	s_mov_b32 s22, s24
.LBB74_51:                              ;   Parent Loop BB74_4 Depth=1
                                        ; =>  This Inner Loop Header: Depth=2
	v_and_b32_e32 v17, 1, v12
	v_mov_b32_e32 v18, s22
	v_cmp_eq_u32_e32 vcc, 1, v17
	v_cndmask_b32_e32 v17, 1, v18, vcc
	v_mul_lo_u32 v14, v17, v14
	v_lshrrev_b32_e32 v17, 1, v12
	v_cmp_gt_u32_e32 vcc, 2, v12
	s_mul_i32 s22, s22, s22
	s_or_b64 s[20:21], vcc, s[20:21]
	v_mov_b32_e32 v12, v17
	s_andn2_b64 exec, exec, s[20:21]
	s_cbranch_execnz .LBB74_51
; %bb.52:                               ;   in Loop: Header=BB74_4 Depth=1
	s_or_b64 exec, exec, s[20:21]
.LBB74_53:                              ;   in Loop: Header=BB74_4 Depth=1
	s_or_b64 exec, exec, s[18:19]
                                        ; implicit-def: $vgpr12
.LBB74_54:                              ;   in Loop: Header=BB74_4 Depth=1
	s_andn2_saveexec_b64 s[16:17], s[16:17]
	s_cbranch_execz .LBB74_60
; %bb.55:                               ;   in Loop: Header=BB74_4 Depth=1
	s_mov_b64 s[22:23], -1
	s_mov_b64 s[18:19], 0
	s_cmp_lt_i32 s24, 1
	s_mov_b64 s[20:21], 0
	s_cbranch_scc0 .LBB74_77
; %bb.56:                               ;   in Loop: Header=BB74_4 Depth=1
	s_andn2_b64 vcc, exec, s[22:23]
	s_cbranch_vccz .LBB74_78
.LBB74_57:                              ;   in Loop: Header=BB74_4 Depth=1
	s_andn2_b64 vcc, exec, s[20:21]
	s_mov_b32 s20, s24
	s_cbranch_vccz .LBB74_79
.LBB74_58:                              ;   in Loop: Header=BB74_4 Depth=1
	s_andn2_b64 vcc, exec, s[18:19]
	v_mov_b32_e32 v14, s20
	s_cbranch_vccnz .LBB74_60
.LBB74_59:                              ;   in Loop: Header=BB74_4 Depth=1
	v_and_b32_e32 v12, 1, v12
	v_cmp_eq_u32_e32 vcc, 0, v12
	v_cndmask_b32_e64 v14, -1, 1, vcc
.LBB74_60:                              ;   in Loop: Header=BB74_4 Depth=1
	s_or_b64 exec, exec, s[16:17]
	s_and_saveexec_b64 s[16:17], s[0:1]
	s_xor_b64 s[0:1], exec, s[16:17]
	s_cbranch_execnz .LBB74_64
; %bb.61:                               ;   in Loop: Header=BB74_4 Depth=1
	s_or_b64 exec, exec, s[0:1]
	s_and_saveexec_b64 s[0:1], s[2:3]
	s_cbranch_execnz .LBB74_65
.LBB74_62:                              ;   in Loop: Header=BB74_4 Depth=1
	s_or_b64 exec, exec, s[0:1]
	s_and_saveexec_b64 s[0:1], s[6:7]
	s_cbranch_execnz .LBB74_66
.LBB74_63:                              ;   in Loop: Header=BB74_4 Depth=1
	s_or_b64 exec, exec, s[0:1]
	s_and_saveexec_b64 s[0:1], s[8:9]
	s_cbranch_execz .LBB74_3
	s_branch .LBB74_67
.LBB74_64:                              ;   in Loop: Header=BB74_4 Depth=1
	v_mov_b32_e32 v12, s27
	v_add_co_u32_e32 v2, vcc, s26, v2
	v_addc_co_u32_e32 v3, vcc, v12, v3, vcc
	global_store_dword v[2:3], v13, off
	s_or_b64 exec, exec, s[0:1]
	s_and_saveexec_b64 s[0:1], s[2:3]
	s_cbranch_execz .LBB74_62
.LBB74_65:                              ;   in Loop: Header=BB74_4 Depth=1
	v_mov_b32_e32 v3, s27
	v_add_co_u32_e32 v2, vcc, s26, v4
	v_addc_co_u32_e32 v3, vcc, v3, v5, vcc
	global_store_dword v[2:3], v15, off
	s_or_b64 exec, exec, s[0:1]
	s_and_saveexec_b64 s[0:1], s[6:7]
	s_cbranch_execz .LBB74_63
.LBB74_66:                              ;   in Loop: Header=BB74_4 Depth=1
	v_mov_b32_e32 v3, s27
	v_add_co_u32_e32 v2, vcc, s26, v6
	v_addc_co_u32_e32 v3, vcc, v3, v7, vcc
	global_store_dword v[2:3], v16, off
	s_or_b64 exec, exec, s[0:1]
	s_and_saveexec_b64 s[0:1], s[8:9]
	s_cbranch_execz .LBB74_3
.LBB74_67:                              ;   in Loop: Header=BB74_4 Depth=1
	v_mov_b32_e32 v3, s27
	v_add_co_u32_e32 v2, vcc, s26, v8
	v_addc_co_u32_e32 v3, vcc, v3, v9, vcc
	global_store_dword v[2:3], v14, off
	s_branch .LBB74_3
.LBB74_68:                              ;   in Loop: Header=BB74_4 Depth=1
	s_cmp_lg_u32 s24, 1
	s_cselect_b64 s[20:21], -1, 0
	s_cbranch_execnz .LBB74_21
.LBB74_69:                              ;   in Loop: Header=BB74_4 Depth=1
	s_cmp_lg_u32 s24, -1
	s_mov_b64 s[18:19], -1
	s_cselect_b64 s[20:21], -1, 0
	s_andn2_b64 vcc, exec, s[20:21]
	s_mov_b32 s20, s24
	s_cbranch_vccnz .LBB74_22
.LBB74_70:                              ;   in Loop: Header=BB74_4 Depth=1
	s_mov_b32 s20, 0
	v_mov_b32_e32 v13, s20
	s_cbranch_execz .LBB74_23
	s_branch .LBB74_24
.LBB74_71:                              ;   in Loop: Header=BB74_4 Depth=1
	s_cmp_lg_u32 s24, 1
	s_cselect_b64 s[20:21], -1, 0
	s_cbranch_execnz .LBB74_33
.LBB74_72:                              ;   in Loop: Header=BB74_4 Depth=1
	s_cmp_lg_u32 s24, -1
	s_mov_b64 s[18:19], -1
	s_cselect_b64 s[20:21], -1, 0
	s_andn2_b64 vcc, exec, s[20:21]
	s_mov_b32 s20, s24
	s_cbranch_vccnz .LBB74_34
.LBB74_73:                              ;   in Loop: Header=BB74_4 Depth=1
	s_mov_b32 s20, 0
	v_mov_b32_e32 v15, s20
	s_cbranch_execz .LBB74_35
	s_branch .LBB74_36
.LBB74_74:                              ;   in Loop: Header=BB74_4 Depth=1
	s_cmp_lg_u32 s24, 1
	s_cselect_b64 s[20:21], -1, 0
	s_cbranch_execnz .LBB74_45
.LBB74_75:                              ;   in Loop: Header=BB74_4 Depth=1
	s_cmp_lg_u32 s24, -1
	s_mov_b64 s[18:19], -1
	s_cselect_b64 s[20:21], -1, 0
	s_andn2_b64 vcc, exec, s[20:21]
	s_mov_b32 s20, s24
	s_cbranch_vccnz .LBB74_46
.LBB74_76:                              ;   in Loop: Header=BB74_4 Depth=1
	s_mov_b32 s20, 0
	v_mov_b32_e32 v16, s20
	s_cbranch_execz .LBB74_47
	s_branch .LBB74_48
.LBB74_77:                              ;   in Loop: Header=BB74_4 Depth=1
	s_cmp_lg_u32 s24, 1
	s_cselect_b64 s[20:21], -1, 0
	s_cbranch_execnz .LBB74_57
.LBB74_78:                              ;   in Loop: Header=BB74_4 Depth=1
	s_cmp_lg_u32 s24, -1
	s_mov_b64 s[18:19], -1
	s_cselect_b64 s[20:21], -1, 0
	s_andn2_b64 vcc, exec, s[20:21]
	s_mov_b32 s20, s24
	s_cbranch_vccnz .LBB74_58
.LBB74_79:                              ;   in Loop: Header=BB74_4 Depth=1
	s_mov_b32 s20, 0
	v_mov_b32_e32 v14, s20
	s_cbranch_execz .LBB74_59
	s_branch .LBB74_60
.LBB74_80:
	s_mov_b64 s[0:1], 0
.LBB74_81:
	s_andn2_b64 vcc, exec, s[0:1]
	s_cbranch_vccnz .LBB74_145
; %bb.82:
	v_mov_b32_e32 v3, 0
	v_lshlrev_b32_e32 v2, 2, v0
	s_mov_b32 s14, 0
	v_cmp_gt_i64_e32 vcc, s[10:11], v[2:3]
	s_and_saveexec_b64 s[0:1], vcc
	s_cbranch_execz .LBB74_145
; %bb.83:
	s_load_dword s0, s[4:5], 0xc5c
	v_mov_b32_e32 v1, v3
	s_mov_b64 s[2:3], 0
	v_mov_b32_e32 v12, s28
	s_mov_b64 s[4:5], 0xffff
	s_waitcnt lgkmcnt(0)
	s_and_b32 s15, s0, 0xffff
	s_branch .LBB74_85
.LBB74_84:                              ;   in Loop: Header=BB74_85 Depth=1
	s_or_b64 exec, exec, s[0:1]
	v_mov_b32_e32 v3, s27
	v_add_co_u32_e32 v2, vcc, s26, v10
	v_addc_co_u32_e32 v3, vcc, v3, v11, vcc
	v_mov_b32_e32 v4, s14
	v_add_co_u32_e32 v0, vcc, s15, v0
	v_addc_co_u32_e32 v1, vcc, v1, v4, vcc
	v_lshlrev_b64 v[4:5], 2, v[0:1]
	v_cmp_le_i64_e32 vcc, s[10:11], v[4:5]
	v_cmp_lt_u64_e64 s[0:1], s[4:5], v[4:5]
	s_or_b64 s[0:1], vcc, s[0:1]
	s_and_b64 s[0:1], exec, s[0:1]
	s_or_b64 s[2:3], s[0:1], s[2:3]
	global_store_dwordx4 v[2:3], v[6:9], off
	s_andn2_b64 exec, exec, s[2:3]
	s_cbranch_execz .LBB74_145
.LBB74_85:                              ; =>This Loop Header: Depth=1
                                        ;     Child Loop BB74_88 Depth 2
                                        ;     Child Loop BB74_100 Depth 2
	;; [unrolled: 1-line block ×4, first 2 shown]
	v_lshlrev_b64 v[10:11], 4, v[0:1]
	v_add_co_u32_e32 v2, vcc, s25, v10
	v_addc_co_u32_e32 v3, vcc, v12, v11, vcc
	global_load_dwordx4 v[2:5], v[2:3], off
                                        ; implicit-def: $vgpr6
	s_waitcnt vmcnt(0)
	v_cmp_lt_i32_e32 vcc, -1, v2
	s_and_saveexec_b64 s[0:1], vcc
	s_xor_b64 s[0:1], exec, s[0:1]
	s_cbranch_execz .LBB74_91
; %bb.86:                               ;   in Loop: Header=BB74_85 Depth=1
	v_cmp_ne_u32_e32 vcc, 0, v2
	v_mov_b32_e32 v6, 1
	s_and_saveexec_b64 s[6:7], vcc
	s_cbranch_execz .LBB74_90
; %bb.87:                               ;   in Loop: Header=BB74_85 Depth=1
	s_mov_b64 s[8:9], 0
	v_mov_b32_e32 v6, 1
	v_mov_b32_e32 v7, v2
	s_mov_b32 s12, s24
.LBB74_88:                              ;   Parent Loop BB74_85 Depth=1
                                        ; =>  This Inner Loop Header: Depth=2
	v_and_b32_e32 v8, 1, v7
	v_mov_b32_e32 v9, s12
	v_cmp_eq_u32_e32 vcc, 1, v8
	v_cndmask_b32_e32 v8, 1, v9, vcc
	v_mul_lo_u32 v6, v8, v6
	v_lshrrev_b32_e32 v8, 1, v7
	v_cmp_gt_u32_e32 vcc, 2, v7
	s_mul_i32 s12, s12, s12
	s_or_b64 s[8:9], vcc, s[8:9]
	v_mov_b32_e32 v7, v8
	s_andn2_b64 exec, exec, s[8:9]
	s_cbranch_execnz .LBB74_88
; %bb.89:                               ;   in Loop: Header=BB74_85 Depth=1
	s_or_b64 exec, exec, s[8:9]
.LBB74_90:                              ;   in Loop: Header=BB74_85 Depth=1
	s_or_b64 exec, exec, s[6:7]
.LBB74_91:                              ;   in Loop: Header=BB74_85 Depth=1
	s_andn2_saveexec_b64 s[0:1], s[0:1]
	s_cbranch_execz .LBB74_97
; %bb.92:                               ;   in Loop: Header=BB74_85 Depth=1
	s_mov_b64 s[12:13], -1
	s_mov_b64 s[6:7], 0
	s_cmp_lt_i32 s24, 1
	s_mov_b64 s[8:9], 0
	s_cbranch_scc0 .LBB74_132
; %bb.93:                               ;   in Loop: Header=BB74_85 Depth=1
	s_andn2_b64 vcc, exec, s[12:13]
	s_cbranch_vccz .LBB74_133
.LBB74_94:                              ;   in Loop: Header=BB74_85 Depth=1
	s_andn2_b64 vcc, exec, s[8:9]
	s_mov_b32 s8, s24
	s_cbranch_vccz .LBB74_134
.LBB74_95:                              ;   in Loop: Header=BB74_85 Depth=1
	s_andn2_b64 vcc, exec, s[6:7]
	v_mov_b32_e32 v6, s8
	s_cbranch_vccnz .LBB74_97
.LBB74_96:                              ;   in Loop: Header=BB74_85 Depth=1
	v_and_b32_e32 v2, 1, v2
	v_cmp_eq_u32_e32 vcc, 0, v2
	v_cndmask_b32_e64 v6, -1, 1, vcc
.LBB74_97:                              ;   in Loop: Header=BB74_85 Depth=1
	s_or_b64 exec, exec, s[0:1]
	v_cmp_lt_i32_e32 vcc, -1, v3
	s_and_saveexec_b64 s[0:1], vcc
	s_xor_b64 s[0:1], exec, s[0:1]
	s_cbranch_execz .LBB74_103
; %bb.98:                               ;   in Loop: Header=BB74_85 Depth=1
	v_cmp_ne_u32_e32 vcc, 0, v3
	v_mov_b32_e32 v7, 1
	s_and_saveexec_b64 s[6:7], vcc
	s_cbranch_execz .LBB74_102
; %bb.99:                               ;   in Loop: Header=BB74_85 Depth=1
	s_mov_b64 s[8:9], 0
	v_mov_b32_e32 v7, 1
	v_mov_b32_e32 v2, v3
	s_mov_b32 s12, s24
.LBB74_100:                             ;   Parent Loop BB74_85 Depth=1
                                        ; =>  This Inner Loop Header: Depth=2
	v_and_b32_e32 v8, 1, v2
	v_mov_b32_e32 v9, s12
	v_cmp_eq_u32_e32 vcc, 1, v8
	v_cndmask_b32_e32 v8, 1, v9, vcc
	v_mul_lo_u32 v7, v8, v7
	v_lshrrev_b32_e32 v8, 1, v2
	v_cmp_gt_u32_e32 vcc, 2, v2
	s_mul_i32 s12, s12, s12
	s_or_b64 s[8:9], vcc, s[8:9]
	v_mov_b32_e32 v2, v8
	s_andn2_b64 exec, exec, s[8:9]
	s_cbranch_execnz .LBB74_100
; %bb.101:                              ;   in Loop: Header=BB74_85 Depth=1
	s_or_b64 exec, exec, s[8:9]
.LBB74_102:                             ;   in Loop: Header=BB74_85 Depth=1
	s_or_b64 exec, exec, s[6:7]
.LBB74_103:                             ;   in Loop: Header=BB74_85 Depth=1
	s_andn2_saveexec_b64 s[0:1], s[0:1]
	s_cbranch_execz .LBB74_109
; %bb.104:                              ;   in Loop: Header=BB74_85 Depth=1
	s_mov_b64 s[12:13], -1
	s_mov_b64 s[6:7], 0
	s_cmp_lt_i32 s24, 1
	s_mov_b64 s[8:9], 0
	s_cbranch_scc0 .LBB74_135
; %bb.105:                              ;   in Loop: Header=BB74_85 Depth=1
	s_andn2_b64 vcc, exec, s[12:13]
	s_cbranch_vccz .LBB74_136
.LBB74_106:                             ;   in Loop: Header=BB74_85 Depth=1
	s_andn2_b64 vcc, exec, s[8:9]
	s_mov_b32 s8, s24
	s_cbranch_vccz .LBB74_137
.LBB74_107:                             ;   in Loop: Header=BB74_85 Depth=1
	s_andn2_b64 vcc, exec, s[6:7]
	v_mov_b32_e32 v7, s8
	s_cbranch_vccnz .LBB74_109
.LBB74_108:                             ;   in Loop: Header=BB74_85 Depth=1
	v_and_b32_e32 v2, 1, v3
	v_cmp_eq_u32_e32 vcc, 0, v2
	v_cndmask_b32_e64 v7, -1, 1, vcc
.LBB74_109:                             ;   in Loop: Header=BB74_85 Depth=1
	s_or_b64 exec, exec, s[0:1]
	v_cmp_lt_i32_e32 vcc, -1, v4
	s_and_saveexec_b64 s[0:1], vcc
	s_xor_b64 s[0:1], exec, s[0:1]
	s_cbranch_execz .LBB74_115
; %bb.110:                              ;   in Loop: Header=BB74_85 Depth=1
	v_cmp_ne_u32_e32 vcc, 0, v4
	v_mov_b32_e32 v8, 1
	s_and_saveexec_b64 s[6:7], vcc
	s_cbranch_execz .LBB74_114
; %bb.111:                              ;   in Loop: Header=BB74_85 Depth=1
	s_mov_b64 s[8:9], 0
	v_mov_b32_e32 v8, 1
	v_mov_b32_e32 v2, v4
	s_mov_b32 s12, s24
.LBB74_112:                             ;   Parent Loop BB74_85 Depth=1
                                        ; =>  This Inner Loop Header: Depth=2
	v_and_b32_e32 v3, 1, v2
	v_mov_b32_e32 v9, s12
	v_cmp_eq_u32_e32 vcc, 1, v3
	v_cndmask_b32_e32 v3, 1, v9, vcc
	v_mul_lo_u32 v8, v3, v8
	v_lshrrev_b32_e32 v3, 1, v2
	v_cmp_gt_u32_e32 vcc, 2, v2
	s_mul_i32 s12, s12, s12
	s_or_b64 s[8:9], vcc, s[8:9]
	v_mov_b32_e32 v2, v3
	s_andn2_b64 exec, exec, s[8:9]
	s_cbranch_execnz .LBB74_112
; %bb.113:                              ;   in Loop: Header=BB74_85 Depth=1
	s_or_b64 exec, exec, s[8:9]
.LBB74_114:                             ;   in Loop: Header=BB74_85 Depth=1
	s_or_b64 exec, exec, s[6:7]
.LBB74_115:                             ;   in Loop: Header=BB74_85 Depth=1
	s_andn2_saveexec_b64 s[0:1], s[0:1]
	s_cbranch_execz .LBB74_121
; %bb.116:                              ;   in Loop: Header=BB74_85 Depth=1
	s_mov_b64 s[12:13], -1
	s_mov_b64 s[6:7], 0
	s_cmp_lt_i32 s24, 1
	s_mov_b64 s[8:9], 0
	s_cbranch_scc0 .LBB74_138
; %bb.117:                              ;   in Loop: Header=BB74_85 Depth=1
	s_andn2_b64 vcc, exec, s[12:13]
	s_cbranch_vccz .LBB74_139
.LBB74_118:                             ;   in Loop: Header=BB74_85 Depth=1
	s_andn2_b64 vcc, exec, s[8:9]
	s_mov_b32 s8, s24
	s_cbranch_vccz .LBB74_140
.LBB74_119:                             ;   in Loop: Header=BB74_85 Depth=1
	s_andn2_b64 vcc, exec, s[6:7]
	v_mov_b32_e32 v8, s8
	s_cbranch_vccnz .LBB74_121
.LBB74_120:                             ;   in Loop: Header=BB74_85 Depth=1
	v_and_b32_e32 v2, 1, v4
	v_cmp_eq_u32_e32 vcc, 0, v2
	v_cndmask_b32_e64 v8, -1, 1, vcc
.LBB74_121:                             ;   in Loop: Header=BB74_85 Depth=1
	s_or_b64 exec, exec, s[0:1]
	v_cmp_lt_i32_e32 vcc, -1, v5
	s_and_saveexec_b64 s[0:1], vcc
	s_xor_b64 s[0:1], exec, s[0:1]
	s_cbranch_execz .LBB74_127
; %bb.122:                              ;   in Loop: Header=BB74_85 Depth=1
	v_cmp_ne_u32_e32 vcc, 0, v5
	v_mov_b32_e32 v9, 1
	s_and_saveexec_b64 s[6:7], vcc
	s_cbranch_execz .LBB74_126
; %bb.123:                              ;   in Loop: Header=BB74_85 Depth=1
	s_mov_b64 s[8:9], 0
	v_mov_b32_e32 v9, 1
	s_mov_b32 s12, s24
.LBB74_124:                             ;   Parent Loop BB74_85 Depth=1
                                        ; =>  This Inner Loop Header: Depth=2
	v_and_b32_e32 v2, 1, v5
	v_mov_b32_e32 v3, s12
	v_cmp_eq_u32_e32 vcc, 1, v2
	v_cndmask_b32_e32 v2, 1, v3, vcc
	v_mul_lo_u32 v9, v2, v9
	v_lshrrev_b32_e32 v2, 1, v5
	v_cmp_gt_u32_e32 vcc, 2, v5
	s_mul_i32 s12, s12, s12
	s_or_b64 s[8:9], vcc, s[8:9]
	v_mov_b32_e32 v5, v2
	s_andn2_b64 exec, exec, s[8:9]
	s_cbranch_execnz .LBB74_124
; %bb.125:                              ;   in Loop: Header=BB74_85 Depth=1
	s_or_b64 exec, exec, s[8:9]
.LBB74_126:                             ;   in Loop: Header=BB74_85 Depth=1
	s_or_b64 exec, exec, s[6:7]
                                        ; implicit-def: $vgpr2_vgpr3_vgpr4_vgpr5
.LBB74_127:                             ;   in Loop: Header=BB74_85 Depth=1
	s_andn2_saveexec_b64 s[0:1], s[0:1]
	s_cbranch_execz .LBB74_84
; %bb.128:                              ;   in Loop: Header=BB74_85 Depth=1
	s_mov_b64 s[12:13], -1
	s_mov_b64 s[6:7], 0
	s_cmp_lt_i32 s24, 1
	s_mov_b64 s[8:9], 0
	s_cbranch_scc0 .LBB74_141
; %bb.129:                              ;   in Loop: Header=BB74_85 Depth=1
	s_andn2_b64 vcc, exec, s[12:13]
	s_cbranch_vccz .LBB74_142
.LBB74_130:                             ;   in Loop: Header=BB74_85 Depth=1
	s_andn2_b64 vcc, exec, s[8:9]
	s_mov_b32 s8, s24
	s_cbranch_vccz .LBB74_143
.LBB74_131:                             ;   in Loop: Header=BB74_85 Depth=1
	s_andn2_b64 vcc, exec, s[6:7]
	v_mov_b32_e32 v9, s8
	s_cbranch_vccnz .LBB74_84
	s_branch .LBB74_144
.LBB74_132:                             ;   in Loop: Header=BB74_85 Depth=1
	s_cmp_lg_u32 s24, 1
	s_cselect_b64 s[8:9], -1, 0
	s_cbranch_execnz .LBB74_94
.LBB74_133:                             ;   in Loop: Header=BB74_85 Depth=1
	s_cmp_lg_u32 s24, -1
	s_mov_b64 s[6:7], -1
	s_cselect_b64 s[8:9], -1, 0
	s_andn2_b64 vcc, exec, s[8:9]
	s_mov_b32 s8, s24
	s_cbranch_vccnz .LBB74_95
.LBB74_134:                             ;   in Loop: Header=BB74_85 Depth=1
	s_mov_b32 s8, 0
	v_mov_b32_e32 v6, s8
	s_cbranch_execz .LBB74_96
	s_branch .LBB74_97
.LBB74_135:                             ;   in Loop: Header=BB74_85 Depth=1
	s_cmp_lg_u32 s24, 1
	s_cselect_b64 s[8:9], -1, 0
	s_cbranch_execnz .LBB74_106
.LBB74_136:                             ;   in Loop: Header=BB74_85 Depth=1
	s_cmp_lg_u32 s24, -1
	s_mov_b64 s[6:7], -1
	s_cselect_b64 s[8:9], -1, 0
	s_andn2_b64 vcc, exec, s[8:9]
	s_mov_b32 s8, s24
	s_cbranch_vccnz .LBB74_107
.LBB74_137:                             ;   in Loop: Header=BB74_85 Depth=1
	s_mov_b32 s8, 0
	v_mov_b32_e32 v7, s8
	s_cbranch_execz .LBB74_108
	s_branch .LBB74_109
.LBB74_138:                             ;   in Loop: Header=BB74_85 Depth=1
	s_cmp_lg_u32 s24, 1
	s_cselect_b64 s[8:9], -1, 0
	s_cbranch_execnz .LBB74_118
.LBB74_139:                             ;   in Loop: Header=BB74_85 Depth=1
	s_cmp_lg_u32 s24, -1
	s_mov_b64 s[6:7], -1
	s_cselect_b64 s[8:9], -1, 0
	s_andn2_b64 vcc, exec, s[8:9]
	s_mov_b32 s8, s24
	s_cbranch_vccnz .LBB74_119
.LBB74_140:                             ;   in Loop: Header=BB74_85 Depth=1
	s_mov_b32 s8, 0
	v_mov_b32_e32 v8, s8
	s_cbranch_execz .LBB74_120
	s_branch .LBB74_121
.LBB74_141:                             ;   in Loop: Header=BB74_85 Depth=1
	s_cmp_lg_u32 s24, 1
	s_cselect_b64 s[8:9], -1, 0
	s_cbranch_execnz .LBB74_130
.LBB74_142:                             ;   in Loop: Header=BB74_85 Depth=1
	s_cmp_lg_u32 s24, -1
	s_mov_b64 s[6:7], -1
	s_cselect_b64 s[8:9], -1, 0
	s_andn2_b64 vcc, exec, s[8:9]
	s_mov_b32 s8, s24
	s_cbranch_vccnz .LBB74_131
.LBB74_143:                             ;   in Loop: Header=BB74_85 Depth=1
	s_mov_b32 s8, 0
	v_mov_b32_e32 v9, s8
	s_cbranch_execnz .LBB74_84
.LBB74_144:                             ;   in Loop: Header=BB74_85 Depth=1
	v_and_b32_e32 v2, 1, v5
	v_cmp_eq_u32_e32 vcc, 0, v2
	v_cndmask_b32_e64 v9, -1, 1, vcc
	s_branch .LBB74_84
.LBB74_145:
	s_endpgm
	.section	.rodata,"a",@progbits
	.p2align	6, 0x0
	.amdhsa_kernel _ZN2at6native12_GLOBAL__N_125multi_tensor_apply_kernelINS1_18TensorListMetadataILi2EEENS1_21BinaryOpScalarFunctorIiLi2ELi1ELi1EEEJNS1_21reverse_power_functorIiEEiEEEvT_T0_DpT1_
		.amdhsa_group_segment_fixed_size 0
		.amdhsa_private_segment_fixed_size 0
		.amdhsa_kernarg_size 3408
		.amdhsa_user_sgpr_count 6
		.amdhsa_user_sgpr_private_segment_buffer 1
		.amdhsa_user_sgpr_dispatch_ptr 0
		.amdhsa_user_sgpr_queue_ptr 0
		.amdhsa_user_sgpr_kernarg_segment_ptr 1
		.amdhsa_user_sgpr_dispatch_id 0
		.amdhsa_user_sgpr_flat_scratch_init 0
		.amdhsa_user_sgpr_kernarg_preload_length 0
		.amdhsa_user_sgpr_kernarg_preload_offset 0
		.amdhsa_user_sgpr_private_segment_size 0
		.amdhsa_uses_dynamic_stack 0
		.amdhsa_system_sgpr_private_segment_wavefront_offset 0
		.amdhsa_system_sgpr_workgroup_id_x 1
		.amdhsa_system_sgpr_workgroup_id_y 0
		.amdhsa_system_sgpr_workgroup_id_z 0
		.amdhsa_system_sgpr_workgroup_info 0
		.amdhsa_system_vgpr_workitem_id 0
		.amdhsa_next_free_vgpr 20
		.amdhsa_next_free_sgpr 34
		.amdhsa_accum_offset 20
		.amdhsa_reserve_vcc 1
		.amdhsa_reserve_flat_scratch 0
		.amdhsa_float_round_mode_32 0
		.amdhsa_float_round_mode_16_64 0
		.amdhsa_float_denorm_mode_32 3
		.amdhsa_float_denorm_mode_16_64 3
		.amdhsa_dx10_clamp 1
		.amdhsa_ieee_mode 1
		.amdhsa_fp16_overflow 0
		.amdhsa_tg_split 0
		.amdhsa_exception_fp_ieee_invalid_op 0
		.amdhsa_exception_fp_denorm_src 0
		.amdhsa_exception_fp_ieee_div_zero 0
		.amdhsa_exception_fp_ieee_overflow 0
		.amdhsa_exception_fp_ieee_underflow 0
		.amdhsa_exception_fp_ieee_inexact 0
		.amdhsa_exception_int_div_zero 0
	.end_amdhsa_kernel
	.section	.text._ZN2at6native12_GLOBAL__N_125multi_tensor_apply_kernelINS1_18TensorListMetadataILi2EEENS1_21BinaryOpScalarFunctorIiLi2ELi1ELi1EEEJNS1_21reverse_power_functorIiEEiEEEvT_T0_DpT1_,"axG",@progbits,_ZN2at6native12_GLOBAL__N_125multi_tensor_apply_kernelINS1_18TensorListMetadataILi2EEENS1_21BinaryOpScalarFunctorIiLi2ELi1ELi1EEEJNS1_21reverse_power_functorIiEEiEEEvT_T0_DpT1_,comdat
.Lfunc_end74:
	.size	_ZN2at6native12_GLOBAL__N_125multi_tensor_apply_kernelINS1_18TensorListMetadataILi2EEENS1_21BinaryOpScalarFunctorIiLi2ELi1ELi1EEEJNS1_21reverse_power_functorIiEEiEEEvT_T0_DpT1_, .Lfunc_end74-_ZN2at6native12_GLOBAL__N_125multi_tensor_apply_kernelINS1_18TensorListMetadataILi2EEENS1_21BinaryOpScalarFunctorIiLi2ELi1ELi1EEEJNS1_21reverse_power_functorIiEEiEEEvT_T0_DpT1_
                                        ; -- End function
	.section	.AMDGPU.csdata,"",@progbits
; Kernel info:
; codeLenInByte = 2844
; NumSgprs: 38
; NumVgprs: 20
; NumAgprs: 0
; TotalNumVgprs: 20
; ScratchSize: 0
; MemoryBound: 0
; FloatMode: 240
; IeeeMode: 1
; LDSByteSize: 0 bytes/workgroup (compile time only)
; SGPRBlocks: 4
; VGPRBlocks: 2
; NumSGPRsForWavesPerEU: 38
; NumVGPRsForWavesPerEU: 20
; AccumOffset: 20
; Occupancy: 8
; WaveLimiterHint : 0
; COMPUTE_PGM_RSRC2:SCRATCH_EN: 0
; COMPUTE_PGM_RSRC2:USER_SGPR: 6
; COMPUTE_PGM_RSRC2:TRAP_HANDLER: 0
; COMPUTE_PGM_RSRC2:TGID_X_EN: 1
; COMPUTE_PGM_RSRC2:TGID_Y_EN: 0
; COMPUTE_PGM_RSRC2:TGID_Z_EN: 0
; COMPUTE_PGM_RSRC2:TIDIG_COMP_CNT: 0
; COMPUTE_PGM_RSRC3_GFX90A:ACCUM_OFFSET: 4
; COMPUTE_PGM_RSRC3_GFX90A:TG_SPLIT: 0
	.section	.text._ZN2at6native12_GLOBAL__N_125multi_tensor_apply_kernelINS1_18TensorListMetadataILi2EEENS1_21BinaryOpScalarFunctorIlLi2ELi1ELi1EEEJNS1_21reverse_power_functorIlEElEEEvT_T0_DpT1_,"axG",@progbits,_ZN2at6native12_GLOBAL__N_125multi_tensor_apply_kernelINS1_18TensorListMetadataILi2EEENS1_21BinaryOpScalarFunctorIlLi2ELi1ELi1EEEJNS1_21reverse_power_functorIlEElEEEvT_T0_DpT1_,comdat
	.globl	_ZN2at6native12_GLOBAL__N_125multi_tensor_apply_kernelINS1_18TensorListMetadataILi2EEENS1_21BinaryOpScalarFunctorIlLi2ELi1ELi1EEEJNS1_21reverse_power_functorIlEElEEEvT_T0_DpT1_ ; -- Begin function _ZN2at6native12_GLOBAL__N_125multi_tensor_apply_kernelINS1_18TensorListMetadataILi2EEENS1_21BinaryOpScalarFunctorIlLi2ELi1ELi1EEEJNS1_21reverse_power_functorIlEElEEEvT_T0_DpT1_
	.p2align	8
	.type	_ZN2at6native12_GLOBAL__N_125multi_tensor_apply_kernelINS1_18TensorListMetadataILi2EEENS1_21BinaryOpScalarFunctorIlLi2ELi1ELi1EEEJNS1_21reverse_power_functorIlEElEEEvT_T0_DpT1_,@function
_ZN2at6native12_GLOBAL__N_125multi_tensor_apply_kernelINS1_18TensorListMetadataILi2EEENS1_21BinaryOpScalarFunctorIlLi2ELi1ELi1EEEJNS1_21reverse_power_functorIlEElEEEvT_T0_DpT1_: ; @_ZN2at6native12_GLOBAL__N_125multi_tensor_apply_kernelINS1_18TensorListMetadataILi2EEENS1_21BinaryOpScalarFunctorIlLi2ELi1ELi1EEEJNS1_21reverse_power_functorIlEElEEEvT_T0_DpT1_
; %bb.0:
	v_mov_b32_e32 v1, s6
	global_load_ubyte v1, v1, s[4:5] offset:1536
	s_add_u32 s0, s4, s6
	s_mul_hi_u32 s1, s6, 3
	s_mul_i32 s6, s6, 3
	s_addc_u32 s2, s5, 0
	s_add_u32 s0, s0, s6
	s_addc_u32 s1, s2, s1
	s_load_dword s0, s[0:1], 0x740
	s_mov_b32 s3, 0
	s_mov_b32 s9, s3
	;; [unrolled: 1-line block ×3, first 2 shown]
	s_waitcnt lgkmcnt(0)
	s_ashr_i32 s1, s0, 31
	s_lshl_b64 s[18:19], s[0:1], 19
	s_waitcnt vmcnt(0)
	v_readfirstlane_b32 s2, v1
	s_lshl_b32 s2, s2, 3
	s_load_dwordx2 s[10:11], s[4:5], s2 offset:0x0
	s_load_dwordx2 s[12:13], s[4:5], 0xc50
	s_load_dwordx2 s[14:15], s[4:5], s2 offset:0x400
	s_load_dwordx2 s[16:17], s[4:5], s2 offset:0x200
	s_waitcnt lgkmcnt(0)
	s_add_u32 s30, s10, s18
	s_addc_u32 s34, s11, s19
	s_and_b32 s2, s30, 31
	s_add_u32 s31, s16, s18
	s_addc_u32 s33, s17, s19
	s_and_b32 s8, s14, 3
	s_and_b32 s6, s31, 31
	s_or_b64 s[2:3], s[2:3], s[8:9]
	s_or_b64 s[2:3], s[6:7], s[2:3]
	s_lshl_b64 s[0:1], s[0:1], 16
	s_sub_u32 s14, s14, s0
	s_subb_u32 s15, s15, s1
	s_cmp_eq_u64 s[2:3], 0
	s_mov_b64 s[0:1], -1
	s_cbranch_scc1 .LBB75_81
; %bb.1:
	v_cmp_lt_i64_e64 s[0:1], s[14:15], 1
	s_and_b64 vcc, exec, s[0:1]
	s_cbranch_vccnz .LBB75_80
; %bb.2:
	s_load_dword s0, s[4:5], 0xc64
	v_mov_b32_e32 v4, 0x10000
	v_mov_b32_e32 v5, 0
	v_cmp_lt_u64_e32 vcc, s[14:15], v[4:5]
	s_mov_b32 s2, 0
	s_waitcnt lgkmcnt(0)
	s_and_b32 s35, s0, 0xffff
	s_and_b64 s[0:1], vcc, exec
	v_mov_b32_e32 v3, 0
	s_cselect_b32 s17, s15, 0
	s_cselect_b32 s16, s14, 0x10000
	s_lshl_b32 s36, s35, 1
	s_mul_i32 s37, s35, 3
	s_lshl_b32 s38, s35, 2
	s_mov_b64 s[18:19], 0
	v_mov_b32_e32 v1, s2
	v_mov_b32_e32 v22, s2
	;; [unrolled: 1-line block ×3, first 2 shown]
	v_cmp_lt_i64_e64 s[20:21], s[12:13], 1
	s_branch .LBB75_4
.LBB75_3:                               ;   in Loop: Header=BB75_4 Depth=1
	s_or_b64 exec, exec, s[0:1]
	s_add_u32 s18, s18, s38
	s_addc_u32 s19, s19, 0
	v_pk_mov_b32 v[4:5], s[14:15], s[14:15] op_sel:[0,1]
	v_cmp_ge_i64_e32 vcc, s[18:19], v[4:5]
	v_mov_b32_e32 v4, 0xffff
	v_mov_b32_e32 v5, 0
	v_cmp_gt_u64_e64 s[0:1], s[18:19], v[4:5]
	s_or_b64 s[0:1], vcc, s[0:1]
	s_and_b64 vcc, exec, s[0:1]
	s_cbranch_vccnz .LBB75_80
.LBB75_4:                               ; =>This Loop Header: Depth=1
                                        ;     Child Loop BB75_15 Depth 2
                                        ;     Child Loop BB75_27 Depth 2
	;; [unrolled: 1-line block ×4, first 2 shown]
	v_mov_b32_e32 v2, s19
	v_add_co_u32_e32 v10, vcc, s18, v0
	v_addc_co_u32_e32 v11, vcc, 0, v2, vcc
	v_pk_mov_b32 v[20:21], 0, 0
	v_cmp_gt_u64_e64 s[0:1], s[16:17], v[10:11]
	v_lshlrev_b64 v[4:5], 3, v[10:11]
	v_pk_mov_b32 v[18:19], v[20:21], v[20:21] op_sel:[0,1]
	s_and_saveexec_b64 s[2:3], s[0:1]
	s_cbranch_execz .LBB75_6
; %bb.5:                                ;   in Loop: Header=BB75_4 Depth=1
	v_mov_b32_e32 v2, s34
	v_add_co_u32_e32 v6, vcc, s30, v4
	v_addc_co_u32_e32 v7, vcc, v2, v5, vcc
	global_load_dwordx2 v[18:19], v[6:7], off
.LBB75_6:                               ;   in Loop: Header=BB75_4 Depth=1
	s_or_b64 exec, exec, s[2:3]
	v_add_co_u32_e32 v6, vcc, s35, v10
	v_addc_co_u32_e32 v7, vcc, v11, v1, vcc
	v_cmp_gt_u64_e64 s[2:3], s[16:17], v[6:7]
	v_lshlrev_b64 v[6:7], 3, v[6:7]
	s_and_saveexec_b64 s[6:7], s[2:3]
	s_cbranch_execz .LBB75_8
; %bb.7:                                ;   in Loop: Header=BB75_4 Depth=1
	v_mov_b32_e32 v2, s34
	v_add_co_u32_e32 v8, vcc, s30, v6
	v_addc_co_u32_e32 v9, vcc, v2, v7, vcc
	global_load_dwordx2 v[20:21], v[8:9], off
.LBB75_8:                               ;   in Loop: Header=BB75_4 Depth=1
	s_or_b64 exec, exec, s[6:7]
	v_add_co_u32_e32 v8, vcc, s36, v10
	v_addc_co_u32_e32 v9, vcc, v11, v22, vcc
	v_pk_mov_b32 v[12:13], 0, 0
	v_cmp_gt_u64_e64 s[6:7], s[16:17], v[8:9]
	v_lshlrev_b64 v[8:9], 3, v[8:9]
	v_pk_mov_b32 v[16:17], v[12:13], v[12:13] op_sel:[0,1]
	s_and_saveexec_b64 s[8:9], s[6:7]
	s_cbranch_execz .LBB75_10
; %bb.9:                                ;   in Loop: Header=BB75_4 Depth=1
	v_mov_b32_e32 v2, s34
	v_add_co_u32_e32 v14, vcc, s30, v8
	v_addc_co_u32_e32 v15, vcc, v2, v9, vcc
	global_load_dwordx2 v[16:17], v[14:15], off
.LBB75_10:                              ;   in Loop: Header=BB75_4 Depth=1
	s_or_b64 exec, exec, s[8:9]
	v_add_co_u32_e32 v10, vcc, s37, v10
	v_addc_co_u32_e32 v11, vcc, v11, v23, vcc
	v_cmp_gt_u64_e64 s[8:9], s[16:17], v[10:11]
	v_lshlrev_b64 v[10:11], 3, v[10:11]
	s_and_saveexec_b64 s[10:11], s[8:9]
	s_cbranch_execz .LBB75_12
; %bb.11:                               ;   in Loop: Header=BB75_4 Depth=1
	v_mov_b32_e32 v2, s34
	v_add_co_u32_e32 v12, vcc, s30, v10
	v_addc_co_u32_e32 v13, vcc, v2, v11, vcc
	global_load_dwordx2 v[12:13], v[12:13], off
.LBB75_12:                              ;   in Loop: Header=BB75_4 Depth=1
	s_or_b64 exec, exec, s[10:11]
	s_waitcnt vmcnt(0)
	v_cmp_lt_i64_e32 vcc, -1, v[18:19]
                                        ; implicit-def: $vgpr14_vgpr15
	s_and_saveexec_b64 s[10:11], vcc
	s_xor_b64 s[22:23], exec, s[10:11]
	s_cbranch_execz .LBB75_18
; %bb.13:                               ;   in Loop: Header=BB75_4 Depth=1
	v_mov_b32_e32 v14, 1
	v_cmp_ne_u64_e32 vcc, 0, v[18:19]
	v_mov_b32_e32 v15, 0
	s_and_saveexec_b64 s[24:25], vcc
	s_cbranch_execz .LBB75_17
; %bb.14:                               ;   in Loop: Header=BB75_4 Depth=1
	v_mov_b32_e32 v14, 1
	s_mov_b64 s[26:27], 0
	v_mov_b32_e32 v15, 0
	s_mov_b64 s[28:29], s[12:13]
.LBB75_15:                              ;   Parent Loop BB75_4 Depth=1
                                        ; =>  This Inner Loop Header: Depth=2
	v_and_b32_e32 v2, 1, v18
	v_mov_b32_e32 v26, s28
	v_mov_b32_e32 v27, s29
	v_lshrrev_b64 v[24:25], 1, v[18:19]
	s_mul_i32 s29, s28, s29
	s_mul_hi_u32 s39, s28, s28
	v_cmp_eq_u32_e64 s[10:11], 1, v2
	v_cmp_gt_u64_e32 vcc, 2, v[18:19]
	v_cndmask_b32_e64 v2, 1, v26, s[10:11]
	s_add_i32 s39, s39, s29
	v_pk_mov_b32 v[18:19], v[24:25], v[24:25] op_sel:[0,1]
	v_cndmask_b32_e64 v24, 0, v27, s[10:11]
	v_mul_lo_u32 v25, v2, v15
	s_add_i32 s29, s39, s29
	v_mul_lo_u32 v24, v24, v14
	v_mad_u64_u32 v[14:15], s[10:11], v2, v14, 0
	s_mul_i32 s28, s28, s28
	s_or_b64 s[26:27], vcc, s[26:27]
	v_add3_u32 v15, v15, v25, v24
	s_andn2_b64 exec, exec, s[26:27]
	s_cbranch_execnz .LBB75_15
; %bb.16:                               ;   in Loop: Header=BB75_4 Depth=1
	s_or_b64 exec, exec, s[26:27]
.LBB75_17:                              ;   in Loop: Header=BB75_4 Depth=1
	s_or_b64 exec, exec, s[24:25]
                                        ; implicit-def: $vgpr18_vgpr19
.LBB75_18:                              ;   in Loop: Header=BB75_4 Depth=1
	s_andn2_saveexec_b64 s[10:11], s[22:23]
	s_cbranch_execz .LBB75_24
; %bb.19:                               ;   in Loop: Header=BB75_4 Depth=1
	s_mov_b64 s[26:27], -1
	s_mov_b64 s[22:23], 0
	s_and_b64 vcc, exec, s[20:21]
	s_mov_b64 s[24:25], 0
	s_cbranch_vccz .LBB75_68
; %bb.20:                               ;   in Loop: Header=BB75_4 Depth=1
	s_andn2_b64 vcc, exec, s[26:27]
	s_cbranch_vccz .LBB75_69
.LBB75_21:                              ;   in Loop: Header=BB75_4 Depth=1
	s_andn2_b64 vcc, exec, s[24:25]
	s_mov_b64 s[24:25], s[12:13]
	s_cbranch_vccz .LBB75_70
.LBB75_22:                              ;   in Loop: Header=BB75_4 Depth=1
	s_andn2_b64 vcc, exec, s[22:23]
	v_pk_mov_b32 v[14:15], s[24:25], s[24:25] op_sel:[0,1]
	s_cbranch_vccnz .LBB75_24
.LBB75_23:                              ;   in Loop: Header=BB75_4 Depth=1
	v_and_b32_e32 v2, 1, v18
	v_cmp_eq_u64_e32 vcc, 0, v[2:3]
	v_cndmask_b32_e64 v15, -1, 0, vcc
	v_cndmask_b32_e64 v14, -1, 1, vcc
.LBB75_24:                              ;   in Loop: Header=BB75_4 Depth=1
	s_or_b64 exec, exec, s[10:11]
	v_cmp_lt_i64_e32 vcc, -1, v[20:21]
                                        ; implicit-def: $vgpr18_vgpr19
	s_and_saveexec_b64 s[10:11], vcc
	s_xor_b64 s[22:23], exec, s[10:11]
	s_cbranch_execz .LBB75_30
; %bb.25:                               ;   in Loop: Header=BB75_4 Depth=1
	v_mov_b32_e32 v18, 1
	v_cmp_ne_u64_e32 vcc, 0, v[20:21]
	v_mov_b32_e32 v19, 0
	s_and_saveexec_b64 s[24:25], vcc
	s_cbranch_execz .LBB75_29
; %bb.26:                               ;   in Loop: Header=BB75_4 Depth=1
	v_mov_b32_e32 v18, 1
	s_mov_b64 s[26:27], 0
	v_mov_b32_e32 v19, 0
	s_mov_b64 s[28:29], s[12:13]
.LBB75_27:                              ;   Parent Loop BB75_4 Depth=1
                                        ; =>  This Inner Loop Header: Depth=2
	v_and_b32_e32 v2, 1, v20
	v_mov_b32_e32 v26, s28
	v_mov_b32_e32 v27, s29
	v_lshrrev_b64 v[24:25], 1, v[20:21]
	s_mul_i32 s29, s28, s29
	s_mul_hi_u32 s39, s28, s28
	v_cmp_eq_u32_e64 s[10:11], 1, v2
	v_cmp_gt_u64_e32 vcc, 2, v[20:21]
	v_cndmask_b32_e64 v2, 1, v26, s[10:11]
	s_add_i32 s39, s39, s29
	v_pk_mov_b32 v[20:21], v[24:25], v[24:25] op_sel:[0,1]
	v_cndmask_b32_e64 v24, 0, v27, s[10:11]
	v_mul_lo_u32 v25, v2, v19
	s_add_i32 s29, s39, s29
	v_mul_lo_u32 v24, v24, v18
	v_mad_u64_u32 v[18:19], s[10:11], v2, v18, 0
	s_mul_i32 s28, s28, s28
	s_or_b64 s[26:27], vcc, s[26:27]
	v_add3_u32 v19, v19, v25, v24
	s_andn2_b64 exec, exec, s[26:27]
	s_cbranch_execnz .LBB75_27
; %bb.28:                               ;   in Loop: Header=BB75_4 Depth=1
	s_or_b64 exec, exec, s[26:27]
.LBB75_29:                              ;   in Loop: Header=BB75_4 Depth=1
	s_or_b64 exec, exec, s[24:25]
                                        ; implicit-def: $vgpr20_vgpr21
.LBB75_30:                              ;   in Loop: Header=BB75_4 Depth=1
	s_andn2_saveexec_b64 s[10:11], s[22:23]
	s_cbranch_execz .LBB75_36
; %bb.31:                               ;   in Loop: Header=BB75_4 Depth=1
	s_mov_b64 s[26:27], -1
	s_mov_b64 s[22:23], 0
	s_and_b64 vcc, exec, s[20:21]
	s_mov_b64 s[24:25], 0
	s_cbranch_vccz .LBB75_71
; %bb.32:                               ;   in Loop: Header=BB75_4 Depth=1
	s_andn2_b64 vcc, exec, s[26:27]
	s_cbranch_vccz .LBB75_72
.LBB75_33:                              ;   in Loop: Header=BB75_4 Depth=1
	s_andn2_b64 vcc, exec, s[24:25]
	s_mov_b64 s[24:25], s[12:13]
	s_cbranch_vccz .LBB75_73
.LBB75_34:                              ;   in Loop: Header=BB75_4 Depth=1
	s_andn2_b64 vcc, exec, s[22:23]
	v_pk_mov_b32 v[18:19], s[24:25], s[24:25] op_sel:[0,1]
	s_cbranch_vccnz .LBB75_36
.LBB75_35:                              ;   in Loop: Header=BB75_4 Depth=1
	v_and_b32_e32 v2, 1, v20
	v_cmp_eq_u64_e32 vcc, 0, v[2:3]
	v_cndmask_b32_e64 v19, -1, 0, vcc
	v_cndmask_b32_e64 v18, -1, 1, vcc
.LBB75_36:                              ;   in Loop: Header=BB75_4 Depth=1
	s_or_b64 exec, exec, s[10:11]
	v_cmp_lt_i64_e32 vcc, -1, v[16:17]
                                        ; implicit-def: $vgpr20_vgpr21
	s_and_saveexec_b64 s[10:11], vcc
	s_xor_b64 s[22:23], exec, s[10:11]
	s_cbranch_execz .LBB75_42
; %bb.37:                               ;   in Loop: Header=BB75_4 Depth=1
	v_mov_b32_e32 v20, 1
	v_cmp_ne_u64_e32 vcc, 0, v[16:17]
	v_mov_b32_e32 v21, 0
	s_and_saveexec_b64 s[24:25], vcc
	s_cbranch_execz .LBB75_41
; %bb.38:                               ;   in Loop: Header=BB75_4 Depth=1
	v_mov_b32_e32 v20, 1
	s_mov_b64 s[26:27], 0
	v_mov_b32_e32 v21, 0
	s_mov_b64 s[28:29], s[12:13]
.LBB75_39:                              ;   Parent Loop BB75_4 Depth=1
                                        ; =>  This Inner Loop Header: Depth=2
	v_and_b32_e32 v2, 1, v16
	v_mov_b32_e32 v26, s28
	v_mov_b32_e32 v27, s29
	v_lshrrev_b64 v[24:25], 1, v[16:17]
	s_mul_i32 s29, s28, s29
	s_mul_hi_u32 s39, s28, s28
	v_cmp_eq_u32_e64 s[10:11], 1, v2
	v_cmp_gt_u64_e32 vcc, 2, v[16:17]
	v_cndmask_b32_e64 v2, 1, v26, s[10:11]
	s_add_i32 s39, s39, s29
	v_pk_mov_b32 v[16:17], v[24:25], v[24:25] op_sel:[0,1]
	v_cndmask_b32_e64 v24, 0, v27, s[10:11]
	v_mul_lo_u32 v25, v2, v21
	s_add_i32 s29, s39, s29
	v_mul_lo_u32 v24, v24, v20
	v_mad_u64_u32 v[20:21], s[10:11], v2, v20, 0
	s_mul_i32 s28, s28, s28
	s_or_b64 s[26:27], vcc, s[26:27]
	v_add3_u32 v21, v21, v25, v24
	s_andn2_b64 exec, exec, s[26:27]
	s_cbranch_execnz .LBB75_39
; %bb.40:                               ;   in Loop: Header=BB75_4 Depth=1
	s_or_b64 exec, exec, s[26:27]
.LBB75_41:                              ;   in Loop: Header=BB75_4 Depth=1
	s_or_b64 exec, exec, s[24:25]
                                        ; implicit-def: $vgpr16_vgpr17
.LBB75_42:                              ;   in Loop: Header=BB75_4 Depth=1
	s_andn2_saveexec_b64 s[10:11], s[22:23]
	s_cbranch_execz .LBB75_48
; %bb.43:                               ;   in Loop: Header=BB75_4 Depth=1
	s_mov_b64 s[26:27], -1
	s_mov_b64 s[22:23], 0
	s_and_b64 vcc, exec, s[20:21]
	s_mov_b64 s[24:25], 0
	s_cbranch_vccz .LBB75_74
; %bb.44:                               ;   in Loop: Header=BB75_4 Depth=1
	s_andn2_b64 vcc, exec, s[26:27]
	s_cbranch_vccz .LBB75_75
.LBB75_45:                              ;   in Loop: Header=BB75_4 Depth=1
	s_andn2_b64 vcc, exec, s[24:25]
	s_mov_b64 s[24:25], s[12:13]
	s_cbranch_vccz .LBB75_76
.LBB75_46:                              ;   in Loop: Header=BB75_4 Depth=1
	s_andn2_b64 vcc, exec, s[22:23]
	v_pk_mov_b32 v[20:21], s[24:25], s[24:25] op_sel:[0,1]
	s_cbranch_vccnz .LBB75_48
.LBB75_47:                              ;   in Loop: Header=BB75_4 Depth=1
	v_and_b32_e32 v2, 1, v16
	v_cmp_eq_u64_e32 vcc, 0, v[2:3]
	v_cndmask_b32_e64 v21, -1, 0, vcc
	v_cndmask_b32_e64 v20, -1, 1, vcc
.LBB75_48:                              ;   in Loop: Header=BB75_4 Depth=1
	s_or_b64 exec, exec, s[10:11]
	v_cmp_lt_i64_e32 vcc, -1, v[12:13]
                                        ; implicit-def: $vgpr16_vgpr17
	s_and_saveexec_b64 s[10:11], vcc
	s_xor_b64 s[22:23], exec, s[10:11]
	s_cbranch_execz .LBB75_54
; %bb.49:                               ;   in Loop: Header=BB75_4 Depth=1
	v_mov_b32_e32 v16, 1
	v_cmp_ne_u64_e32 vcc, 0, v[12:13]
	v_mov_b32_e32 v17, 0
	s_and_saveexec_b64 s[24:25], vcc
	s_cbranch_execz .LBB75_53
; %bb.50:                               ;   in Loop: Header=BB75_4 Depth=1
	v_mov_b32_e32 v16, 1
	s_mov_b64 s[26:27], 0
	v_mov_b32_e32 v17, 0
	s_mov_b64 s[28:29], s[12:13]
.LBB75_51:                              ;   Parent Loop BB75_4 Depth=1
                                        ; =>  This Inner Loop Header: Depth=2
	v_and_b32_e32 v2, 1, v12
	v_mov_b32_e32 v26, s28
	v_mov_b32_e32 v27, s29
	v_lshrrev_b64 v[24:25], 1, v[12:13]
	s_mul_i32 s29, s28, s29
	s_mul_hi_u32 s39, s28, s28
	v_cmp_eq_u32_e64 s[10:11], 1, v2
	v_cmp_gt_u64_e32 vcc, 2, v[12:13]
	v_cndmask_b32_e64 v2, 1, v26, s[10:11]
	s_add_i32 s39, s39, s29
	v_pk_mov_b32 v[12:13], v[24:25], v[24:25] op_sel:[0,1]
	v_cndmask_b32_e64 v24, 0, v27, s[10:11]
	v_mul_lo_u32 v25, v2, v17
	s_add_i32 s29, s39, s29
	v_mul_lo_u32 v24, v24, v16
	v_mad_u64_u32 v[16:17], s[10:11], v2, v16, 0
	s_mul_i32 s28, s28, s28
	s_or_b64 s[26:27], vcc, s[26:27]
	v_add3_u32 v17, v17, v25, v24
	s_andn2_b64 exec, exec, s[26:27]
	s_cbranch_execnz .LBB75_51
; %bb.52:                               ;   in Loop: Header=BB75_4 Depth=1
	s_or_b64 exec, exec, s[26:27]
.LBB75_53:                              ;   in Loop: Header=BB75_4 Depth=1
	s_or_b64 exec, exec, s[24:25]
                                        ; implicit-def: $vgpr12_vgpr13
.LBB75_54:                              ;   in Loop: Header=BB75_4 Depth=1
	s_andn2_saveexec_b64 s[10:11], s[22:23]
	s_cbranch_execz .LBB75_60
; %bb.55:                               ;   in Loop: Header=BB75_4 Depth=1
	s_mov_b64 s[26:27], -1
	s_mov_b64 s[22:23], 0
	s_and_b64 vcc, exec, s[20:21]
	s_mov_b64 s[24:25], 0
	s_cbranch_vccz .LBB75_77
; %bb.56:                               ;   in Loop: Header=BB75_4 Depth=1
	s_andn2_b64 vcc, exec, s[26:27]
	s_cbranch_vccz .LBB75_78
.LBB75_57:                              ;   in Loop: Header=BB75_4 Depth=1
	s_andn2_b64 vcc, exec, s[24:25]
	s_mov_b64 s[24:25], s[12:13]
	s_cbranch_vccz .LBB75_79
.LBB75_58:                              ;   in Loop: Header=BB75_4 Depth=1
	s_andn2_b64 vcc, exec, s[22:23]
	v_pk_mov_b32 v[16:17], s[24:25], s[24:25] op_sel:[0,1]
	s_cbranch_vccnz .LBB75_60
.LBB75_59:                              ;   in Loop: Header=BB75_4 Depth=1
	v_and_b32_e32 v2, 1, v12
	v_cmp_eq_u64_e32 vcc, 0, v[2:3]
	v_cndmask_b32_e64 v17, -1, 0, vcc
	v_cndmask_b32_e64 v16, -1, 1, vcc
.LBB75_60:                              ;   in Loop: Header=BB75_4 Depth=1
	s_or_b64 exec, exec, s[10:11]
	s_and_saveexec_b64 s[10:11], s[0:1]
	s_xor_b64 s[0:1], exec, s[10:11]
	s_cbranch_execnz .LBB75_64
; %bb.61:                               ;   in Loop: Header=BB75_4 Depth=1
	s_or_b64 exec, exec, s[0:1]
	s_and_saveexec_b64 s[0:1], s[2:3]
	s_cbranch_execnz .LBB75_65
.LBB75_62:                              ;   in Loop: Header=BB75_4 Depth=1
	s_or_b64 exec, exec, s[0:1]
	s_and_saveexec_b64 s[0:1], s[6:7]
	s_cbranch_execnz .LBB75_66
.LBB75_63:                              ;   in Loop: Header=BB75_4 Depth=1
	s_or_b64 exec, exec, s[0:1]
	s_and_saveexec_b64 s[0:1], s[8:9]
	s_cbranch_execz .LBB75_3
	s_branch .LBB75_67
.LBB75_64:                              ;   in Loop: Header=BB75_4 Depth=1
	v_mov_b32_e32 v2, s33
	v_add_co_u32_e32 v4, vcc, s31, v4
	v_addc_co_u32_e32 v5, vcc, v2, v5, vcc
	global_store_dwordx2 v[4:5], v[14:15], off
	s_or_b64 exec, exec, s[0:1]
	s_and_saveexec_b64 s[0:1], s[2:3]
	s_cbranch_execz .LBB75_62
.LBB75_65:                              ;   in Loop: Header=BB75_4 Depth=1
	v_mov_b32_e32 v2, s33
	v_add_co_u32_e32 v4, vcc, s31, v6
	v_addc_co_u32_e32 v5, vcc, v2, v7, vcc
	global_store_dwordx2 v[4:5], v[18:19], off
	s_or_b64 exec, exec, s[0:1]
	s_and_saveexec_b64 s[0:1], s[6:7]
	s_cbranch_execz .LBB75_63
.LBB75_66:                              ;   in Loop: Header=BB75_4 Depth=1
	v_mov_b32_e32 v2, s33
	v_add_co_u32_e32 v4, vcc, s31, v8
	v_addc_co_u32_e32 v5, vcc, v2, v9, vcc
	global_store_dwordx2 v[4:5], v[20:21], off
	s_or_b64 exec, exec, s[0:1]
	s_and_saveexec_b64 s[0:1], s[8:9]
	s_cbranch_execz .LBB75_3
.LBB75_67:                              ;   in Loop: Header=BB75_4 Depth=1
	v_mov_b32_e32 v2, s33
	v_add_co_u32_e32 v4, vcc, s31, v10
	v_addc_co_u32_e32 v5, vcc, v2, v11, vcc
	global_store_dwordx2 v[4:5], v[16:17], off
	s_branch .LBB75_3
.LBB75_68:                              ;   in Loop: Header=BB75_4 Depth=1
	s_cmp_lg_u64 s[12:13], 1
	s_cselect_b64 s[24:25], -1, 0
	s_cbranch_execnz .LBB75_21
.LBB75_69:                              ;   in Loop: Header=BB75_4 Depth=1
	s_cmp_lg_u64 s[12:13], -1
	s_mov_b64 s[22:23], -1
	s_cselect_b64 s[24:25], -1, 0
	s_andn2_b64 vcc, exec, s[24:25]
	s_mov_b64 s[24:25], s[12:13]
	s_cbranch_vccnz .LBB75_22
.LBB75_70:                              ;   in Loop: Header=BB75_4 Depth=1
	s_mov_b64 s[24:25], 0
	v_pk_mov_b32 v[14:15], s[24:25], s[24:25] op_sel:[0,1]
	s_cbranch_execz .LBB75_23
	s_branch .LBB75_24
.LBB75_71:                              ;   in Loop: Header=BB75_4 Depth=1
	s_cmp_lg_u64 s[12:13], 1
	s_cselect_b64 s[24:25], -1, 0
	s_cbranch_execnz .LBB75_33
.LBB75_72:                              ;   in Loop: Header=BB75_4 Depth=1
	s_cmp_lg_u64 s[12:13], -1
	s_mov_b64 s[22:23], -1
	s_cselect_b64 s[24:25], -1, 0
	s_andn2_b64 vcc, exec, s[24:25]
	s_mov_b64 s[24:25], s[12:13]
	s_cbranch_vccnz .LBB75_34
.LBB75_73:                              ;   in Loop: Header=BB75_4 Depth=1
	s_mov_b64 s[24:25], 0
	v_pk_mov_b32 v[18:19], s[24:25], s[24:25] op_sel:[0,1]
	s_cbranch_execz .LBB75_35
	s_branch .LBB75_36
.LBB75_74:                              ;   in Loop: Header=BB75_4 Depth=1
	s_cmp_lg_u64 s[12:13], 1
	s_cselect_b64 s[24:25], -1, 0
	s_cbranch_execnz .LBB75_45
.LBB75_75:                              ;   in Loop: Header=BB75_4 Depth=1
	s_cmp_lg_u64 s[12:13], -1
	s_mov_b64 s[22:23], -1
	s_cselect_b64 s[24:25], -1, 0
	s_andn2_b64 vcc, exec, s[24:25]
	s_mov_b64 s[24:25], s[12:13]
	s_cbranch_vccnz .LBB75_46
.LBB75_76:                              ;   in Loop: Header=BB75_4 Depth=1
	s_mov_b64 s[24:25], 0
	v_pk_mov_b32 v[20:21], s[24:25], s[24:25] op_sel:[0,1]
	s_cbranch_execz .LBB75_47
	s_branch .LBB75_48
.LBB75_77:                              ;   in Loop: Header=BB75_4 Depth=1
	s_cmp_lg_u64 s[12:13], 1
	s_cselect_b64 s[24:25], -1, 0
	s_cbranch_execnz .LBB75_57
.LBB75_78:                              ;   in Loop: Header=BB75_4 Depth=1
	s_cmp_lg_u64 s[12:13], -1
	s_mov_b64 s[22:23], -1
	s_cselect_b64 s[24:25], -1, 0
	s_andn2_b64 vcc, exec, s[24:25]
	s_mov_b64 s[24:25], s[12:13]
	s_cbranch_vccnz .LBB75_58
.LBB75_79:                              ;   in Loop: Header=BB75_4 Depth=1
	s_mov_b64 s[24:25], 0
	v_pk_mov_b32 v[16:17], s[24:25], s[24:25] op_sel:[0,1]
	s_cbranch_execz .LBB75_59
	s_branch .LBB75_60
.LBB75_80:
	s_mov_b64 s[0:1], 0
.LBB75_81:
	s_andn2_b64 vcc, exec, s[0:1]
	s_cbranch_vccnz .LBB75_145
; %bb.82:
	v_mov_b32_e32 v15, 0
	v_lshlrev_b32_e32 v14, 2, v0
	s_mov_b32 s20, 0
	v_cmp_gt_i64_e32 vcc, s[14:15], v[14:15]
	s_and_saveexec_b64 s[0:1], vcc
	s_cbranch_execz .LBB75_145
; %bb.83:
	s_load_dword s0, s[4:5], 0xc64
	v_mov_b32_e32 v1, v15
	s_mov_b64 s[2:3], 0
	v_mov_b32_e32 v18, s34
	s_mov_b64 s[4:5], 0xffff
	s_waitcnt lgkmcnt(0)
	s_and_b32 s21, s0, 0xffff
	v_cmp_lt_i64_e64 s[6:7], s[12:13], 1
	s_branch .LBB75_85
.LBB75_84:                              ;   in Loop: Header=BB75_85 Depth=1
	s_or_b64 exec, exec, s[0:1]
	v_mov_b32_e32 v3, s33
	v_add_co_u32_e32 v2, vcc, s31, v16
	v_addc_co_u32_e32 v3, vcc, v3, v17, vcc
	v_mov_b32_e32 v4, s20
	v_add_co_u32_e32 v0, vcc, s21, v0
	v_addc_co_u32_e32 v1, vcc, v1, v4, vcc
	v_lshlrev_b64 v[4:5], 2, v[0:1]
	v_cmp_le_i64_e32 vcc, s[14:15], v[4:5]
	v_cmp_lt_u64_e64 s[0:1], s[4:5], v[4:5]
	s_or_b64 s[0:1], vcc, s[0:1]
	s_and_b64 s[0:1], exec, s[0:1]
	s_or_b64 s[2:3], s[0:1], s[2:3]
	global_store_dwordx4 v[2:3], v[6:9], off
	global_store_dwordx4 v[2:3], v[10:13], off offset:16
	s_andn2_b64 exec, exec, s[2:3]
	s_cbranch_execz .LBB75_145
.LBB75_85:                              ; =>This Loop Header: Depth=1
                                        ;     Child Loop BB75_88 Depth 2
                                        ;     Child Loop BB75_100 Depth 2
	;; [unrolled: 1-line block ×4, first 2 shown]
	v_lshlrev_b64 v[16:17], 5, v[0:1]
	v_add_co_u32_e32 v6, vcc, s30, v16
	v_addc_co_u32_e32 v7, vcc, v18, v17, vcc
	global_load_dwordx4 v[8:11], v[6:7], off
	global_load_dwordx4 v[2:5], v[6:7], off offset:16
                                        ; implicit-def: $vgpr6_vgpr7
	s_waitcnt vmcnt(1)
	v_cmp_lt_i64_e32 vcc, -1, v[8:9]
	s_and_saveexec_b64 s[0:1], vcc
	s_xor_b64 s[8:9], exec, s[0:1]
	s_cbranch_execz .LBB75_91
; %bb.86:                               ;   in Loop: Header=BB75_85 Depth=1
	v_mov_b32_e32 v6, 1
	v_cmp_ne_u64_e32 vcc, 0, v[8:9]
	v_mov_b32_e32 v7, 0
	s_and_saveexec_b64 s[10:11], vcc
	s_cbranch_execz .LBB75_90
; %bb.87:                               ;   in Loop: Header=BB75_85 Depth=1
	v_mov_b32_e32 v6, 1
	s_mov_b64 s[16:17], 0
	v_mov_b32_e32 v7, 0
	s_mov_b64 s[18:19], s[12:13]
.LBB75_88:                              ;   Parent Loop BB75_85 Depth=1
                                        ; =>  This Inner Loop Header: Depth=2
	v_and_b32_e32 v14, 1, v8
	v_mov_b32_e32 v19, s18
	v_mov_b32_e32 v20, s19
	v_lshrrev_b64 v[12:13], 1, v[8:9]
	s_mul_i32 s19, s18, s19
	s_mul_hi_u32 s22, s18, s18
	v_cmp_eq_u32_e64 s[0:1], 1, v14
	v_cmp_gt_u64_e32 vcc, 2, v[8:9]
	v_cndmask_b32_e64 v14, 1, v19, s[0:1]
	s_add_i32 s22, s22, s19
	v_pk_mov_b32 v[8:9], v[12:13], v[12:13] op_sel:[0,1]
	v_cndmask_b32_e64 v12, 0, v20, s[0:1]
	v_mul_lo_u32 v13, v14, v7
	s_add_i32 s19, s22, s19
	v_mul_lo_u32 v12, v12, v6
	v_mad_u64_u32 v[6:7], s[0:1], v14, v6, 0
	s_mul_i32 s18, s18, s18
	s_or_b64 s[16:17], vcc, s[16:17]
	v_add3_u32 v7, v7, v13, v12
	s_andn2_b64 exec, exec, s[16:17]
	s_cbranch_execnz .LBB75_88
; %bb.89:                               ;   in Loop: Header=BB75_85 Depth=1
	s_or_b64 exec, exec, s[16:17]
.LBB75_90:                              ;   in Loop: Header=BB75_85 Depth=1
	s_or_b64 exec, exec, s[10:11]
.LBB75_91:                              ;   in Loop: Header=BB75_85 Depth=1
	s_andn2_saveexec_b64 s[0:1], s[8:9]
	s_cbranch_execz .LBB75_97
; %bb.92:                               ;   in Loop: Header=BB75_85 Depth=1
	s_mov_b64 s[16:17], -1
	s_mov_b64 s[8:9], 0
	s_and_b64 vcc, exec, s[6:7]
	s_mov_b64 s[10:11], 0
	s_cbranch_vccz .LBB75_132
; %bb.93:                               ;   in Loop: Header=BB75_85 Depth=1
	s_andn2_b64 vcc, exec, s[16:17]
	s_cbranch_vccz .LBB75_133
.LBB75_94:                              ;   in Loop: Header=BB75_85 Depth=1
	s_andn2_b64 vcc, exec, s[10:11]
	s_mov_b64 s[10:11], s[12:13]
	s_cbranch_vccz .LBB75_134
.LBB75_95:                              ;   in Loop: Header=BB75_85 Depth=1
	s_andn2_b64 vcc, exec, s[8:9]
	v_pk_mov_b32 v[6:7], s[10:11], s[10:11] op_sel:[0,1]
	s_cbranch_vccnz .LBB75_97
.LBB75_96:                              ;   in Loop: Header=BB75_85 Depth=1
	v_and_b32_e32 v14, 1, v8
	v_cmp_eq_u64_e32 vcc, 0, v[14:15]
	v_cndmask_b32_e64 v7, -1, 0, vcc
	v_cndmask_b32_e64 v6, -1, 1, vcc
.LBB75_97:                              ;   in Loop: Header=BB75_85 Depth=1
	s_or_b64 exec, exec, s[0:1]
	v_cmp_lt_i64_e32 vcc, -1, v[10:11]
	s_and_saveexec_b64 s[0:1], vcc
	s_xor_b64 s[8:9], exec, s[0:1]
	s_cbranch_execz .LBB75_103
; %bb.98:                               ;   in Loop: Header=BB75_85 Depth=1
	v_mov_b32_e32 v8, 1
	v_cmp_ne_u64_e32 vcc, 0, v[10:11]
	v_mov_b32_e32 v9, 0
	s_and_saveexec_b64 s[10:11], vcc
	s_cbranch_execz .LBB75_102
; %bb.99:                               ;   in Loop: Header=BB75_85 Depth=1
	v_mov_b32_e32 v8, 1
	s_mov_b64 s[16:17], 0
	v_mov_b32_e32 v9, 0
	s_mov_b64 s[18:19], s[12:13]
.LBB75_100:                             ;   Parent Loop BB75_85 Depth=1
                                        ; =>  This Inner Loop Header: Depth=2
	v_and_b32_e32 v14, 1, v10
	v_mov_b32_e32 v19, s18
	v_mov_b32_e32 v20, s19
	v_lshrrev_b64 v[12:13], 1, v[10:11]
	s_mul_i32 s19, s18, s19
	s_mul_hi_u32 s22, s18, s18
	v_cmp_eq_u32_e64 s[0:1], 1, v14
	v_cmp_gt_u64_e32 vcc, 2, v[10:11]
	v_cndmask_b32_e64 v14, 1, v19, s[0:1]
	s_add_i32 s22, s22, s19
	v_pk_mov_b32 v[10:11], v[12:13], v[12:13] op_sel:[0,1]
	v_cndmask_b32_e64 v12, 0, v20, s[0:1]
	v_mul_lo_u32 v13, v14, v9
	s_add_i32 s19, s22, s19
	v_mul_lo_u32 v12, v12, v8
	v_mad_u64_u32 v[8:9], s[0:1], v14, v8, 0
	s_mul_i32 s18, s18, s18
	s_or_b64 s[16:17], vcc, s[16:17]
	v_add3_u32 v9, v9, v13, v12
	s_andn2_b64 exec, exec, s[16:17]
	s_cbranch_execnz .LBB75_100
; %bb.101:                              ;   in Loop: Header=BB75_85 Depth=1
	s_or_b64 exec, exec, s[16:17]
.LBB75_102:                             ;   in Loop: Header=BB75_85 Depth=1
	s_or_b64 exec, exec, s[10:11]
                                        ; implicit-def: $vgpr10_vgpr11
.LBB75_103:                             ;   in Loop: Header=BB75_85 Depth=1
	s_andn2_saveexec_b64 s[0:1], s[8:9]
	s_cbranch_execz .LBB75_109
; %bb.104:                              ;   in Loop: Header=BB75_85 Depth=1
	s_mov_b64 s[16:17], -1
	s_mov_b64 s[8:9], 0
	s_and_b64 vcc, exec, s[6:7]
	s_mov_b64 s[10:11], 0
	s_cbranch_vccz .LBB75_135
; %bb.105:                              ;   in Loop: Header=BB75_85 Depth=1
	s_andn2_b64 vcc, exec, s[16:17]
	s_cbranch_vccz .LBB75_136
.LBB75_106:                             ;   in Loop: Header=BB75_85 Depth=1
	s_andn2_b64 vcc, exec, s[10:11]
	s_mov_b64 s[10:11], s[12:13]
	s_cbranch_vccz .LBB75_137
.LBB75_107:                             ;   in Loop: Header=BB75_85 Depth=1
	s_andn2_b64 vcc, exec, s[8:9]
	v_pk_mov_b32 v[8:9], s[10:11], s[10:11] op_sel:[0,1]
	s_cbranch_vccnz .LBB75_109
.LBB75_108:                             ;   in Loop: Header=BB75_85 Depth=1
	v_and_b32_e32 v14, 1, v10
	v_cmp_eq_u64_e32 vcc, 0, v[14:15]
	v_cndmask_b32_e64 v9, -1, 0, vcc
	v_cndmask_b32_e64 v8, -1, 1, vcc
.LBB75_109:                             ;   in Loop: Header=BB75_85 Depth=1
	s_or_b64 exec, exec, s[0:1]
	s_waitcnt vmcnt(0)
	v_cmp_lt_i64_e32 vcc, -1, v[2:3]
                                        ; implicit-def: $vgpr10_vgpr11
	s_and_saveexec_b64 s[0:1], vcc
	s_xor_b64 s[8:9], exec, s[0:1]
	s_cbranch_execz .LBB75_115
; %bb.110:                              ;   in Loop: Header=BB75_85 Depth=1
	v_mov_b32_e32 v10, 1
	v_cmp_ne_u64_e32 vcc, 0, v[2:3]
	v_mov_b32_e32 v11, 0
	s_and_saveexec_b64 s[10:11], vcc
	s_cbranch_execz .LBB75_114
; %bb.111:                              ;   in Loop: Header=BB75_85 Depth=1
	v_mov_b32_e32 v10, 1
	s_mov_b64 s[16:17], 0
	v_mov_b32_e32 v11, 0
	s_mov_b64 s[18:19], s[12:13]
.LBB75_112:                             ;   Parent Loop BB75_85 Depth=1
                                        ; =>  This Inner Loop Header: Depth=2
	v_and_b32_e32 v14, 1, v2
	v_mov_b32_e32 v19, s18
	v_mov_b32_e32 v20, s19
	v_lshrrev_b64 v[12:13], 1, v[2:3]
	s_mul_i32 s19, s18, s19
	s_mul_hi_u32 s22, s18, s18
	v_cmp_eq_u32_e64 s[0:1], 1, v14
	v_cmp_gt_u64_e32 vcc, 2, v[2:3]
	v_cndmask_b32_e64 v14, 1, v19, s[0:1]
	s_add_i32 s22, s22, s19
	v_pk_mov_b32 v[2:3], v[12:13], v[12:13] op_sel:[0,1]
	v_cndmask_b32_e64 v12, 0, v20, s[0:1]
	v_mul_lo_u32 v13, v14, v11
	s_add_i32 s19, s22, s19
	v_mul_lo_u32 v12, v12, v10
	v_mad_u64_u32 v[10:11], s[0:1], v14, v10, 0
	s_mul_i32 s18, s18, s18
	s_or_b64 s[16:17], vcc, s[16:17]
	v_add3_u32 v11, v11, v13, v12
	s_andn2_b64 exec, exec, s[16:17]
	s_cbranch_execnz .LBB75_112
; %bb.113:                              ;   in Loop: Header=BB75_85 Depth=1
	s_or_b64 exec, exec, s[16:17]
.LBB75_114:                             ;   in Loop: Header=BB75_85 Depth=1
	s_or_b64 exec, exec, s[10:11]
.LBB75_115:                             ;   in Loop: Header=BB75_85 Depth=1
	s_andn2_saveexec_b64 s[0:1], s[8:9]
	s_cbranch_execz .LBB75_121
; %bb.116:                              ;   in Loop: Header=BB75_85 Depth=1
	s_mov_b64 s[16:17], -1
	s_mov_b64 s[8:9], 0
	s_and_b64 vcc, exec, s[6:7]
	s_mov_b64 s[10:11], 0
	s_cbranch_vccz .LBB75_138
; %bb.117:                              ;   in Loop: Header=BB75_85 Depth=1
	s_andn2_b64 vcc, exec, s[16:17]
	s_cbranch_vccz .LBB75_139
.LBB75_118:                             ;   in Loop: Header=BB75_85 Depth=1
	s_andn2_b64 vcc, exec, s[10:11]
	s_mov_b64 s[10:11], s[12:13]
	s_cbranch_vccz .LBB75_140
.LBB75_119:                             ;   in Loop: Header=BB75_85 Depth=1
	s_andn2_b64 vcc, exec, s[8:9]
	v_pk_mov_b32 v[10:11], s[10:11], s[10:11] op_sel:[0,1]
	s_cbranch_vccnz .LBB75_121
.LBB75_120:                             ;   in Loop: Header=BB75_85 Depth=1
	v_and_b32_e32 v14, 1, v2
	v_cmp_eq_u64_e32 vcc, 0, v[14:15]
	v_cndmask_b32_e64 v11, -1, 0, vcc
	v_cndmask_b32_e64 v10, -1, 1, vcc
.LBB75_121:                             ;   in Loop: Header=BB75_85 Depth=1
	s_or_b64 exec, exec, s[0:1]
	v_cmp_lt_i64_e32 vcc, -1, v[4:5]
	s_and_saveexec_b64 s[0:1], vcc
	s_xor_b64 s[8:9], exec, s[0:1]
	s_cbranch_execz .LBB75_127
; %bb.122:                              ;   in Loop: Header=BB75_85 Depth=1
	v_mov_b32_e32 v12, 1
	v_cmp_ne_u64_e32 vcc, 0, v[4:5]
	v_mov_b32_e32 v13, 0
	s_and_saveexec_b64 s[10:11], vcc
	s_cbranch_execz .LBB75_126
; %bb.123:                              ;   in Loop: Header=BB75_85 Depth=1
	v_mov_b32_e32 v12, 1
	s_mov_b64 s[16:17], 0
	v_mov_b32_e32 v13, 0
	s_mov_b64 s[18:19], s[12:13]
.LBB75_124:                             ;   Parent Loop BB75_85 Depth=1
                                        ; =>  This Inner Loop Header: Depth=2
	v_and_b32_e32 v14, 1, v4
	v_mov_b32_e32 v19, s18
	v_mov_b32_e32 v20, s19
	v_lshrrev_b64 v[2:3], 1, v[4:5]
	s_mul_i32 s19, s18, s19
	s_mul_hi_u32 s22, s18, s18
	v_cmp_eq_u32_e64 s[0:1], 1, v14
	v_cmp_gt_u64_e32 vcc, 2, v[4:5]
	v_cndmask_b32_e64 v14, 1, v19, s[0:1]
	s_add_i32 s22, s22, s19
	v_pk_mov_b32 v[4:5], v[2:3], v[2:3] op_sel:[0,1]
	v_cndmask_b32_e64 v2, 0, v20, s[0:1]
	v_mul_lo_u32 v3, v14, v13
	s_add_i32 s19, s22, s19
	v_mul_lo_u32 v2, v2, v12
	v_mad_u64_u32 v[12:13], s[0:1], v14, v12, 0
	s_mul_i32 s18, s18, s18
	s_or_b64 s[16:17], vcc, s[16:17]
	v_add3_u32 v13, v13, v3, v2
	s_andn2_b64 exec, exec, s[16:17]
	s_cbranch_execnz .LBB75_124
; %bb.125:                              ;   in Loop: Header=BB75_85 Depth=1
	s_or_b64 exec, exec, s[16:17]
.LBB75_126:                             ;   in Loop: Header=BB75_85 Depth=1
	s_or_b64 exec, exec, s[10:11]
                                        ; implicit-def: $vgpr4_vgpr5
.LBB75_127:                             ;   in Loop: Header=BB75_85 Depth=1
	s_andn2_saveexec_b64 s[0:1], s[8:9]
	s_cbranch_execz .LBB75_84
; %bb.128:                              ;   in Loop: Header=BB75_85 Depth=1
	s_mov_b64 s[16:17], -1
	s_mov_b64 s[8:9], 0
	s_and_b64 vcc, exec, s[6:7]
	s_mov_b64 s[10:11], 0
	s_cbranch_vccz .LBB75_141
; %bb.129:                              ;   in Loop: Header=BB75_85 Depth=1
	s_andn2_b64 vcc, exec, s[16:17]
	s_cbranch_vccz .LBB75_142
.LBB75_130:                             ;   in Loop: Header=BB75_85 Depth=1
	s_andn2_b64 vcc, exec, s[10:11]
	s_mov_b64 s[10:11], s[12:13]
	s_cbranch_vccz .LBB75_143
.LBB75_131:                             ;   in Loop: Header=BB75_85 Depth=1
	s_andn2_b64 vcc, exec, s[8:9]
	v_pk_mov_b32 v[12:13], s[10:11], s[10:11] op_sel:[0,1]
	s_cbranch_vccnz .LBB75_84
	s_branch .LBB75_144
.LBB75_132:                             ;   in Loop: Header=BB75_85 Depth=1
	s_cmp_lg_u64 s[12:13], 1
	s_cselect_b64 s[10:11], -1, 0
	s_cbranch_execnz .LBB75_94
.LBB75_133:                             ;   in Loop: Header=BB75_85 Depth=1
	s_cmp_lg_u64 s[12:13], -1
	s_mov_b64 s[8:9], -1
	s_cselect_b64 s[10:11], -1, 0
	s_andn2_b64 vcc, exec, s[10:11]
	s_mov_b64 s[10:11], s[12:13]
	s_cbranch_vccnz .LBB75_95
.LBB75_134:                             ;   in Loop: Header=BB75_85 Depth=1
	s_mov_b64 s[10:11], 0
	v_pk_mov_b32 v[6:7], s[10:11], s[10:11] op_sel:[0,1]
	s_cbranch_execz .LBB75_96
	s_branch .LBB75_97
.LBB75_135:                             ;   in Loop: Header=BB75_85 Depth=1
	s_cmp_lg_u64 s[12:13], 1
	s_cselect_b64 s[10:11], -1, 0
	s_cbranch_execnz .LBB75_106
.LBB75_136:                             ;   in Loop: Header=BB75_85 Depth=1
	s_cmp_lg_u64 s[12:13], -1
	s_mov_b64 s[8:9], -1
	s_cselect_b64 s[10:11], -1, 0
	s_andn2_b64 vcc, exec, s[10:11]
	s_mov_b64 s[10:11], s[12:13]
	s_cbranch_vccnz .LBB75_107
.LBB75_137:                             ;   in Loop: Header=BB75_85 Depth=1
	s_mov_b64 s[10:11], 0
	v_pk_mov_b32 v[8:9], s[10:11], s[10:11] op_sel:[0,1]
	s_cbranch_execz .LBB75_108
	s_branch .LBB75_109
.LBB75_138:                             ;   in Loop: Header=BB75_85 Depth=1
	s_cmp_lg_u64 s[12:13], 1
	s_cselect_b64 s[10:11], -1, 0
	s_cbranch_execnz .LBB75_118
.LBB75_139:                             ;   in Loop: Header=BB75_85 Depth=1
	s_cmp_lg_u64 s[12:13], -1
	s_mov_b64 s[8:9], -1
	s_cselect_b64 s[10:11], -1, 0
	s_andn2_b64 vcc, exec, s[10:11]
	s_mov_b64 s[10:11], s[12:13]
	s_cbranch_vccnz .LBB75_119
.LBB75_140:                             ;   in Loop: Header=BB75_85 Depth=1
	s_mov_b64 s[10:11], 0
	v_pk_mov_b32 v[10:11], s[10:11], s[10:11] op_sel:[0,1]
	s_cbranch_execz .LBB75_120
	s_branch .LBB75_121
.LBB75_141:                             ;   in Loop: Header=BB75_85 Depth=1
	s_cmp_lg_u64 s[12:13], 1
	s_cselect_b64 s[10:11], -1, 0
	s_cbranch_execnz .LBB75_130
.LBB75_142:                             ;   in Loop: Header=BB75_85 Depth=1
	s_cmp_lg_u64 s[12:13], -1
	s_mov_b64 s[8:9], -1
	s_cselect_b64 s[10:11], -1, 0
	s_andn2_b64 vcc, exec, s[10:11]
	s_mov_b64 s[10:11], s[12:13]
	s_cbranch_vccnz .LBB75_131
.LBB75_143:                             ;   in Loop: Header=BB75_85 Depth=1
	s_mov_b64 s[10:11], 0
	v_pk_mov_b32 v[12:13], s[10:11], s[10:11] op_sel:[0,1]
	s_cbranch_execnz .LBB75_84
.LBB75_144:                             ;   in Loop: Header=BB75_85 Depth=1
	v_and_b32_e32 v14, 1, v4
	v_cmp_eq_u64_e32 vcc, 0, v[14:15]
	v_cndmask_b32_e64 v13, -1, 0, vcc
	v_cndmask_b32_e64 v12, -1, 1, vcc
	s_branch .LBB75_84
.LBB75_145:
	s_endpgm
	.section	.rodata,"a",@progbits
	.p2align	6, 0x0
	.amdhsa_kernel _ZN2at6native12_GLOBAL__N_125multi_tensor_apply_kernelINS1_18TensorListMetadataILi2EEENS1_21BinaryOpScalarFunctorIlLi2ELi1ELi1EEEJNS1_21reverse_power_functorIlEElEEEvT_T0_DpT1_
		.amdhsa_group_segment_fixed_size 0
		.amdhsa_private_segment_fixed_size 0
		.amdhsa_kernarg_size 3416
		.amdhsa_user_sgpr_count 6
		.amdhsa_user_sgpr_private_segment_buffer 1
		.amdhsa_user_sgpr_dispatch_ptr 0
		.amdhsa_user_sgpr_queue_ptr 0
		.amdhsa_user_sgpr_kernarg_segment_ptr 1
		.amdhsa_user_sgpr_dispatch_id 0
		.amdhsa_user_sgpr_flat_scratch_init 0
		.amdhsa_user_sgpr_kernarg_preload_length 0
		.amdhsa_user_sgpr_kernarg_preload_offset 0
		.amdhsa_user_sgpr_private_segment_size 0
		.amdhsa_uses_dynamic_stack 0
		.amdhsa_system_sgpr_private_segment_wavefront_offset 0
		.amdhsa_system_sgpr_workgroup_id_x 1
		.amdhsa_system_sgpr_workgroup_id_y 0
		.amdhsa_system_sgpr_workgroup_id_z 0
		.amdhsa_system_sgpr_workgroup_info 0
		.amdhsa_system_vgpr_workitem_id 0
		.amdhsa_next_free_vgpr 28
		.amdhsa_next_free_sgpr 40
		.amdhsa_accum_offset 28
		.amdhsa_reserve_vcc 1
		.amdhsa_reserve_flat_scratch 0
		.amdhsa_float_round_mode_32 0
		.amdhsa_float_round_mode_16_64 0
		.amdhsa_float_denorm_mode_32 3
		.amdhsa_float_denorm_mode_16_64 3
		.amdhsa_dx10_clamp 1
		.amdhsa_ieee_mode 1
		.amdhsa_fp16_overflow 0
		.amdhsa_tg_split 0
		.amdhsa_exception_fp_ieee_invalid_op 0
		.amdhsa_exception_fp_denorm_src 0
		.amdhsa_exception_fp_ieee_div_zero 0
		.amdhsa_exception_fp_ieee_overflow 0
		.amdhsa_exception_fp_ieee_underflow 0
		.amdhsa_exception_fp_ieee_inexact 0
		.amdhsa_exception_int_div_zero 0
	.end_amdhsa_kernel
	.section	.text._ZN2at6native12_GLOBAL__N_125multi_tensor_apply_kernelINS1_18TensorListMetadataILi2EEENS1_21BinaryOpScalarFunctorIlLi2ELi1ELi1EEEJNS1_21reverse_power_functorIlEElEEEvT_T0_DpT1_,"axG",@progbits,_ZN2at6native12_GLOBAL__N_125multi_tensor_apply_kernelINS1_18TensorListMetadataILi2EEENS1_21BinaryOpScalarFunctorIlLi2ELi1ELi1EEEJNS1_21reverse_power_functorIlEElEEEvT_T0_DpT1_,comdat
.Lfunc_end75:
	.size	_ZN2at6native12_GLOBAL__N_125multi_tensor_apply_kernelINS1_18TensorListMetadataILi2EEENS1_21BinaryOpScalarFunctorIlLi2ELi1ELi1EEEJNS1_21reverse_power_functorIlEElEEEvT_T0_DpT1_, .Lfunc_end75-_ZN2at6native12_GLOBAL__N_125multi_tensor_apply_kernelINS1_18TensorListMetadataILi2EEENS1_21BinaryOpScalarFunctorIlLi2ELi1ELi1EEEJNS1_21reverse_power_functorIlEElEEEvT_T0_DpT1_
                                        ; -- End function
	.section	.AMDGPU.csdata,"",@progbits
; Kernel info:
; codeLenInByte = 3624
; NumSgprs: 44
; NumVgprs: 28
; NumAgprs: 0
; TotalNumVgprs: 28
; ScratchSize: 0
; MemoryBound: 1
; FloatMode: 240
; IeeeMode: 1
; LDSByteSize: 0 bytes/workgroup (compile time only)
; SGPRBlocks: 5
; VGPRBlocks: 3
; NumSGPRsForWavesPerEU: 44
; NumVGPRsForWavesPerEU: 28
; AccumOffset: 28
; Occupancy: 8
; WaveLimiterHint : 0
; COMPUTE_PGM_RSRC2:SCRATCH_EN: 0
; COMPUTE_PGM_RSRC2:USER_SGPR: 6
; COMPUTE_PGM_RSRC2:TRAP_HANDLER: 0
; COMPUTE_PGM_RSRC2:TGID_X_EN: 1
; COMPUTE_PGM_RSRC2:TGID_Y_EN: 0
; COMPUTE_PGM_RSRC2:TGID_Z_EN: 0
; COMPUTE_PGM_RSRC2:TIDIG_COMP_CNT: 0
; COMPUTE_PGM_RSRC3_GFX90A:ACCUM_OFFSET: 6
; COMPUTE_PGM_RSRC3_GFX90A:TG_SPLIT: 0
	.section	.text._ZN2at6native12_GLOBAL__N_125multi_tensor_apply_kernelINS1_18TensorListMetadataILi2EEENS1_21BinaryOpScalarFunctorIsLi2ELi1ELi1EEEJNS1_21reverse_power_functorIsEEsEEEvT_T0_DpT1_,"axG",@progbits,_ZN2at6native12_GLOBAL__N_125multi_tensor_apply_kernelINS1_18TensorListMetadataILi2EEENS1_21BinaryOpScalarFunctorIsLi2ELi1ELi1EEEJNS1_21reverse_power_functorIsEEsEEEvT_T0_DpT1_,comdat
	.globl	_ZN2at6native12_GLOBAL__N_125multi_tensor_apply_kernelINS1_18TensorListMetadataILi2EEENS1_21BinaryOpScalarFunctorIsLi2ELi1ELi1EEEJNS1_21reverse_power_functorIsEEsEEEvT_T0_DpT1_ ; -- Begin function _ZN2at6native12_GLOBAL__N_125multi_tensor_apply_kernelINS1_18TensorListMetadataILi2EEENS1_21BinaryOpScalarFunctorIsLi2ELi1ELi1EEEJNS1_21reverse_power_functorIsEEsEEEvT_T0_DpT1_
	.p2align	8
	.type	_ZN2at6native12_GLOBAL__N_125multi_tensor_apply_kernelINS1_18TensorListMetadataILi2EEENS1_21BinaryOpScalarFunctorIsLi2ELi1ELi1EEEJNS1_21reverse_power_functorIsEEsEEEvT_T0_DpT1_,@function
_ZN2at6native12_GLOBAL__N_125multi_tensor_apply_kernelINS1_18TensorListMetadataILi2EEENS1_21BinaryOpScalarFunctorIsLi2ELi1ELi1EEEJNS1_21reverse_power_functorIsEEsEEEvT_T0_DpT1_: ; @_ZN2at6native12_GLOBAL__N_125multi_tensor_apply_kernelINS1_18TensorListMetadataILi2EEENS1_21BinaryOpScalarFunctorIsLi2ELi1ELi1EEEJNS1_21reverse_power_functorIsEEsEEEvT_T0_DpT1_
; %bb.0:
	v_mov_b32_e32 v1, s6
	global_load_ubyte v1, v1, s[4:5] offset:1536
	s_load_dword s0, s[4:5], 0xc48
	s_mul_hi_u32 s2, s6, 3
	s_mul_i32 s8, s6, 3
	s_mov_b32 s1, 0
	s_mov_b32 s7, s1
	s_waitcnt lgkmcnt(0)
	s_lshr_b32 s26, s0, 16
	s_add_u32 s0, s4, s6
	s_addc_u32 s6, s5, 0
	s_add_u32 s8, s0, s8
	s_addc_u32 s9, s6, s2
	s_load_dword s8, s[8:9], 0x740
	s_mov_b32 s3, s1
	s_waitcnt lgkmcnt(0)
	s_ashr_i32 s9, s8, 31
	s_lshl_b64 s[16:17], s[8:9], 17
	s_waitcnt vmcnt(0)
	v_readfirstlane_b32 s0, v1
	s_lshl_b32 s0, s0, 3
	s_load_dwordx2 s[10:11], s[4:5], s0 offset:0x0
	s_load_dwordx2 s[12:13], s[4:5], s0 offset:0x400
	;; [unrolled: 1-line block ×3, first 2 shown]
	s_waitcnt lgkmcnt(0)
	s_add_u32 s27, s10, s16
	s_addc_u32 s30, s11, s17
	s_and_b32 s0, s27, 7
	s_add_u32 s28, s14, s16
	s_addc_u32 s29, s15, s17
	s_and_b32 s6, s12, 3
	s_and_b32 s2, s28, 7
	s_or_b64 s[0:1], s[0:1], s[6:7]
	s_or_b64 s[0:1], s[2:3], s[0:1]
	s_lshl_b64 s[2:3], s[8:9], 16
	s_sub_u32 s10, s12, s2
	s_subb_u32 s11, s13, s3
	s_cmp_eq_u64 s[0:1], 0
	s_mov_b64 s[0:1], -1
	s_cbranch_scc1 .LBB76_81
; %bb.1:
	v_cmp_lt_i64_e64 s[0:1], s[10:11], 1
	s_and_b64 vcc, exec, s[0:1]
	s_cbranch_vccnz .LBB76_80
; %bb.2:
	s_load_dword s0, s[4:5], 0xc5c
	v_mov_b32_e32 v2, 0x10000
	v_mov_b32_e32 v3, 0
	v_cmp_lt_u64_e32 vcc, s[10:11], v[2:3]
	s_mov_b32 s2, 0
	s_waitcnt lgkmcnt(0)
	s_and_b32 s33, s0, 0xffff
	s_and_b64 s[0:1], vcc, exec
	s_mov_b32 s31, 0xffff
	s_cselect_b32 s13, s11, 0
	s_cselect_b32 s12, s10, 0x10000
	s_lshl_b32 s34, s33, 1
	s_mul_i32 s35, s33, 3
	s_lshl_b32 s36, s33, 2
	s_pack_ll_b32_b16 s37, 1, s26
	s_mov_b64 s[14:15], 0
	v_mov_b32_e32 v1, s2
	v_mov_b32_e32 v10, s2
	;; [unrolled: 1-line block ×3, first 2 shown]
	v_cmp_lt_i16_e64 s[16:17], s26, 1
	s_branch .LBB76_4
.LBB76_3:                               ;   in Loop: Header=BB76_4 Depth=1
	s_or_b64 exec, exec, s[0:1]
	s_add_u32 s14, s14, s36
	s_addc_u32 s15, s15, 0
	v_pk_mov_b32 v[2:3], s[10:11], s[10:11] op_sel:[0,1]
	v_cmp_ge_i64_e32 vcc, s[14:15], v[2:3]
	v_mov_b32_e32 v2, 0xffff
	v_mov_b32_e32 v3, 0
	v_cmp_gt_u64_e64 s[0:1], s[14:15], v[2:3]
	s_or_b64 s[0:1], vcc, s[0:1]
	s_and_b64 vcc, exec, s[0:1]
	s_cbranch_vccnz .LBB76_80
.LBB76_4:                               ; =>This Loop Header: Depth=1
                                        ;     Child Loop BB76_15 Depth 2
                                        ;     Child Loop BB76_27 Depth 2
	;; [unrolled: 1-line block ×4, first 2 shown]
	v_mov_b32_e32 v2, s15
	v_add_co_u32_e32 v8, vcc, s14, v0
	v_addc_co_u32_e32 v9, vcc, 0, v2, vcc
	v_cmp_gt_u64_e64 s[0:1], s[12:13], v[8:9]
	v_lshlrev_b64 v[2:3], 1, v[8:9]
	v_mov_b32_e32 v15, 0
	s_and_saveexec_b64 s[2:3], s[0:1]
	s_cbranch_execz .LBB76_6
; %bb.5:                                ;   in Loop: Header=BB76_4 Depth=1
	v_mov_b32_e32 v5, s30
	v_add_co_u32_e32 v4, vcc, s27, v2
	v_addc_co_u32_e32 v5, vcc, v5, v3, vcc
	global_load_ushort v15, v[4:5], off
.LBB76_6:                               ;   in Loop: Header=BB76_4 Depth=1
	s_or_b64 exec, exec, s[2:3]
	v_add_co_u32_e32 v4, vcc, s33, v8
	v_addc_co_u32_e32 v5, vcc, v9, v1, vcc
	v_cmp_gt_u64_e64 s[2:3], s[12:13], v[4:5]
	v_lshlrev_b64 v[4:5], 1, v[4:5]
	v_mov_b32_e32 v16, 0
	s_and_saveexec_b64 s[6:7], s[2:3]
	s_cbranch_execz .LBB76_8
; %bb.7:                                ;   in Loop: Header=BB76_4 Depth=1
	v_mov_b32_e32 v7, s30
	v_add_co_u32_e32 v6, vcc, s27, v4
	v_addc_co_u32_e32 v7, vcc, v7, v5, vcc
	global_load_ushort v16, v[6:7], off
.LBB76_8:                               ;   in Loop: Header=BB76_4 Depth=1
	s_or_b64 exec, exec, s[6:7]
	v_add_co_u32_e32 v6, vcc, s34, v8
	v_addc_co_u32_e32 v7, vcc, v9, v10, vcc
	v_cmp_gt_u64_e64 s[6:7], s[12:13], v[6:7]
	v_mov_b32_e32 v12, 0
	v_lshlrev_b64 v[6:7], 1, v[6:7]
	v_mov_b32_e32 v14, 0
	s_and_saveexec_b64 s[8:9], s[6:7]
	s_cbranch_execz .LBB76_10
; %bb.9:                                ;   in Loop: Header=BB76_4 Depth=1
	v_mov_b32_e32 v13, s30
	v_add_co_u32_e32 v18, vcc, s27, v6
	v_addc_co_u32_e32 v19, vcc, v13, v7, vcc
	global_load_ushort v14, v[18:19], off
.LBB76_10:                              ;   in Loop: Header=BB76_4 Depth=1
	s_or_b64 exec, exec, s[8:9]
	v_add_co_u32_e32 v8, vcc, s35, v8
	v_addc_co_u32_e32 v9, vcc, v9, v11, vcc
	v_cmp_gt_u64_e64 s[8:9], s[12:13], v[8:9]
	v_lshlrev_b64 v[8:9], 1, v[8:9]
	s_and_saveexec_b64 s[18:19], s[8:9]
	s_cbranch_execz .LBB76_12
; %bb.11:                               ;   in Loop: Header=BB76_4 Depth=1
	v_mov_b32_e32 v13, s30
	v_add_co_u32_e32 v12, vcc, s27, v8
	v_addc_co_u32_e32 v13, vcc, v13, v9, vcc
	global_load_ushort v12, v[12:13], off
.LBB76_12:                              ;   in Loop: Header=BB76_4 Depth=1
	s_or_b64 exec, exec, s[18:19]
	s_waitcnt vmcnt(0)
	v_cmp_lt_i16_e32 vcc, -1, v15
                                        ; implicit-def: $vgpr13
	s_and_saveexec_b64 s[18:19], vcc
	s_xor_b64 s[18:19], exec, s[18:19]
	s_cbranch_execz .LBB76_18
; %bb.13:                               ;   in Loop: Header=BB76_4 Depth=1
	v_cmp_ne_u16_e32 vcc, 0, v15
	v_mov_b32_e32 v13, 1
	s_and_saveexec_b64 s[20:21], vcc
	s_cbranch_execz .LBB76_17
; %bb.14:                               ;   in Loop: Header=BB76_4 Depth=1
	s_mov_b64 s[22:23], 0
	v_mov_b32_e32 v13, s37
.LBB76_15:                              ;   Parent Loop BB76_4 Depth=1
                                        ; =>  This Inner Loop Header: Depth=2
	v_and_b32_e32 v18, 1, v15
	v_lshrrev_b32_e32 v17, 16, v13
	v_cmp_eq_u32_e32 vcc, 1, v18
	v_lshrrev_b16_e32 v18, 15, v15
	v_cndmask_b32_e32 v17, 1, v17, vcc
	v_add_u16_e32 v18, v15, v18
	v_add_u16_e32 v15, 1, v15
	v_ashrrev_i16_e32 v18, 1, v18
	v_bfi_b32 v17, s31, v17, v13
	v_cmp_gt_u16_e32 vcc, 3, v15
	v_pk_mul_lo_u16 v13, v17, v13
	s_or_b64 s[22:23], vcc, s[22:23]
	v_mov_b32_e32 v15, v18
	s_andn2_b64 exec, exec, s[22:23]
	s_cbranch_execnz .LBB76_15
; %bb.16:                               ;   in Loop: Header=BB76_4 Depth=1
	s_or_b64 exec, exec, s[22:23]
.LBB76_17:                              ;   in Loop: Header=BB76_4 Depth=1
	s_or_b64 exec, exec, s[20:21]
                                        ; implicit-def: $vgpr15
.LBB76_18:                              ;   in Loop: Header=BB76_4 Depth=1
	s_andn2_saveexec_b64 s[18:19], s[18:19]
	s_cbranch_execz .LBB76_24
; %bb.19:                               ;   in Loop: Header=BB76_4 Depth=1
	s_mov_b64 s[24:25], -1
	s_mov_b64 s[20:21], 0
	s_and_b64 vcc, exec, s[16:17]
	s_mov_b64 s[22:23], 0
	s_cbranch_vccz .LBB76_68
; %bb.20:                               ;   in Loop: Header=BB76_4 Depth=1
	s_andn2_b64 vcc, exec, s[24:25]
	s_cbranch_vccz .LBB76_69
.LBB76_21:                              ;   in Loop: Header=BB76_4 Depth=1
	s_andn2_b64 vcc, exec, s[22:23]
	s_mov_b32 s22, s26
	s_cbranch_vccz .LBB76_70
.LBB76_22:                              ;   in Loop: Header=BB76_4 Depth=1
	s_andn2_b64 vcc, exec, s[20:21]
	v_mov_b32_e32 v13, s22
	s_cbranch_vccnz .LBB76_24
.LBB76_23:                              ;   in Loop: Header=BB76_4 Depth=1
	v_and_b32_e32 v13, 1, v15
	v_cmp_eq_u16_e32 vcc, 0, v13
	v_cndmask_b32_e64 v13, -1, 1, vcc
.LBB76_24:                              ;   in Loop: Header=BB76_4 Depth=1
	s_or_b64 exec, exec, s[18:19]
	v_cmp_lt_i16_e32 vcc, -1, v16
                                        ; implicit-def: $vgpr15
	s_and_saveexec_b64 s[18:19], vcc
	s_xor_b64 s[18:19], exec, s[18:19]
	s_cbranch_execz .LBB76_30
; %bb.25:                               ;   in Loop: Header=BB76_4 Depth=1
	v_cmp_ne_u16_e32 vcc, 0, v16
	v_mov_b32_e32 v15, 1
	s_and_saveexec_b64 s[20:21], vcc
	s_cbranch_execz .LBB76_29
; %bb.26:                               ;   in Loop: Header=BB76_4 Depth=1
	s_mov_b64 s[22:23], 0
	v_mov_b32_e32 v15, s37
.LBB76_27:                              ;   Parent Loop BB76_4 Depth=1
                                        ; =>  This Inner Loop Header: Depth=2
	v_and_b32_e32 v18, 1, v16
	v_lshrrev_b32_e32 v17, 16, v15
	v_cmp_eq_u32_e32 vcc, 1, v18
	v_lshrrev_b16_e32 v18, 15, v16
	v_cndmask_b32_e32 v17, 1, v17, vcc
	v_add_u16_e32 v18, v16, v18
	v_add_u16_e32 v16, 1, v16
	v_ashrrev_i16_e32 v18, 1, v18
	v_bfi_b32 v17, s31, v17, v15
	v_cmp_gt_u16_e32 vcc, 3, v16
	v_pk_mul_lo_u16 v15, v17, v15
	s_or_b64 s[22:23], vcc, s[22:23]
	v_mov_b32_e32 v16, v18
	s_andn2_b64 exec, exec, s[22:23]
	s_cbranch_execnz .LBB76_27
; %bb.28:                               ;   in Loop: Header=BB76_4 Depth=1
	s_or_b64 exec, exec, s[22:23]
.LBB76_29:                              ;   in Loop: Header=BB76_4 Depth=1
	s_or_b64 exec, exec, s[20:21]
                                        ; implicit-def: $vgpr16
.LBB76_30:                              ;   in Loop: Header=BB76_4 Depth=1
	s_andn2_saveexec_b64 s[18:19], s[18:19]
	s_cbranch_execz .LBB76_36
; %bb.31:                               ;   in Loop: Header=BB76_4 Depth=1
	s_mov_b64 s[24:25], -1
	s_mov_b64 s[20:21], 0
	s_and_b64 vcc, exec, s[16:17]
	s_mov_b64 s[22:23], 0
	s_cbranch_vccz .LBB76_71
; %bb.32:                               ;   in Loop: Header=BB76_4 Depth=1
	s_andn2_b64 vcc, exec, s[24:25]
	s_cbranch_vccz .LBB76_72
.LBB76_33:                              ;   in Loop: Header=BB76_4 Depth=1
	s_andn2_b64 vcc, exec, s[22:23]
	s_mov_b32 s22, s26
	s_cbranch_vccz .LBB76_73
.LBB76_34:                              ;   in Loop: Header=BB76_4 Depth=1
	s_andn2_b64 vcc, exec, s[20:21]
	v_mov_b32_e32 v15, s22
	s_cbranch_vccnz .LBB76_36
.LBB76_35:                              ;   in Loop: Header=BB76_4 Depth=1
	v_and_b32_e32 v15, 1, v16
	v_cmp_eq_u16_e32 vcc, 0, v15
	v_cndmask_b32_e64 v15, -1, 1, vcc
.LBB76_36:                              ;   in Loop: Header=BB76_4 Depth=1
	s_or_b64 exec, exec, s[18:19]
	v_cmp_lt_i16_e32 vcc, -1, v14
                                        ; implicit-def: $vgpr16
	s_and_saveexec_b64 s[18:19], vcc
	s_xor_b64 s[18:19], exec, s[18:19]
	s_cbranch_execz .LBB76_42
; %bb.37:                               ;   in Loop: Header=BB76_4 Depth=1
	v_cmp_ne_u16_e32 vcc, 0, v14
	v_mov_b32_e32 v16, 1
	s_and_saveexec_b64 s[20:21], vcc
	s_cbranch_execz .LBB76_41
; %bb.38:                               ;   in Loop: Header=BB76_4 Depth=1
	s_mov_b64 s[22:23], 0
	v_mov_b32_e32 v16, s37
.LBB76_39:                              ;   Parent Loop BB76_4 Depth=1
                                        ; =>  This Inner Loop Header: Depth=2
	v_and_b32_e32 v18, 1, v14
	v_lshrrev_b32_e32 v17, 16, v16
	v_cmp_eq_u32_e32 vcc, 1, v18
	v_lshrrev_b16_e32 v18, 15, v14
	v_cndmask_b32_e32 v17, 1, v17, vcc
	v_add_u16_e32 v18, v14, v18
	v_add_u16_e32 v14, 1, v14
	v_ashrrev_i16_e32 v18, 1, v18
	v_bfi_b32 v17, s31, v17, v16
	v_cmp_gt_u16_e32 vcc, 3, v14
	v_pk_mul_lo_u16 v16, v17, v16
	s_or_b64 s[22:23], vcc, s[22:23]
	v_mov_b32_e32 v14, v18
	s_andn2_b64 exec, exec, s[22:23]
	s_cbranch_execnz .LBB76_39
; %bb.40:                               ;   in Loop: Header=BB76_4 Depth=1
	s_or_b64 exec, exec, s[22:23]
.LBB76_41:                              ;   in Loop: Header=BB76_4 Depth=1
	s_or_b64 exec, exec, s[20:21]
                                        ; implicit-def: $vgpr14
.LBB76_42:                              ;   in Loop: Header=BB76_4 Depth=1
	s_andn2_saveexec_b64 s[18:19], s[18:19]
	s_cbranch_execz .LBB76_48
; %bb.43:                               ;   in Loop: Header=BB76_4 Depth=1
	s_mov_b64 s[24:25], -1
	s_mov_b64 s[20:21], 0
	s_and_b64 vcc, exec, s[16:17]
	s_mov_b64 s[22:23], 0
	s_cbranch_vccz .LBB76_74
; %bb.44:                               ;   in Loop: Header=BB76_4 Depth=1
	s_andn2_b64 vcc, exec, s[24:25]
	s_cbranch_vccz .LBB76_75
.LBB76_45:                              ;   in Loop: Header=BB76_4 Depth=1
	s_andn2_b64 vcc, exec, s[22:23]
	s_mov_b32 s22, s26
	s_cbranch_vccz .LBB76_76
.LBB76_46:                              ;   in Loop: Header=BB76_4 Depth=1
	s_andn2_b64 vcc, exec, s[20:21]
	v_mov_b32_e32 v16, s22
	s_cbranch_vccnz .LBB76_48
.LBB76_47:                              ;   in Loop: Header=BB76_4 Depth=1
	v_and_b32_e32 v14, 1, v14
	v_cmp_eq_u16_e32 vcc, 0, v14
	v_cndmask_b32_e64 v16, -1, 1, vcc
.LBB76_48:                              ;   in Loop: Header=BB76_4 Depth=1
	s_or_b64 exec, exec, s[18:19]
	v_cmp_lt_i16_e32 vcc, -1, v12
                                        ; implicit-def: $vgpr14
	s_and_saveexec_b64 s[18:19], vcc
	s_xor_b64 s[18:19], exec, s[18:19]
	s_cbranch_execz .LBB76_54
; %bb.49:                               ;   in Loop: Header=BB76_4 Depth=1
	v_cmp_ne_u16_e32 vcc, 0, v12
	v_mov_b32_e32 v14, 1
	s_and_saveexec_b64 s[20:21], vcc
	s_cbranch_execz .LBB76_53
; %bb.50:                               ;   in Loop: Header=BB76_4 Depth=1
	s_mov_b64 s[22:23], 0
	v_mov_b32_e32 v14, s37
.LBB76_51:                              ;   Parent Loop BB76_4 Depth=1
                                        ; =>  This Inner Loop Header: Depth=2
	v_and_b32_e32 v18, 1, v12
	v_lshrrev_b32_e32 v17, 16, v14
	v_cmp_eq_u32_e32 vcc, 1, v18
	v_lshrrev_b16_e32 v18, 15, v12
	v_cndmask_b32_e32 v17, 1, v17, vcc
	v_add_u16_e32 v18, v12, v18
	v_add_u16_e32 v12, 1, v12
	v_ashrrev_i16_e32 v18, 1, v18
	v_bfi_b32 v17, s31, v17, v14
	v_cmp_gt_u16_e32 vcc, 3, v12
	v_pk_mul_lo_u16 v14, v17, v14
	s_or_b64 s[22:23], vcc, s[22:23]
	v_mov_b32_e32 v12, v18
	s_andn2_b64 exec, exec, s[22:23]
	s_cbranch_execnz .LBB76_51
; %bb.52:                               ;   in Loop: Header=BB76_4 Depth=1
	s_or_b64 exec, exec, s[22:23]
.LBB76_53:                              ;   in Loop: Header=BB76_4 Depth=1
	s_or_b64 exec, exec, s[20:21]
                                        ; implicit-def: $vgpr12
.LBB76_54:                              ;   in Loop: Header=BB76_4 Depth=1
	s_andn2_saveexec_b64 s[18:19], s[18:19]
	s_cbranch_execz .LBB76_60
; %bb.55:                               ;   in Loop: Header=BB76_4 Depth=1
	s_mov_b64 s[24:25], -1
	s_mov_b64 s[20:21], 0
	s_and_b64 vcc, exec, s[16:17]
	s_mov_b64 s[22:23], 0
	s_cbranch_vccz .LBB76_77
; %bb.56:                               ;   in Loop: Header=BB76_4 Depth=1
	s_andn2_b64 vcc, exec, s[24:25]
	s_cbranch_vccz .LBB76_78
.LBB76_57:                              ;   in Loop: Header=BB76_4 Depth=1
	s_andn2_b64 vcc, exec, s[22:23]
	s_mov_b32 s22, s26
	s_cbranch_vccz .LBB76_79
.LBB76_58:                              ;   in Loop: Header=BB76_4 Depth=1
	s_andn2_b64 vcc, exec, s[20:21]
	v_mov_b32_e32 v14, s22
	s_cbranch_vccnz .LBB76_60
.LBB76_59:                              ;   in Loop: Header=BB76_4 Depth=1
	v_and_b32_e32 v12, 1, v12
	v_cmp_eq_u16_e32 vcc, 0, v12
	v_cndmask_b32_e64 v14, -1, 1, vcc
.LBB76_60:                              ;   in Loop: Header=BB76_4 Depth=1
	s_or_b64 exec, exec, s[18:19]
	s_and_saveexec_b64 s[18:19], s[0:1]
	s_xor_b64 s[0:1], exec, s[18:19]
	s_cbranch_execnz .LBB76_64
; %bb.61:                               ;   in Loop: Header=BB76_4 Depth=1
	s_or_b64 exec, exec, s[0:1]
	s_and_saveexec_b64 s[0:1], s[2:3]
	s_cbranch_execnz .LBB76_65
.LBB76_62:                              ;   in Loop: Header=BB76_4 Depth=1
	s_or_b64 exec, exec, s[0:1]
	s_and_saveexec_b64 s[0:1], s[6:7]
	s_cbranch_execnz .LBB76_66
.LBB76_63:                              ;   in Loop: Header=BB76_4 Depth=1
	s_or_b64 exec, exec, s[0:1]
	s_and_saveexec_b64 s[0:1], s[8:9]
	s_cbranch_execz .LBB76_3
	s_branch .LBB76_67
.LBB76_64:                              ;   in Loop: Header=BB76_4 Depth=1
	v_mov_b32_e32 v12, s29
	v_add_co_u32_e32 v2, vcc, s28, v2
	v_addc_co_u32_e32 v3, vcc, v12, v3, vcc
	global_store_short v[2:3], v13, off
	s_or_b64 exec, exec, s[0:1]
	s_and_saveexec_b64 s[0:1], s[2:3]
	s_cbranch_execz .LBB76_62
.LBB76_65:                              ;   in Loop: Header=BB76_4 Depth=1
	v_mov_b32_e32 v3, s29
	v_add_co_u32_e32 v2, vcc, s28, v4
	v_addc_co_u32_e32 v3, vcc, v3, v5, vcc
	global_store_short v[2:3], v15, off
	s_or_b64 exec, exec, s[0:1]
	s_and_saveexec_b64 s[0:1], s[6:7]
	s_cbranch_execz .LBB76_63
.LBB76_66:                              ;   in Loop: Header=BB76_4 Depth=1
	v_mov_b32_e32 v3, s29
	v_add_co_u32_e32 v2, vcc, s28, v6
	v_addc_co_u32_e32 v3, vcc, v3, v7, vcc
	global_store_short v[2:3], v16, off
	s_or_b64 exec, exec, s[0:1]
	s_and_saveexec_b64 s[0:1], s[8:9]
	s_cbranch_execz .LBB76_3
.LBB76_67:                              ;   in Loop: Header=BB76_4 Depth=1
	v_mov_b32_e32 v3, s29
	v_add_co_u32_e32 v2, vcc, s28, v8
	v_addc_co_u32_e32 v3, vcc, v3, v9, vcc
	global_store_short v[2:3], v14, off
	s_branch .LBB76_3
.LBB76_68:                              ;   in Loop: Header=BB76_4 Depth=1
	v_cmp_ne_u16_e64 s[22:23], s26, 1
	s_cbranch_execnz .LBB76_21
.LBB76_69:                              ;   in Loop: Header=BB76_4 Depth=1
	v_cmp_ne_u16_e64 s[22:23], s26, -1
	s_mov_b64 s[20:21], -1
	s_andn2_b64 vcc, exec, s[22:23]
	s_mov_b32 s22, s26
	s_cbranch_vccnz .LBB76_22
.LBB76_70:                              ;   in Loop: Header=BB76_4 Depth=1
	s_mov_b32 s22, 0
	v_mov_b32_e32 v13, s22
	s_cbranch_execz .LBB76_23
	s_branch .LBB76_24
.LBB76_71:                              ;   in Loop: Header=BB76_4 Depth=1
	v_cmp_ne_u16_e64 s[22:23], s26, 1
	s_cbranch_execnz .LBB76_33
.LBB76_72:                              ;   in Loop: Header=BB76_4 Depth=1
	v_cmp_ne_u16_e64 s[22:23], s26, -1
	s_mov_b64 s[20:21], -1
	s_andn2_b64 vcc, exec, s[22:23]
	s_mov_b32 s22, s26
	s_cbranch_vccnz .LBB76_34
.LBB76_73:                              ;   in Loop: Header=BB76_4 Depth=1
	s_mov_b32 s22, 0
	v_mov_b32_e32 v15, s22
	s_cbranch_execz .LBB76_35
	s_branch .LBB76_36
.LBB76_74:                              ;   in Loop: Header=BB76_4 Depth=1
	v_cmp_ne_u16_e64 s[22:23], s26, 1
	s_cbranch_execnz .LBB76_45
.LBB76_75:                              ;   in Loop: Header=BB76_4 Depth=1
	v_cmp_ne_u16_e64 s[22:23], s26, -1
	s_mov_b64 s[20:21], -1
	s_andn2_b64 vcc, exec, s[22:23]
	s_mov_b32 s22, s26
	s_cbranch_vccnz .LBB76_46
.LBB76_76:                              ;   in Loop: Header=BB76_4 Depth=1
	s_mov_b32 s22, 0
	v_mov_b32_e32 v16, s22
	s_cbranch_execz .LBB76_47
	s_branch .LBB76_48
.LBB76_77:                              ;   in Loop: Header=BB76_4 Depth=1
	v_cmp_ne_u16_e64 s[22:23], s26, 1
	s_cbranch_execnz .LBB76_57
.LBB76_78:                              ;   in Loop: Header=BB76_4 Depth=1
	v_cmp_ne_u16_e64 s[22:23], s26, -1
	s_mov_b64 s[20:21], -1
	s_andn2_b64 vcc, exec, s[22:23]
	s_mov_b32 s22, s26
	s_cbranch_vccnz .LBB76_58
.LBB76_79:                              ;   in Loop: Header=BB76_4 Depth=1
	s_mov_b32 s22, 0
	v_mov_b32_e32 v14, s22
	s_cbranch_execz .LBB76_59
	s_branch .LBB76_60
.LBB76_80:
	s_mov_b64 s[0:1], 0
.LBB76_81:
	s_andn2_b64 vcc, exec, s[0:1]
	s_cbranch_vccnz .LBB76_145
; %bb.82:
	v_mov_b32_e32 v3, 0
	v_lshlrev_b32_e32 v2, 2, v0
	s_mov_b32 s18, 0
	v_cmp_gt_i64_e32 vcc, s[10:11], v[2:3]
	s_and_saveexec_b64 s[0:1], vcc
	s_cbranch_execz .LBB76_145
; %bb.83:
	s_load_dword s0, s[4:5], 0xc5c
	s_mov_b32 s2, -1
	v_mov_b32_e32 v1, v3
	s_mov_b32 s3, 0xffff
	s_mov_b64 s[4:5], 0
	s_waitcnt lgkmcnt(0)
	s_and_b32 s19, s0, 0xffff
	v_mov_b32_e32 v6, s30
	s_mov_b64 s[6:7], 0xffff
	v_cmp_lt_i16_e64 s[8:9], s26, 1
	s_branch .LBB76_85
.LBB76_84:                              ;   in Loop: Header=BB76_85 Depth=1
	s_or_b64 exec, exec, s[0:1]
	v_mov_b32_e32 v4, s29
	v_add_co_u32_e32 v2, vcc, s28, v2
	v_addc_co_u32_e32 v3, vcc, v4, v3, vcc
	v_lshlrev_b32_e32 v4, 16, v11
	v_or_b32_sdwa v5, v4, v9 dst_sel:DWORD dst_unused:UNUSED_PAD src0_sel:DWORD src1_sel:WORD_0
	v_lshlrev_b32_e32 v4, 16, v8
	v_and_b32_e32 v7, 0xffff, v7
	v_or_b32_e32 v4, v4, v7
	v_mov_b32_e32 v7, s18
	v_add_co_u32_e32 v0, vcc, s19, v0
	v_addc_co_u32_e32 v1, vcc, v1, v7, vcc
	v_lshlrev_b64 v[8:9], 2, v[0:1]
	v_cmp_le_i64_e32 vcc, s[10:11], v[8:9]
	v_cmp_lt_u64_e64 s[0:1], s[6:7], v[8:9]
	s_or_b64 s[0:1], vcc, s[0:1]
	s_and_b64 s[0:1], exec, s[0:1]
	s_or_b64 s[4:5], s[0:1], s[4:5]
	global_store_dwordx2 v[2:3], v[4:5], off
	s_andn2_b64 exec, exec, s[4:5]
	s_cbranch_execz .LBB76_145
.LBB76_85:                              ; =>This Loop Header: Depth=1
                                        ;     Child Loop BB76_88 Depth 2
                                        ;     Child Loop BB76_100 Depth 2
	;; [unrolled: 1-line block ×4, first 2 shown]
	v_lshlrev_b64 v[2:3], 3, v[0:1]
	v_add_co_u32_e32 v4, vcc, s27, v2
	v_addc_co_u32_e32 v5, vcc, v6, v3, vcc
	global_load_dwordx2 v[4:5], v[4:5], off
                                        ; implicit-def: $vgpr7
	s_waitcnt vmcnt(0)
	v_cmp_lt_i16_e32 vcc, -1, v4
	s_and_saveexec_b64 s[0:1], vcc
	s_xor_b64 s[0:1], exec, s[0:1]
	s_cbranch_execz .LBB76_91
; %bb.86:                               ;   in Loop: Header=BB76_85 Depth=1
	v_cmp_ne_u16_e32 vcc, 0, v4
	v_mov_b32_e32 v7, 1
	s_and_saveexec_b64 s[12:13], vcc
	s_cbranch_execz .LBB76_90
; %bb.87:                               ;   in Loop: Header=BB76_85 Depth=1
	s_mov_b64 s[14:15], 0
	v_mov_b32_e32 v7, 1
	v_mov_b32_e32 v8, v4
	s_mov_b32 s16, s26
.LBB76_88:                              ;   Parent Loop BB76_85 Depth=1
                                        ; =>  This Inner Loop Header: Depth=2
	v_and_b32_e32 v9, 1, v8
	v_mov_b32_e32 v10, s16
	v_cmp_eq_u32_e32 vcc, 1, v9
	v_cndmask_b32_e32 v9, 1, v10, vcc
	v_mul_lo_u16_e32 v7, v9, v7
	v_lshrrev_b16_e32 v9, 15, v8
	v_add_u16_e32 v9, v8, v9
	v_add_u16_e32 v8, 1, v8
	v_ashrrev_i16_e32 v9, 1, v9
	s_and_b32 s16, 0xffff, s16
	v_cmp_gt_u16_e32 vcc, 3, v8
	s_mul_i32 s16, s16, s16
	s_or_b64 s[14:15], vcc, s[14:15]
	v_mov_b32_e32 v8, v9
	s_andn2_b64 exec, exec, s[14:15]
	s_cbranch_execnz .LBB76_88
; %bb.89:                               ;   in Loop: Header=BB76_85 Depth=1
	s_or_b64 exec, exec, s[14:15]
.LBB76_90:                              ;   in Loop: Header=BB76_85 Depth=1
	s_or_b64 exec, exec, s[12:13]
.LBB76_91:                              ;   in Loop: Header=BB76_85 Depth=1
	s_andn2_saveexec_b64 s[0:1], s[0:1]
	s_cbranch_execz .LBB76_97
; %bb.92:                               ;   in Loop: Header=BB76_85 Depth=1
	s_mov_b64 s[16:17], -1
	s_mov_b64 s[12:13], 0
	s_and_b64 vcc, exec, s[8:9]
	s_mov_b64 s[14:15], 0
	s_cbranch_vccz .LBB76_132
; %bb.93:                               ;   in Loop: Header=BB76_85 Depth=1
	s_andn2_b64 vcc, exec, s[16:17]
	s_cbranch_vccz .LBB76_133
.LBB76_94:                              ;   in Loop: Header=BB76_85 Depth=1
	s_andn2_b64 vcc, exec, s[14:15]
	s_mov_b32 s14, s26
	s_cbranch_vccz .LBB76_134
.LBB76_95:                              ;   in Loop: Header=BB76_85 Depth=1
	s_andn2_b64 vcc, exec, s[12:13]
	v_mov_b32_e32 v7, s14
	s_cbranch_vccnz .LBB76_97
.LBB76_96:                              ;   in Loop: Header=BB76_85 Depth=1
	v_and_b32_e32 v7, 1, v4
	v_cmp_eq_u16_e32 vcc, 0, v7
	v_cndmask_b32_e64 v7, -1, 1, vcc
.LBB76_97:                              ;   in Loop: Header=BB76_85 Depth=1
	s_or_b64 exec, exec, s[0:1]
	v_lshrrev_b32_e32 v9, 16, v4
	v_cmp_lt_i16_e32 vcc, -1, v9
                                        ; implicit-def: $vgpr8
	s_and_saveexec_b64 s[0:1], vcc
	s_xor_b64 s[0:1], exec, s[0:1]
	s_cbranch_execz .LBB76_103
; %bb.98:                               ;   in Loop: Header=BB76_85 Depth=1
	v_cmp_ne_u16_e32 vcc, 0, v9
	v_mov_b32_e32 v8, 1
	s_and_saveexec_b64 s[12:13], vcc
	s_cbranch_execz .LBB76_102
; %bb.99:                               ;   in Loop: Header=BB76_85 Depth=1
	s_mov_b64 s[14:15], 0
	v_mov_b32_e32 v8, 1
	s_mov_b32 s16, s26
.LBB76_100:                             ;   Parent Loop BB76_85 Depth=1
                                        ; =>  This Inner Loop Header: Depth=2
	v_and_b32_e32 v10, 1, v9
	v_mov_b32_e32 v11, s16
	v_cmp_eq_u32_e32 vcc, 1, v10
	v_cndmask_b32_e32 v10, 1, v11, vcc
	v_mul_lo_u16_e32 v8, v10, v8
	v_lshrrev_b16_e32 v10, 15, v9
	v_add_u16_e32 v10, v9, v10
	v_add_u16_e32 v9, 1, v9
	v_ashrrev_i16_e32 v10, 1, v10
	s_and_b32 s16, 0xffff, s16
	v_cmp_gt_u16_e32 vcc, 3, v9
	s_mul_i32 s16, s16, s16
	s_or_b64 s[14:15], vcc, s[14:15]
	v_mov_b32_e32 v9, v10
	s_andn2_b64 exec, exec, s[14:15]
	s_cbranch_execnz .LBB76_100
; %bb.101:                              ;   in Loop: Header=BB76_85 Depth=1
	s_or_b64 exec, exec, s[14:15]
.LBB76_102:                             ;   in Loop: Header=BB76_85 Depth=1
	s_or_b64 exec, exec, s[12:13]
                                        ; implicit-def: $vgpr9
.LBB76_103:                             ;   in Loop: Header=BB76_85 Depth=1
	s_andn2_saveexec_b64 s[0:1], s[0:1]
	s_cbranch_execz .LBB76_109
; %bb.104:                              ;   in Loop: Header=BB76_85 Depth=1
	s_mov_b64 s[16:17], -1
	s_mov_b64 s[12:13], 0
	s_and_b64 vcc, exec, s[8:9]
	s_mov_b64 s[14:15], 0
	s_cbranch_vccz .LBB76_135
; %bb.105:                              ;   in Loop: Header=BB76_85 Depth=1
	s_andn2_b64 vcc, exec, s[16:17]
	s_cbranch_vccz .LBB76_136
.LBB76_106:                             ;   in Loop: Header=BB76_85 Depth=1
	s_andn2_b64 vcc, exec, s[14:15]
	s_mov_b32 s14, s26
	s_cbranch_vccz .LBB76_137
.LBB76_107:                             ;   in Loop: Header=BB76_85 Depth=1
	s_andn2_b64 vcc, exec, s[12:13]
	v_mov_b32_e32 v8, s14
	s_cbranch_vccnz .LBB76_109
.LBB76_108:                             ;   in Loop: Header=BB76_85 Depth=1
	v_and_b32_e32 v8, 1, v9
	v_cmp_eq_u16_e32 vcc, 0, v8
	v_cndmask_b32_e64 v8, -1, 1, vcc
.LBB76_109:                             ;   in Loop: Header=BB76_85 Depth=1
	s_or_b64 exec, exec, s[0:1]
	v_cmp_lt_i16_e32 vcc, -1, v5
                                        ; implicit-def: $vgpr9
	s_and_saveexec_b64 s[0:1], vcc
	s_xor_b64 s[0:1], exec, s[0:1]
	s_cbranch_execz .LBB76_115
; %bb.110:                              ;   in Loop: Header=BB76_85 Depth=1
	v_cmp_ne_u16_e32 vcc, 0, v5
	v_mov_b32_e32 v9, 1
	s_and_saveexec_b64 s[12:13], vcc
	s_cbranch_execz .LBB76_114
; %bb.111:                              ;   in Loop: Header=BB76_85 Depth=1
	s_mov_b64 s[14:15], 0
	v_mov_b32_e32 v9, 1
	v_mov_b32_e32 v10, v5
	s_mov_b32 s16, s26
.LBB76_112:                             ;   Parent Loop BB76_85 Depth=1
                                        ; =>  This Inner Loop Header: Depth=2
	v_and_b32_e32 v11, 1, v10
	v_mov_b32_e32 v12, s16
	v_cmp_eq_u32_e32 vcc, 1, v11
	v_cndmask_b32_e32 v11, 1, v12, vcc
	v_mul_lo_u16_e32 v9, v11, v9
	v_lshrrev_b16_e32 v11, 15, v10
	v_add_u16_e32 v11, v10, v11
	v_add_u16_e32 v10, 1, v10
	v_ashrrev_i16_e32 v11, 1, v11
	s_and_b32 s16, 0xffff, s16
	v_cmp_gt_u16_e32 vcc, 3, v10
	s_mul_i32 s16, s16, s16
	s_or_b64 s[14:15], vcc, s[14:15]
	v_mov_b32_e32 v10, v11
	s_andn2_b64 exec, exec, s[14:15]
	s_cbranch_execnz .LBB76_112
; %bb.113:                              ;   in Loop: Header=BB76_85 Depth=1
	s_or_b64 exec, exec, s[14:15]
.LBB76_114:                             ;   in Loop: Header=BB76_85 Depth=1
	s_or_b64 exec, exec, s[12:13]
.LBB76_115:                             ;   in Loop: Header=BB76_85 Depth=1
	s_andn2_saveexec_b64 s[0:1], s[0:1]
	s_cbranch_execz .LBB76_121
; %bb.116:                              ;   in Loop: Header=BB76_85 Depth=1
	s_mov_b64 s[16:17], -1
	s_mov_b64 s[12:13], 0
	s_and_b64 vcc, exec, s[8:9]
	s_mov_b64 s[14:15], 0
	s_cbranch_vccz .LBB76_138
; %bb.117:                              ;   in Loop: Header=BB76_85 Depth=1
	s_andn2_b64 vcc, exec, s[16:17]
	s_cbranch_vccz .LBB76_139
.LBB76_118:                             ;   in Loop: Header=BB76_85 Depth=1
	s_andn2_b64 vcc, exec, s[14:15]
	s_mov_b32 s14, s26
	s_cbranch_vccz .LBB76_140
.LBB76_119:                             ;   in Loop: Header=BB76_85 Depth=1
	s_andn2_b64 vcc, exec, s[12:13]
	v_mov_b32_e32 v9, s14
	s_cbranch_vccnz .LBB76_121
.LBB76_120:                             ;   in Loop: Header=BB76_85 Depth=1
	v_and_b32_e32 v9, 1, v5
	v_cmp_eq_u16_e32 vcc, 0, v9
	v_cndmask_b32_e64 v9, -1, 1, vcc
.LBB76_121:                             ;   in Loop: Header=BB76_85 Depth=1
	s_or_b64 exec, exec, s[0:1]
	v_lshrrev_b32_e32 v10, 16, v5
	v_cmp_lt_i64_e32 vcc, -1, v[4:5]
                                        ; implicit-def: $vgpr11
	s_and_saveexec_b64 s[0:1], vcc
	s_xor_b64 s[0:1], exec, s[0:1]
	s_cbranch_execz .LBB76_127
; %bb.122:                              ;   in Loop: Header=BB76_85 Depth=1
	v_cmp_lt_u64_e32 vcc, s[2:3], v[4:5]
	v_mov_b32_e32 v11, 1
	s_and_saveexec_b64 s[12:13], vcc
	s_cbranch_execz .LBB76_126
; %bb.123:                              ;   in Loop: Header=BB76_85 Depth=1
	s_mov_b64 s[14:15], 0
	v_mov_b32_e32 v11, 1
	s_mov_b32 s16, s26
.LBB76_124:                             ;   Parent Loop BB76_85 Depth=1
                                        ; =>  This Inner Loop Header: Depth=2
	v_and_b32_e32 v4, 1, v10
	v_mov_b32_e32 v5, s16
	v_cmp_eq_u32_e32 vcc, 1, v4
	v_cndmask_b32_e32 v4, 1, v5, vcc
	v_mul_lo_u16_e32 v11, v4, v11
	v_lshrrev_b16_e32 v4, 15, v10
	v_add_u16_e32 v4, v10, v4
	v_add_u16_e32 v5, 1, v10
	v_ashrrev_i16_e32 v4, 1, v4
	s_and_b32 s16, 0xffff, s16
	v_cmp_gt_u16_e32 vcc, 3, v5
	s_mul_i32 s16, s16, s16
	s_or_b64 s[14:15], vcc, s[14:15]
	v_mov_b32_e32 v10, v4
	s_andn2_b64 exec, exec, s[14:15]
	s_cbranch_execnz .LBB76_124
; %bb.125:                              ;   in Loop: Header=BB76_85 Depth=1
	s_or_b64 exec, exec, s[14:15]
.LBB76_126:                             ;   in Loop: Header=BB76_85 Depth=1
	s_or_b64 exec, exec, s[12:13]
                                        ; implicit-def: $vgpr10
.LBB76_127:                             ;   in Loop: Header=BB76_85 Depth=1
	s_andn2_saveexec_b64 s[0:1], s[0:1]
	s_cbranch_execz .LBB76_84
; %bb.128:                              ;   in Loop: Header=BB76_85 Depth=1
	s_mov_b64 s[16:17], -1
	s_mov_b64 s[12:13], 0
	s_and_b64 vcc, exec, s[8:9]
	s_mov_b64 s[14:15], 0
	s_cbranch_vccz .LBB76_141
; %bb.129:                              ;   in Loop: Header=BB76_85 Depth=1
	s_andn2_b64 vcc, exec, s[16:17]
	s_cbranch_vccz .LBB76_142
.LBB76_130:                             ;   in Loop: Header=BB76_85 Depth=1
	s_andn2_b64 vcc, exec, s[14:15]
	s_mov_b32 s14, s26
	s_cbranch_vccz .LBB76_143
.LBB76_131:                             ;   in Loop: Header=BB76_85 Depth=1
	s_andn2_b64 vcc, exec, s[12:13]
	v_mov_b32_e32 v11, s14
	s_cbranch_vccnz .LBB76_84
	s_branch .LBB76_144
.LBB76_132:                             ;   in Loop: Header=BB76_85 Depth=1
	v_cmp_ne_u16_e64 s[14:15], s26, 1
	s_cbranch_execnz .LBB76_94
.LBB76_133:                             ;   in Loop: Header=BB76_85 Depth=1
	v_cmp_ne_u16_e64 s[14:15], s26, -1
	s_mov_b64 s[12:13], -1
	s_andn2_b64 vcc, exec, s[14:15]
	s_mov_b32 s14, s26
	s_cbranch_vccnz .LBB76_95
.LBB76_134:                             ;   in Loop: Header=BB76_85 Depth=1
	s_mov_b32 s14, 0
	v_mov_b32_e32 v7, s14
	s_cbranch_execz .LBB76_96
	s_branch .LBB76_97
.LBB76_135:                             ;   in Loop: Header=BB76_85 Depth=1
	v_cmp_ne_u16_e64 s[14:15], s26, 1
	s_cbranch_execnz .LBB76_106
.LBB76_136:                             ;   in Loop: Header=BB76_85 Depth=1
	v_cmp_ne_u16_e64 s[14:15], s26, -1
	s_mov_b64 s[12:13], -1
	s_andn2_b64 vcc, exec, s[14:15]
	s_mov_b32 s14, s26
	s_cbranch_vccnz .LBB76_107
.LBB76_137:                             ;   in Loop: Header=BB76_85 Depth=1
	s_mov_b32 s14, 0
	v_mov_b32_e32 v8, s14
	s_cbranch_execz .LBB76_108
	s_branch .LBB76_109
.LBB76_138:                             ;   in Loop: Header=BB76_85 Depth=1
	v_cmp_ne_u16_e64 s[14:15], s26, 1
	s_cbranch_execnz .LBB76_118
.LBB76_139:                             ;   in Loop: Header=BB76_85 Depth=1
	v_cmp_ne_u16_e64 s[14:15], s26, -1
	s_mov_b64 s[12:13], -1
	s_andn2_b64 vcc, exec, s[14:15]
	s_mov_b32 s14, s26
	s_cbranch_vccnz .LBB76_119
.LBB76_140:                             ;   in Loop: Header=BB76_85 Depth=1
	s_mov_b32 s14, 0
	v_mov_b32_e32 v9, s14
	s_cbranch_execz .LBB76_120
	s_branch .LBB76_121
.LBB76_141:                             ;   in Loop: Header=BB76_85 Depth=1
	v_cmp_ne_u16_e64 s[14:15], s26, 1
	s_cbranch_execnz .LBB76_130
.LBB76_142:                             ;   in Loop: Header=BB76_85 Depth=1
	v_cmp_ne_u16_e64 s[14:15], s26, -1
	s_mov_b64 s[12:13], -1
	s_andn2_b64 vcc, exec, s[14:15]
	s_mov_b32 s14, s26
	s_cbranch_vccnz .LBB76_131
.LBB76_143:                             ;   in Loop: Header=BB76_85 Depth=1
	s_mov_b32 s14, 0
	v_mov_b32_e32 v11, s14
	s_cbranch_execnz .LBB76_84
.LBB76_144:                             ;   in Loop: Header=BB76_85 Depth=1
	v_and_b32_e32 v4, 1, v10
	v_cmp_eq_u16_e32 vcc, 0, v4
	v_cndmask_b32_e64 v11, -1, 1, vcc
	s_branch .LBB76_84
.LBB76_145:
	s_endpgm
	.section	.rodata,"a",@progbits
	.p2align	6, 0x0
	.amdhsa_kernel _ZN2at6native12_GLOBAL__N_125multi_tensor_apply_kernelINS1_18TensorListMetadataILi2EEENS1_21BinaryOpScalarFunctorIsLi2ELi1ELi1EEEJNS1_21reverse_power_functorIsEEsEEEvT_T0_DpT1_
		.amdhsa_group_segment_fixed_size 0
		.amdhsa_private_segment_fixed_size 0
		.amdhsa_kernarg_size 3408
		.amdhsa_user_sgpr_count 6
		.amdhsa_user_sgpr_private_segment_buffer 1
		.amdhsa_user_sgpr_dispatch_ptr 0
		.amdhsa_user_sgpr_queue_ptr 0
		.amdhsa_user_sgpr_kernarg_segment_ptr 1
		.amdhsa_user_sgpr_dispatch_id 0
		.amdhsa_user_sgpr_flat_scratch_init 0
		.amdhsa_user_sgpr_kernarg_preload_length 0
		.amdhsa_user_sgpr_kernarg_preload_offset 0
		.amdhsa_user_sgpr_private_segment_size 0
		.amdhsa_uses_dynamic_stack 0
		.amdhsa_system_sgpr_private_segment_wavefront_offset 0
		.amdhsa_system_sgpr_workgroup_id_x 1
		.amdhsa_system_sgpr_workgroup_id_y 0
		.amdhsa_system_sgpr_workgroup_id_z 0
		.amdhsa_system_sgpr_workgroup_info 0
		.amdhsa_system_vgpr_workitem_id 0
		.amdhsa_next_free_vgpr 20
		.amdhsa_next_free_sgpr 38
		.amdhsa_accum_offset 20
		.amdhsa_reserve_vcc 1
		.amdhsa_reserve_flat_scratch 0
		.amdhsa_float_round_mode_32 0
		.amdhsa_float_round_mode_16_64 0
		.amdhsa_float_denorm_mode_32 3
		.amdhsa_float_denorm_mode_16_64 3
		.amdhsa_dx10_clamp 1
		.amdhsa_ieee_mode 1
		.amdhsa_fp16_overflow 0
		.amdhsa_tg_split 0
		.amdhsa_exception_fp_ieee_invalid_op 0
		.amdhsa_exception_fp_denorm_src 0
		.amdhsa_exception_fp_ieee_div_zero 0
		.amdhsa_exception_fp_ieee_overflow 0
		.amdhsa_exception_fp_ieee_underflow 0
		.amdhsa_exception_fp_ieee_inexact 0
		.amdhsa_exception_int_div_zero 0
	.end_amdhsa_kernel
	.section	.text._ZN2at6native12_GLOBAL__N_125multi_tensor_apply_kernelINS1_18TensorListMetadataILi2EEENS1_21BinaryOpScalarFunctorIsLi2ELi1ELi1EEEJNS1_21reverse_power_functorIsEEsEEEvT_T0_DpT1_,"axG",@progbits,_ZN2at6native12_GLOBAL__N_125multi_tensor_apply_kernelINS1_18TensorListMetadataILi2EEENS1_21BinaryOpScalarFunctorIsLi2ELi1ELi1EEEJNS1_21reverse_power_functorIsEEsEEEvT_T0_DpT1_,comdat
.Lfunc_end76:
	.size	_ZN2at6native12_GLOBAL__N_125multi_tensor_apply_kernelINS1_18TensorListMetadataILi2EEENS1_21BinaryOpScalarFunctorIsLi2ELi1ELi1EEEJNS1_21reverse_power_functorIsEEsEEEvT_T0_DpT1_, .Lfunc_end76-_ZN2at6native12_GLOBAL__N_125multi_tensor_apply_kernelINS1_18TensorListMetadataILi2EEENS1_21BinaryOpScalarFunctorIsLi2ELi1ELi1EEEJNS1_21reverse_power_functorIsEEsEEEvT_T0_DpT1_
                                        ; -- End function
	.section	.AMDGPU.csdata,"",@progbits
; Kernel info:
; codeLenInByte = 3036
; NumSgprs: 42
; NumVgprs: 20
; NumAgprs: 0
; TotalNumVgprs: 20
; ScratchSize: 0
; MemoryBound: 0
; FloatMode: 240
; IeeeMode: 1
; LDSByteSize: 0 bytes/workgroup (compile time only)
; SGPRBlocks: 5
; VGPRBlocks: 2
; NumSGPRsForWavesPerEU: 42
; NumVGPRsForWavesPerEU: 20
; AccumOffset: 20
; Occupancy: 8
; WaveLimiterHint : 0
; COMPUTE_PGM_RSRC2:SCRATCH_EN: 0
; COMPUTE_PGM_RSRC2:USER_SGPR: 6
; COMPUTE_PGM_RSRC2:TRAP_HANDLER: 0
; COMPUTE_PGM_RSRC2:TGID_X_EN: 1
; COMPUTE_PGM_RSRC2:TGID_Y_EN: 0
; COMPUTE_PGM_RSRC2:TGID_Z_EN: 0
; COMPUTE_PGM_RSRC2:TIDIG_COMP_CNT: 0
; COMPUTE_PGM_RSRC3_GFX90A:ACCUM_OFFSET: 4
; COMPUTE_PGM_RSRC3_GFX90A:TG_SPLIT: 0
	.section	.text._ZN2at6native12_GLOBAL__N_125multi_tensor_apply_kernelINS1_18TensorListMetadataILi2EEENS1_21BinaryOpScalarFunctorIdLi2ELi1ELi1EEEJNS1_21reverse_power_functorIdEEdEEEvT_T0_DpT1_,"axG",@progbits,_ZN2at6native12_GLOBAL__N_125multi_tensor_apply_kernelINS1_18TensorListMetadataILi2EEENS1_21BinaryOpScalarFunctorIdLi2ELi1ELi1EEEJNS1_21reverse_power_functorIdEEdEEEvT_T0_DpT1_,comdat
	.globl	_ZN2at6native12_GLOBAL__N_125multi_tensor_apply_kernelINS1_18TensorListMetadataILi2EEENS1_21BinaryOpScalarFunctorIdLi2ELi1ELi1EEEJNS1_21reverse_power_functorIdEEdEEEvT_T0_DpT1_ ; -- Begin function _ZN2at6native12_GLOBAL__N_125multi_tensor_apply_kernelINS1_18TensorListMetadataILi2EEENS1_21BinaryOpScalarFunctorIdLi2ELi1ELi1EEEJNS1_21reverse_power_functorIdEEdEEEvT_T0_DpT1_
	.p2align	8
	.type	_ZN2at6native12_GLOBAL__N_125multi_tensor_apply_kernelINS1_18TensorListMetadataILi2EEENS1_21BinaryOpScalarFunctorIdLi2ELi1ELi1EEEJNS1_21reverse_power_functorIdEEdEEEvT_T0_DpT1_,@function
_ZN2at6native12_GLOBAL__N_125multi_tensor_apply_kernelINS1_18TensorListMetadataILi2EEENS1_21BinaryOpScalarFunctorIdLi2ELi1ELi1EEEJNS1_21reverse_power_functorIdEEdEEEvT_T0_DpT1_: ; @_ZN2at6native12_GLOBAL__N_125multi_tensor_apply_kernelINS1_18TensorListMetadataILi2EEENS1_21BinaryOpScalarFunctorIdLi2ELi1ELi1EEEJNS1_21reverse_power_functorIdEEdEEEvT_T0_DpT1_
; %bb.0:
	v_mov_b32_e32 v1, s6
	global_load_ubyte v1, v1, s[4:5] offset:1536
	s_add_u32 s0, s4, s6
	s_mul_hi_u32 s1, s6, 3
	s_mul_i32 s6, s6, 3
	s_addc_u32 s2, s5, 0
	s_add_u32 s0, s0, s6
	s_addc_u32 s1, s2, s1
	s_load_dword s0, s[0:1], 0x740
	s_mov_b32 s9, 0
	s_mov_b32 s13, s9
	;; [unrolled: 1-line block ×3, first 2 shown]
	s_waitcnt lgkmcnt(0)
	s_ashr_i32 s1, s0, 31
	s_lshl_b64 s[26:27], s[0:1], 19
	s_waitcnt vmcnt(0)
	v_readfirstlane_b32 s2, v1
	s_lshl_b32 s8, s2, 3
	s_load_dwordx2 s[6:7], s[4:5], s8 offset:0x0
	s_load_dwordx2 s[24:25], s[4:5], 0xc50
	s_load_dwordx2 s[14:15], s[4:5], s8 offset:0x400
	s_load_dwordx2 s[2:3], s[4:5], s8 offset:0x200
	s_waitcnt lgkmcnt(0)
	s_add_u32 s33, s6, s26
	s_addc_u32 s86, s7, s27
	s_and_b32 s8, s33, 31
	s_add_u32 s87, s2, s26
	s_addc_u32 s88, s3, s27
	s_and_b32 s12, s14, 3
	s_and_b32 s10, s87, 31
	s_or_b64 s[8:9], s[8:9], s[12:13]
	s_or_b64 s[8:9], s[10:11], s[8:9]
	s_lshl_b64 s[0:1], s[0:1], 16
	s_sub_u32 s22, s14, s0
	s_subb_u32 s23, s15, s1
	s_cmp_eq_u64 s[8:9], 0
	s_mov_b64 s[0:1], -1
	s_cbranch_scc1 .LBB77_21
; %bb.1:
	v_cmp_lt_i64_e64 s[0:1], s[22:23], 1
	s_and_b64 vcc, exec, s[0:1]
	s_cbranch_vccnz .LBB77_20
; %bb.2:
	s_load_dword s0, s[4:5], 0xc64
	v_mov_b32_e32 v2, 0
	v_mov_b32_e32 v4, 0x10000
	;; [unrolled: 1-line block ×3, first 2 shown]
	v_lshlrev_b32_e32 v50, 3, v0
	s_waitcnt lgkmcnt(0)
	s_and_b32 s10, s0, 0xffff
	v_mov_b32_e32 v51, v2
	v_cmp_lt_u64_e32 vcc, s[22:23], v[4:5]
	v_mad_u64_u32 v[6:7], s[8:9], s10, 24, v[50:51]
	s_and_b64 s[0:1], vcc, exec
	v_mov_b32_e32 v3, s7
	v_add_co_u32_e32 v4, vcc, s6, v6
	v_addc_co_u32_e32 v1, vcc, v3, v7, vcc
	v_mov_b32_e32 v54, s3
	v_add_co_u32_e32 v6, vcc, s2, v6
	s_mul_i32 s12, s10, 3
	v_addc_co_u32_e32 v5, vcc, v54, v7, vcc
	s_cselect_b32 s29, s23, 0
	s_cselect_b32 s28, s22, 0x10000
	v_add_co_u32_e32 v53, vcc, s12, v0
	s_lshl_b32 s3, s10, 4
	v_addc_co_u32_e64 v66, s[8:9], 0, 0, vcc
	v_add_co_u32_e32 v9, vcc, s3, v50
	v_addc_co_u32_e64 v45, s[8:9], 0, 0, vcc
	v_add_co_u32_e32 v8, vcc, s6, v9
	v_addc_co_u32_e32 v7, vcc, v3, v45, vcc
	v_add_co_u32_e32 v44, vcc, s2, v9
	s_lshl_b32 s11, s10, 1
	v_addc_co_u32_e32 v9, vcc, v54, v45, vcc
	v_add_co_u32_e32 v67, vcc, s11, v0
	v_addc_co_u32_e64 v68, s[8:9], 0, 0, vcc
	v_add_co_u32_e32 v69, vcc, s10, v0
	v_addc_co_u32_e64 v70, s[8:9], 0, 0, vcc
	v_add_co_u32_e32 v46, vcc, s6, v50
	v_lshlrev_b32_e32 v51, 3, v69
	v_addc_co_u32_e32 v45, vcc, 0, v3, vcc
	v_add_co_u32_e32 v48, vcc, s6, v51
	v_addc_co_u32_e32 v47, vcc, 0, v3, vcc
	v_add_co_u32_e32 v50, vcc, s2, v50
	v_addc_co_u32_e32 v49, vcc, 0, v54, vcc
	s_mov_b32 s34, 0
	s_mov_b32 s36, 0x55555555
	;; [unrolled: 1-line block ×10, first 2 shown]
	v_add_co_u32_e32 v52, vcc, s2, v51
	s_mov_b32 s62, 0
	v_cmp_eq_f64_e64 s[0:1], s[24:25], 1.0
	s_brev_b32 s63, -2
	s_and_b32 s64, s25, 0x7fffffff
	s_mov_b32 s65, s24
	s_lshl_b32 s66, s10, 2
	s_lshl_b32 s67, s10, 5
	s_mov_b64 s[30:31], 0
	s_mov_b32 s35, 0x7ff00000
	s_mov_b32 s37, 0x3fe55555
	;; [unrolled: 1-line block ×7, first 2 shown]
	s_movk_i32 s68, 0x204
	s_mov_b32 s49, 0xc090cc00
	s_mov_b32 s51, 0x40900000
	;; [unrolled: 1-line block ×6, first 2 shown]
	v_mov_b32_e32 v10, 0x968915a9
	v_mov_b32_e32 v11, 0x3fba6564
	;; [unrolled: 1-line block ×34, first 2 shown]
	v_addc_co_u32_e32 v51, vcc, 0, v54, vcc
	v_mov_b32_e32 v71, 0x3ff00000
	v_mov_b32_e32 v72, 0x7ff00000
	;; [unrolled: 1-line block ×3, first 2 shown]
	s_branch .LBB77_4
.LBB77_3:                               ;   in Loop: Header=BB77_4 Depth=1
	s_or_b64 exec, exec, s[10:11]
	s_add_u32 s30, s30, s66
	s_addc_u32 s31, s31, 0
	s_waitcnt vmcnt(0)
	v_pk_mov_b32 v[54:55], s[22:23], s[22:23] op_sel:[0,1]
	v_cmp_lt_i64_e32 vcc, s[30:31], v[54:55]
	v_mov_b32_e32 v54, 0x10000
	v_mov_b32_e32 v55, 0
	v_cmp_lt_u64_e64 s[2:3], s[30:31], v[54:55]
	s_and_b64 s[2:3], vcc, s[2:3]
	v_mov_b32_e32 v3, s62
	v_add_co_u32_e32 v46, vcc, s67, v46
	v_addc_co_u32_e32 v45, vcc, v45, v3, vcc
	v_add_co_u32_e32 v50, vcc, s67, v50
	v_addc_co_u32_e32 v49, vcc, v49, v3, vcc
	;; [unrolled: 2-line block ×8, first 2 shown]
	s_and_b64 vcc, exec, s[2:3]
	s_cbranch_vccz .LBB77_20
.LBB77_4:                               ; =>This Inner Loop Header: Depth=1
	v_mov_b32_e32 v3, s31
	v_add_co_u32_e32 v54, vcc, s30, v0
	v_addc_co_u32_e32 v55, vcc, 0, v3, vcc
	v_pk_mov_b32 v[58:59], 0, 0
	v_cmp_gt_u64_e64 s[8:9], s[28:29], v[54:55]
	v_pk_mov_b32 v[60:61], v[58:59], v[58:59] op_sel:[0,1]
	s_and_saveexec_b64 s[2:3], s[8:9]
	s_cbranch_execz .LBB77_6
; %bb.5:                                ;   in Loop: Header=BB77_4 Depth=1
	v_mov_b32_e32 v3, s27
	v_add_co_u32_e32 v54, vcc, s26, v46
	v_addc_co_u32_e32 v55, vcc, v45, v3, vcc
	global_load_dwordx2 v[60:61], v[54:55], off
.LBB77_6:                               ;   in Loop: Header=BB77_4 Depth=1
	s_or_b64 exec, exec, s[2:3]
	v_mov_b32_e32 v3, s31
	v_add_co_u32_e32 v54, vcc, s30, v69
	v_addc_co_u32_e32 v55, vcc, v70, v3, vcc
	v_cmp_gt_u64_e64 s[6:7], s[28:29], v[54:55]
	s_and_saveexec_b64 s[2:3], s[6:7]
	s_cbranch_execz .LBB77_8
; %bb.7:                                ;   in Loop: Header=BB77_4 Depth=1
	v_mov_b32_e32 v3, s27
	v_add_co_u32_e32 v54, vcc, s26, v48
	v_addc_co_u32_e32 v55, vcc, v47, v3, vcc
	global_load_dwordx2 v[58:59], v[54:55], off
.LBB77_8:                               ;   in Loop: Header=BB77_4 Depth=1
	s_or_b64 exec, exec, s[2:3]
	v_mov_b32_e32 v3, s31
	v_add_co_u32_e32 v54, vcc, s30, v67
	v_addc_co_u32_e32 v55, vcc, v68, v3, vcc
	v_cmp_gt_u64_e64 s[2:3], s[28:29], v[54:55]
	v_pk_mov_b32 v[54:55], 0, 0
	v_pk_mov_b32 v[56:57], v[54:55], v[54:55] op_sel:[0,1]
	s_and_saveexec_b64 s[10:11], s[2:3]
	s_cbranch_execz .LBB77_10
; %bb.9:                                ;   in Loop: Header=BB77_4 Depth=1
	v_mov_b32_e32 v3, s27
	v_add_co_u32_e32 v56, vcc, s26, v8
	v_addc_co_u32_e32 v57, vcc, v7, v3, vcc
	global_load_dwordx2 v[56:57], v[56:57], off
.LBB77_10:                              ;   in Loop: Header=BB77_4 Depth=1
	s_or_b64 exec, exec, s[10:11]
	v_mov_b32_e32 v3, s31
	v_add_co_u32_e32 v62, vcc, s30, v53
	v_addc_co_u32_e32 v63, vcc, v66, v3, vcc
	v_cmp_gt_u64_e32 vcc, s[28:29], v[62:63]
	s_and_saveexec_b64 s[12:13], vcc
	s_cbranch_execnz .LBB77_15
; %bb.11:                               ;   in Loop: Header=BB77_4 Depth=1
	s_or_b64 exec, exec, s[12:13]
	s_and_saveexec_b64 s[60:61], s[8:9]
	s_cbranch_execnz .LBB77_16
.LBB77_12:                              ;   in Loop: Header=BB77_4 Depth=1
	s_or_b64 exec, exec, s[60:61]
	s_and_saveexec_b64 s[14:15], s[6:7]
	s_cbranch_execnz .LBB77_17
.LBB77_13:                              ;   in Loop: Header=BB77_4 Depth=1
	s_or_b64 exec, exec, s[14:15]
	s_and_saveexec_b64 s[12:13], s[2:3]
	s_cbranch_execnz .LBB77_18
.LBB77_14:                              ;   in Loop: Header=BB77_4 Depth=1
	s_or_b64 exec, exec, s[12:13]
	s_and_saveexec_b64 s[10:11], vcc
	s_cbranch_execz .LBB77_3
	s_branch .LBB77_19
.LBB77_15:                              ;   in Loop: Header=BB77_4 Depth=1
	v_mov_b32_e32 v3, s27
	v_add_co_u32_e64 v54, s[10:11], s26, v4
	v_addc_co_u32_e64 v55, s[10:11], v1, v3, s[10:11]
	global_load_dwordx2 v[54:55], v[54:55], off
	s_or_b64 exec, exec, s[12:13]
	s_and_saveexec_b64 s[60:61], s[8:9]
	s_cbranch_execz .LBB77_12
.LBB77_16:                              ;   in Loop: Header=BB77_4 Depth=1
	s_waitcnt vmcnt(0)
	v_cndmask_b32_e64 v63, v61, v71, s[0:1]
	v_cndmask_b32_e64 v62, v60, 0, s[0:1]
	v_mov_b32_e32 v3, s64
	v_cmp_eq_f64_e64 s[10:11], 0, v[62:63]
	v_cndmask_b32_e64 v65, v3, v71, s[10:11]
	v_mov_b32_e32 v3, s65
	v_mul_f64 v[74:75], v[62:63], 0.5
	v_cndmask_b32_e64 v64, v3, 0, s[10:11]
	v_trunc_f64_e32 v[76:77], v[74:75]
	v_cmp_neq_f64_e64 s[8:9], v[76:77], v[74:75]
	v_frexp_mant_f64_e32 v[74:75], v[64:65]
	v_frexp_exp_i32_f64_e32 v3, v[64:65]
	v_cmp_gt_f64_e64 s[12:13], s[36:37], v[74:75]
	v_subbrev_co_u32_e64 v3, s[14:15], 0, v3, s[12:13]
	v_cvt_f64_i32_e32 v[76:77], v3
	v_cndmask_b32_e64 v3, v71, 2.0, s[12:13]
	v_mul_f64 v[74:75], v[74:75], v[2:3]
	v_add_f64 v[80:81], v[74:75], 1.0
	v_rcp_f64_e32 v[82:83], v[80:81]
	v_mul_f64 v[78:79], v[76:77], s[38:39]
	v_fma_f64 v[84:85], v[76:77], s[38:39], -v[78:79]
	v_fmac_f64_e32 v[84:85], s[40:41], v[76:77]
	v_fma_f64 v[86:87], -v[80:81], v[82:83], 1.0
	v_fmac_f64_e32 v[82:83], v[86:87], v[82:83]
	v_fma_f64 v[86:87], -v[80:81], v[82:83], 1.0
	v_add_f64 v[76:77], v[74:75], -1.0
	v_fmac_f64_e32 v[82:83], v[86:87], v[82:83]
	v_mul_f64 v[86:87], v[76:77], v[82:83]
	v_add_f64 v[88:89], v[80:81], -1.0
	v_add_f64 v[74:75], v[74:75], -v[88:89]
	v_mul_f64 v[88:89], v[80:81], v[86:87]
	v_fma_f64 v[80:81], v[86:87], v[80:81], -v[88:89]
	v_fmac_f64_e32 v[80:81], v[86:87], v[74:75]
	v_add_f64 v[74:75], v[88:89], v[80:81]
	v_add_f64 v[88:89], v[74:75], -v[88:89]
	v_add_f64 v[80:81], v[88:89], -v[80:81]
	;; [unrolled: 1-line block ×5, first 2 shown]
	v_add_f64 v[74:75], v[80:81], v[74:75]
	v_add_f64 v[74:75], v[88:89], v[74:75]
	v_mul_f64 v[74:75], v[82:83], v[74:75]
	v_add_f64 v[76:77], v[86:87], v[74:75]
	v_add_f64 v[82:83], v[76:77], -v[86:87]
	v_mul_f64 v[80:81], v[76:77], v[76:77]
	v_add_f64 v[74:75], v[74:75], -v[82:83]
	v_add_f64 v[82:83], v[74:75], v[74:75]
	v_fma_f64 v[86:87], v[76:77], v[76:77], -v[80:81]
	v_fmac_f64_e32 v[86:87], v[76:77], v[82:83]
	v_add_f64 v[82:83], v[80:81], v[86:87]
	v_add_f64 v[80:81], v[82:83], -v[80:81]
	v_add_f64 v[80:81], v[86:87], -v[80:81]
	v_pk_mov_b32 v[86:87], v[10:11], v[10:11] op_sel:[0,1]
	v_fmac_f64_e32 v[86:87], s[42:43], v[82:83]
	v_pk_mov_b32 v[88:89], v[12:13], v[12:13] op_sel:[0,1]
	v_fmac_f64_e32 v[88:89], v[82:83], v[86:87]
	;; [unrolled: 2-line block ×8, first 2 shown]
	v_mul_f64 v[86:87], v[76:77], v[82:83]
	v_fma_f64 v[90:91], v[82:83], v[76:77], -v[86:87]
	v_mul_f64 v[92:93], v[82:83], v[88:89]
	v_fmac_f64_e32 v[90:91], v[82:83], v[74:75]
	v_fma_f64 v[82:83], v[82:83], v[88:89], -v[92:93]
	v_fmac_f64_e32 v[82:83], v[80:81], v[88:89]
	v_fmac_f64_e32 v[90:91], v[80:81], v[76:77]
	v_add_f64 v[80:81], v[92:93], v[82:83]
	v_add_f64 v[88:89], v[80:81], -v[92:93]
	v_add_f64 v[82:83], v[82:83], -v[88:89]
	s_mov_b32 s46, s36
	v_add_f64 v[88:89], v[80:81], s[36:37]
	v_add_f64 v[92:93], v[88:89], s[46:47]
	v_add_f64 v[80:81], v[80:81], -v[92:93]
	v_add_f64 v[82:83], v[82:83], s[44:45]
	v_add_f64 v[80:81], v[82:83], v[80:81]
	;; [unrolled: 1-line block ×3, first 2 shown]
	v_add_f64 v[88:89], v[88:89], -v[82:83]
	v_add_f64 v[80:81], v[80:81], v[88:89]
	v_add_f64 v[88:89], v[86:87], v[90:91]
	v_mul_f64 v[92:93], v[88:89], v[82:83]
	v_fma_f64 v[94:95], v[88:89], v[82:83], -v[92:93]
	v_fmac_f64_e32 v[94:95], v[88:89], v[80:81]
	v_add_f64 v[80:81], v[88:89], -v[86:87]
	v_add_f64 v[80:81], v[90:91], -v[80:81]
	v_fmac_f64_e32 v[94:95], v[80:81], v[82:83]
	v_ldexp_f64 v[76:77], v[76:77], 1
	v_add_f64 v[82:83], v[92:93], v[94:95]
	v_add_f64 v[88:89], v[82:83], -v[92:93]
	v_add_f64 v[90:91], v[76:77], v[82:83]
	v_add_f64 v[88:89], v[94:95], -v[88:89]
	v_ldexp_f64 v[74:75], v[74:75], 1
	v_add_f64 v[76:77], v[90:91], -v[76:77]
	v_add_f64 v[74:75], v[74:75], v[88:89]
	v_add_f64 v[76:77], v[82:83], -v[76:77]
	v_add_f64 v[74:75], v[74:75], v[76:77]
	v_add_f64 v[80:81], v[78:79], v[84:85]
	;; [unrolled: 1-line block ×4, first 2 shown]
	v_add_f64 v[78:79], v[80:81], -v[78:79]
	v_add_f64 v[78:79], v[84:85], -v[78:79]
	;; [unrolled: 1-line block ×7, first 2 shown]
	v_add_f64 v[84:85], v[78:79], v[74:75]
	v_add_f64 v[80:81], v[80:81], -v[88:89]
	v_add_f64 v[76:77], v[76:77], v[80:81]
	v_add_f64 v[88:89], v[84:85], -v[78:79]
	;; [unrolled: 2-line block ×4, first 2 shown]
	v_add_f64 v[78:79], v[78:79], -v[84:85]
	v_add_f64 v[74:75], v[74:75], v[78:79]
	v_add_f64 v[78:79], v[80:81], -v[82:83]
	v_add_f64 v[76:77], v[76:77], -v[78:79]
	v_add_f64 v[74:75], v[74:75], v[76:77]
	v_add_f64 v[76:77], v[80:81], v[74:75]
	v_mul_f64 v[78:79], v[62:63], v[76:77]
	v_add_f64 v[80:81], v[76:77], -v[80:81]
	v_add_f64 v[74:75], v[74:75], -v[80:81]
	v_fma_f64 v[76:77], v[62:63], v[76:77], -v[78:79]
	v_fmac_f64_e32 v[76:77], v[62:63], v[74:75]
	v_add_f64 v[74:75], v[78:79], v[76:77]
	v_cmp_class_f64_e64 s[12:13], v[78:79], s68
	v_cndmask_b32_e64 v81, v75, v79, s[12:13]
	v_cndmask_b32_e64 v80, v74, v78, s[12:13]
	v_mul_f64 v[82:83], v[80:81], s[52:53]
	v_rndne_f64_e32 v[82:83], v[82:83]
	s_mov_b32 s54, s38
	v_fma_f64 v[84:85], s[54:55], v[82:83], v[80:81]
	s_mov_b32 s56, s40
	v_fmac_f64_e32 v[84:85], s[56:57], v[82:83]
	v_pk_mov_b32 v[88:89], v[26:27], v[26:27] op_sel:[0,1]
	v_fmac_f64_e32 v[88:89], s[58:59], v[84:85]
	v_pk_mov_b32 v[90:91], v[28:29], v[28:29] op_sel:[0,1]
	;; [unrolled: 2-line block ×8, first 2 shown]
	v_mov_b32_e32 v3, s25
	v_fmac_f64_e32 v[90:91], v[84:85], v[88:89]
	v_pk_mov_b32 v[88:89], v[42:43], v[42:43] op_sel:[0,1]
	v_cndmask_b32_e64 v87, v3, v71, s[10:11]
	v_mov_b32_e32 v3, s27
	v_fmac_f64_e32 v[88:89], v[84:85], v[90:91]
	v_add_co_u32_e64 v90, s[12:13], s26, v50
	v_addc_co_u32_e64 v91, s[12:13], v49, v3, s[12:13]
	v_mov_b32_e32 v3, s24
	v_fma_f64 v[88:89], v[84:85], v[88:89], 1.0
	v_cndmask_b32_e64 v86, v3, 0, s[10:11]
	v_fma_f64 v[84:85], v[84:85], v[88:89], 1.0
	v_cvt_i32_f64_e32 v82, v[82:83]
	v_cmp_eq_f64_e64 s[12:13], 0, v[86:87]
	v_cmp_gt_f64_e64 s[14:15], 0, v[62:63]
	v_ldexp_f64 v[82:83], v[84:85], v82
	s_xor_b64 s[14:15], s[14:15], s[12:13]
	v_and_b32_e32 v85, 0x7fffffff, v83
	v_mov_b32_e32 v84, v82
	v_cndmask_b32_e64 v3, v72, 0, s[14:15]
	v_cmp_eq_f64_e64 s[14:15], s[34:35], v[84:85]
	v_cmp_lt_f64_e64 s[16:17], s[50:51], v[80:81]
	v_cndmask_b32_e64 v82, v82, 0, s[16:17]
	s_or_b64 s[18:19], s[16:17], s[14:15]
	v_cndmask_b32_e64 v83, v83, v72, s[16:17]
	v_cmp_ngt_f64_e64 s[14:15], s[48:49], v[80:81]
	v_add_f64 v[74:75], v[74:75], -v[78:79]
	v_trunc_f64_e32 v[88:89], v[62:63]
	v_cndmask_b32_e64 v83, 0, v83, s[14:15]
	v_cndmask_b32_e64 v82, 0, v82, s[14:15]
	v_add_f64 v[74:75], v[76:77], -v[74:75]
	v_cmp_neq_f64_e64 s[16:17], |v[80:81]|, s[34:35]
	v_and_b32_e32 v61, 0x7fffffff, v61
	v_cndmask_b32_e64 v75, 0, v75, s[16:17]
	v_cndmask_b32_e64 v74, 0, v74, s[16:17]
	v_pk_mov_b32 v[76:77], v[82:83], v[82:83] op_sel:[0,1]
	v_cmp_eq_f64_e64 s[16:17], v[88:89], v[62:63]
	v_cndmask_b32_e64 v61, v61, v71, s[0:1]
	v_cndmask_b32_e64 v60, v60, 0, s[0:1]
	v_fmac_f64_e32 v[76:77], v[76:77], v[74:75]
	s_and_b64 s[14:15], s[14:15], s[18:19]
	s_and_b64 s[8:9], s[16:17], s[8:9]
	v_cmp_neq_f64_e64 s[18:19], v[62:63], v[60:61]
	v_cmp_gt_f64_e64 s[20:21], 1.0, v[64:65]
	v_cndmask_b32_e64 v74, v76, v82, s[14:15]
	v_cndmask_b32_e64 v76, 0, v87, s[8:9]
	s_xor_b64 s[18:19], s[18:19], s[20:21]
	v_bfi_b32 v3, s63, v3, v76
	v_cndmask_b32_e64 v76, v60, 0, s[18:19]
	v_cndmask_b32_e64 v78, v61, 0, s[18:19]
	v_cmp_eq_f64_e64 s[18:19], 1.0, v[64:65]
	v_cmp_eq_f64_e64 s[10:11], s[34:35], v[64:65]
	v_cndmask_b32_e64 v64, v76, v64, s[18:19]
	v_cndmask_b32_e64 v76, v77, v83, s[14:15]
	;; [unrolled: 1-line block ×3, first 2 shown]
	v_bfi_b32 v76, s63, v76, v77
	v_cndmask_b32_e64 v75, 0, v74, s[16:17]
	v_cndmask_b32_e64 v77, v73, v76, s[16:17]
	v_cmp_gt_f64_e64 s[8:9], 0, v[86:87]
	v_cndmask_b32_e64 v65, v78, v65, s[18:19]
	v_cndmask_b32_e64 v76, v76, v77, s[8:9]
	;; [unrolled: 1-line block ×3, first 2 shown]
	v_cmp_eq_f64_e64 s[8:9], s[34:35], v[60:61]
	v_cndmask_b32_e64 v60, v74, v64, s[8:9]
	v_cndmask_b32_e64 v61, v76, v65, s[8:9]
	s_or_b64 s[8:9], s[10:11], s[12:13]
	v_cndmask_b32_e64 v3, v61, v3, s[8:9]
	v_cndmask_b32_e64 v60, v60, 0, s[8:9]
	v_cmp_o_f64_e64 s[8:9], v[86:87], v[62:63]
	v_cndmask_b32_e64 v60, 0, v60, s[8:9]
	v_cndmask_b32_e64 v61, v73, v3, s[8:9]
	global_store_dwordx2 v[90:91], v[60:61], off
	s_or_b64 exec, exec, s[60:61]
	s_and_saveexec_b64 s[14:15], s[6:7]
	s_cbranch_execz .LBB77_13
.LBB77_17:                              ;   in Loop: Header=BB77_4 Depth=1
	s_waitcnt vmcnt(0)
	v_cndmask_b32_e64 v61, v59, v71, s[0:1]
	v_cndmask_b32_e64 v60, v58, 0, s[0:1]
	v_mov_b32_e32 v3, s25
	v_cmp_eq_f64_e64 s[6:7], 0, v[60:61]
	v_cndmask_b32_e64 v63, v3, v71, s[6:7]
	v_mov_b32_e32 v3, s24
	v_cndmask_b32_e64 v62, v3, 0, s[6:7]
	v_mov_b32_e32 v3, s64
	;; [unrolled: 2-line block ×3, first 2 shown]
	v_cndmask_b32_e64 v64, v3, 0, s[6:7]
	v_frexp_mant_f64_e32 v[74:75], v[64:65]
	v_cmp_gt_f64_e64 s[6:7], s[36:37], v[74:75]
	v_cndmask_b32_e64 v3, v71, 2.0, s[6:7]
	v_frexp_exp_i32_f64_e32 v76, v[64:65]
	v_mul_f64 v[74:75], v[74:75], v[2:3]
	v_subbrev_co_u32_e64 v3, s[6:7], 0, v76, s[6:7]
	v_add_f64 v[76:77], v[74:75], 1.0
	v_rcp_f64_e32 v[78:79], v[76:77]
	v_add_f64 v[82:83], v[76:77], -1.0
	v_add_f64 v[80:81], v[74:75], -1.0
	v_add_f64 v[74:75], v[74:75], -v[82:83]
	v_fma_f64 v[82:83], -v[76:77], v[78:79], 1.0
	v_fmac_f64_e32 v[78:79], v[82:83], v[78:79]
	v_fma_f64 v[82:83], -v[76:77], v[78:79], 1.0
	v_fmac_f64_e32 v[78:79], v[82:83], v[78:79]
	v_mul_f64 v[82:83], v[80:81], v[78:79]
	v_mul_f64 v[84:85], v[76:77], v[82:83]
	v_fma_f64 v[76:77], v[82:83], v[76:77], -v[84:85]
	v_fmac_f64_e32 v[76:77], v[82:83], v[74:75]
	v_add_f64 v[74:75], v[84:85], v[76:77]
	v_add_f64 v[86:87], v[80:81], -v[74:75]
	v_add_f64 v[84:85], v[74:75], -v[84:85]
	;; [unrolled: 1-line block ×5, first 2 shown]
	v_add_f64 v[74:75], v[76:77], v[74:75]
	v_add_f64 v[74:75], v[86:87], v[74:75]
	v_mul_f64 v[74:75], v[78:79], v[74:75]
	v_add_f64 v[76:77], v[82:83], v[74:75]
	v_add_f64 v[78:79], v[76:77], -v[82:83]
	v_add_f64 v[74:75], v[74:75], -v[78:79]
	v_mul_f64 v[78:79], v[76:77], v[76:77]
	v_fma_f64 v[80:81], v[76:77], v[76:77], -v[78:79]
	v_add_f64 v[82:83], v[74:75], v[74:75]
	v_fmac_f64_e32 v[80:81], v[76:77], v[82:83]
	v_add_f64 v[82:83], v[78:79], v[80:81]
	v_add_f64 v[78:79], v[82:83], -v[78:79]
	v_add_f64 v[78:79], v[80:81], -v[78:79]
	v_pk_mov_b32 v[80:81], v[10:11], v[10:11] op_sel:[0,1]
	v_fmac_f64_e32 v[80:81], s[42:43], v[82:83]
	v_pk_mov_b32 v[84:85], v[12:13], v[12:13] op_sel:[0,1]
	v_fmac_f64_e32 v[84:85], v[82:83], v[80:81]
	v_pk_mov_b32 v[80:81], v[14:15], v[14:15] op_sel:[0,1]
	v_fmac_f64_e32 v[80:81], v[82:83], v[84:85]
	v_pk_mov_b32 v[84:85], v[16:17], v[16:17] op_sel:[0,1]
	v_fmac_f64_e32 v[84:85], v[82:83], v[80:81]
	v_pk_mov_b32 v[80:81], v[18:19], v[18:19] op_sel:[0,1]
	v_fmac_f64_e32 v[80:81], v[82:83], v[84:85]
	v_pk_mov_b32 v[84:85], v[20:21], v[20:21] op_sel:[0,1]
	v_fmac_f64_e32 v[84:85], v[82:83], v[80:81]
	v_pk_mov_b32 v[80:81], v[22:23], v[22:23] op_sel:[0,1]
	v_fmac_f64_e32 v[80:81], v[82:83], v[84:85]
	v_pk_mov_b32 v[84:85], v[24:25], v[24:25] op_sel:[0,1]
	v_fmac_f64_e32 v[84:85], v[82:83], v[80:81]
	v_cvt_f64_i32_e32 v[80:81], v3
	v_mul_f64 v[86:87], v[80:81], s[38:39]
	v_mul_f64 v[92:93], v[76:77], v[82:83]
	v_fma_f64 v[88:89], v[80:81], s[38:39], -v[86:87]
	v_fma_f64 v[94:95], v[82:83], v[76:77], -v[92:93]
	v_fmac_f64_e32 v[88:89], s[40:41], v[80:81]
	v_fmac_f64_e32 v[94:95], v[82:83], v[74:75]
	v_add_f64 v[80:81], v[86:87], v[88:89]
	v_fmac_f64_e32 v[94:95], v[78:79], v[76:77]
	v_add_f64 v[86:87], v[80:81], -v[86:87]
	v_ldexp_f64 v[90:91], v[74:75], 1
	v_add_f64 v[74:75], v[92:93], v[94:95]
	v_add_f64 v[86:87], v[88:89], -v[86:87]
	v_ldexp_f64 v[88:89], v[76:77], 1
	v_add_f64 v[76:77], v[74:75], -v[92:93]
	v_mul_f64 v[92:93], v[82:83], v[84:85]
	v_fma_f64 v[82:83], v[82:83], v[84:85], -v[92:93]
	v_fmac_f64_e32 v[82:83], v[78:79], v[84:85]
	v_add_f64 v[78:79], v[92:93], v[82:83]
	v_add_f64 v[84:85], v[78:79], -v[92:93]
	v_add_f64 v[82:83], v[82:83], -v[84:85]
	v_add_f64 v[84:85], v[78:79], s[36:37]
	s_mov_b32 s46, s36
	v_add_f64 v[92:93], v[84:85], s[46:47]
	v_add_f64 v[78:79], v[78:79], -v[92:93]
	v_add_f64 v[82:83], v[82:83], s[44:45]
	v_add_f64 v[78:79], v[82:83], v[78:79]
	;; [unrolled: 1-line block ×3, first 2 shown]
	v_add_f64 v[84:85], v[84:85], -v[82:83]
	v_add_f64 v[78:79], v[78:79], v[84:85]
	v_mul_f64 v[84:85], v[74:75], v[82:83]
	v_fma_f64 v[92:93], v[74:75], v[82:83], -v[84:85]
	v_add_f64 v[76:77], v[94:95], -v[76:77]
	v_fmac_f64_e32 v[92:93], v[74:75], v[78:79]
	v_fmac_f64_e32 v[92:93], v[76:77], v[82:83]
	v_add_f64 v[74:75], v[84:85], v[92:93]
	v_add_f64 v[76:77], v[74:75], -v[84:85]
	v_add_f64 v[78:79], v[88:89], v[74:75]
	v_add_f64 v[76:77], v[92:93], -v[76:77]
	v_add_f64 v[82:83], v[78:79], -v[88:89]
	;; [unrolled: 1-line block ×3, first 2 shown]
	v_add_f64 v[76:77], v[90:91], v[76:77]
	v_add_f64 v[74:75], v[76:77], v[74:75]
	;; [unrolled: 1-line block ×3, first 2 shown]
	v_add_f64 v[78:79], v[76:77], -v[78:79]
	v_add_f64 v[74:75], v[74:75], -v[78:79]
	v_add_f64 v[78:79], v[80:81], v[76:77]
	v_add_f64 v[82:83], v[78:79], -v[80:81]
	v_add_f64 v[84:85], v[78:79], -v[82:83]
	;; [unrolled: 1-line block ×4, first 2 shown]
	v_add_f64 v[76:77], v[76:77], v[80:81]
	v_add_f64 v[80:81], v[86:87], v[74:75]
	v_add_f64 v[82:83], v[80:81], -v[86:87]
	v_add_f64 v[76:77], v[80:81], v[76:77]
	v_add_f64 v[84:85], v[80:81], -v[82:83]
	;; [unrolled: 2-line block ×3, first 2 shown]
	v_add_f64 v[74:75], v[74:75], -v[82:83]
	v_add_f64 v[78:79], v[80:81], -v[78:79]
	v_add_f64 v[74:75], v[74:75], v[84:85]
	v_add_f64 v[76:77], v[76:77], -v[78:79]
	v_add_f64 v[74:75], v[74:75], v[76:77]
	v_add_f64 v[76:77], v[80:81], v[74:75]
	v_add_f64 v[78:79], v[76:77], -v[80:81]
	v_add_f64 v[74:75], v[74:75], -v[78:79]
	v_mul_f64 v[78:79], v[60:61], v[76:77]
	v_fma_f64 v[76:77], v[60:61], v[76:77], -v[78:79]
	v_fmac_f64_e32 v[76:77], v[60:61], v[74:75]
	v_add_f64 v[74:75], v[78:79], v[76:77]
	v_cmp_class_f64_e64 s[6:7], v[78:79], s68
	v_add_f64 v[80:81], v[74:75], -v[78:79]
	v_cndmask_b32_e64 v75, v75, v79, s[6:7]
	v_cndmask_b32_e64 v74, v74, v78, s[6:7]
	v_mul_f64 v[78:79], v[74:75], s[52:53]
	v_rndne_f64_e32 v[78:79], v[78:79]
	s_mov_b32 s54, s38
	v_add_f64 v[76:77], v[76:77], -v[80:81]
	v_fma_f64 v[80:81], s[54:55], v[78:79], v[74:75]
	s_mov_b32 s56, s40
	v_fmac_f64_e32 v[80:81], s[56:57], v[78:79]
	v_pk_mov_b32 v[82:83], v[26:27], v[26:27] op_sel:[0,1]
	v_fmac_f64_e32 v[82:83], s[58:59], v[80:81]
	v_pk_mov_b32 v[84:85], v[28:29], v[28:29] op_sel:[0,1]
	v_fmac_f64_e32 v[84:85], v[80:81], v[82:83]
	v_pk_mov_b32 v[82:83], v[30:31], v[30:31] op_sel:[0,1]
	v_fmac_f64_e32 v[82:83], v[80:81], v[84:85]
	v_pk_mov_b32 v[84:85], v[32:33], v[32:33] op_sel:[0,1]
	v_fmac_f64_e32 v[84:85], v[80:81], v[82:83]
	v_pk_mov_b32 v[82:83], v[34:35], v[34:35] op_sel:[0,1]
	v_fmac_f64_e32 v[82:83], v[80:81], v[84:85]
	v_pk_mov_b32 v[84:85], v[36:37], v[36:37] op_sel:[0,1]
	v_fmac_f64_e32 v[84:85], v[80:81], v[82:83]
	v_pk_mov_b32 v[82:83], v[38:39], v[38:39] op_sel:[0,1]
	v_fmac_f64_e32 v[82:83], v[80:81], v[84:85]
	v_pk_mov_b32 v[84:85], v[40:41], v[40:41] op_sel:[0,1]
	v_fmac_f64_e32 v[84:85], v[80:81], v[82:83]
	v_pk_mov_b32 v[82:83], v[42:43], v[42:43] op_sel:[0,1]
	v_fmac_f64_e32 v[82:83], v[80:81], v[84:85]
	v_fma_f64 v[82:83], v[80:81], v[82:83], 1.0
	v_cmp_neq_f64_e64 s[6:7], |v[74:75]|, s[34:35]
	v_fma_f64 v[80:81], v[80:81], v[82:83], 1.0
	v_cvt_i32_f64_e32 v3, v[78:79]
	v_cndmask_b32_e64 v77, 0, v77, s[6:7]
	v_cndmask_b32_e64 v76, 0, v76, s[6:7]
	v_ldexp_f64 v[78:79], v[80:81], v3
	v_cmp_lt_f64_e64 s[6:7], s[50:51], v[74:75]
	v_cndmask_b32_e64 v3, v78, 0, s[6:7]
	v_cndmask_b32_e64 v80, v79, v72, s[6:7]
	v_cmp_ngt_f64_e64 s[8:9], s[48:49], v[74:75]
	v_and_b32_e32 v79, 0x7fffffff, v79
	v_cndmask_b32_e64 v75, 0, v80, s[8:9]
	v_cndmask_b32_e64 v74, 0, v3, s[8:9]
	v_cmp_eq_f64_e64 s[10:11], s[34:35], v[78:79]
	v_pk_mov_b32 v[80:81], v[74:75], v[74:75] op_sel:[0,1]
	s_or_b64 s[6:7], s[6:7], s[10:11]
	v_fmac_f64_e32 v[80:81], v[80:81], v[76:77]
	s_and_b64 s[6:7], s[8:9], s[6:7]
	v_mul_f64 v[76:77], v[60:61], 0.5
	v_cndmask_b32_e64 v3, v80, v74, s[6:7]
	v_cndmask_b32_e64 v80, v81, v75, s[6:7]
	v_trunc_f64_e32 v[74:75], v[60:61]
	v_trunc_f64_e32 v[78:79], v[76:77]
	v_cmp_neq_f64_e64 s[6:7], v[78:79], v[76:77]
	v_cmp_eq_f64_e64 s[8:9], v[74:75], v[60:61]
	s_and_b64 s[6:7], s[8:9], s[6:7]
	v_cndmask_b32_e64 v75, v71, v63, s[6:7]
	v_bfi_b32 v75, s63, v80, v75
	v_and_b32_e32 v59, 0x7fffffff, v59
	v_cndmask_b32_e64 v74, 0, v3, s[8:9]
	v_cndmask_b32_e64 v76, v73, v75, s[8:9]
	v_cmp_gt_f64_e64 s[8:9], 0, v[62:63]
	v_cndmask_b32_e64 v59, v59, v71, s[0:1]
	v_cndmask_b32_e64 v58, v58, 0, s[0:1]
	v_cndmask_b32_e64 v75, v75, v76, s[8:9]
	v_cndmask_b32_e64 v3, v3, v74, s[8:9]
	v_cmp_neq_f64_e64 s[8:9], v[60:61], v[58:59]
	v_cmp_gt_f64_e64 s[10:11], 1.0, v[64:65]
	s_xor_b64 s[8:9], s[8:9], s[10:11]
	v_cndmask_b32_e64 v74, v58, 0, s[8:9]
	v_cndmask_b32_e64 v76, v59, 0, s[8:9]
	v_cmp_eq_f64_e64 s[8:9], 1.0, v[64:65]
	v_cmp_eq_f64_e64 s[10:11], 0, v[62:63]
	v_cmp_gt_f64_e64 s[12:13], 0, v[60:61]
	v_cndmask_b32_e64 v76, v76, v65, s[8:9]
	v_cndmask_b32_e64 v74, v74, v64, s[8:9]
	v_cmp_eq_f64_e64 s[8:9], s[34:35], v[58:59]
	s_xor_b64 s[12:13], s[12:13], s[10:11]
	v_cndmask_b32_e64 v3, v3, v74, s[8:9]
	v_cndmask_b32_e64 v58, v75, v76, s[8:9]
	v_cmp_eq_f64_e64 s[8:9], s[34:35], v[64:65]
	v_cndmask_b32_e64 v59, v72, 0, s[12:13]
	v_cndmask_b32_e64 v64, 0, v63, s[6:7]
	v_bfi_b32 v59, s63, v59, v64
	s_or_b64 s[6:7], s[8:9], s[10:11]
	v_cndmask_b32_e64 v59, v58, v59, s[6:7]
	v_cndmask_b32_e64 v3, v3, 0, s[6:7]
	v_cmp_o_f64_e64 s[6:7], v[62:63], v[60:61]
	v_cndmask_b32_e64 v58, 0, v3, s[6:7]
	v_cndmask_b32_e64 v59, v73, v59, s[6:7]
	v_mov_b32_e32 v3, s27
	v_add_co_u32_e64 v60, s[6:7], s26, v52
	v_addc_co_u32_e64 v61, s[6:7], v51, v3, s[6:7]
	global_store_dwordx2 v[60:61], v[58:59], off
	s_or_b64 exec, exec, s[14:15]
	s_and_saveexec_b64 s[12:13], s[2:3]
	s_cbranch_execz .LBB77_14
.LBB77_18:                              ;   in Loop: Header=BB77_4 Depth=1
	s_waitcnt vmcnt(0)
	v_cndmask_b32_e64 v59, v57, v71, s[0:1]
	v_cndmask_b32_e64 v58, v56, 0, s[0:1]
	v_mov_b32_e32 v3, s25
	v_cmp_eq_f64_e64 s[2:3], 0, v[58:59]
	v_cndmask_b32_e64 v61, v3, v71, s[2:3]
	v_mov_b32_e32 v3, s24
	v_cndmask_b32_e64 v60, v3, 0, s[2:3]
	v_mov_b32_e32 v3, s64
	;; [unrolled: 2-line block ×3, first 2 shown]
	v_cndmask_b32_e64 v62, v3, 0, s[2:3]
	v_frexp_mant_f64_e32 v[64:65], v[62:63]
	v_cmp_gt_f64_e64 s[2:3], s[36:37], v[64:65]
	v_cndmask_b32_e64 v3, v71, 2.0, s[2:3]
	v_frexp_exp_i32_f64_e32 v74, v[62:63]
	v_mul_f64 v[64:65], v[64:65], v[2:3]
	v_subbrev_co_u32_e64 v3, s[2:3], 0, v74, s[2:3]
	v_add_f64 v[74:75], v[64:65], 1.0
	v_rcp_f64_e32 v[76:77], v[74:75]
	v_add_f64 v[80:81], v[74:75], -1.0
	v_add_f64 v[78:79], v[64:65], -1.0
	v_add_f64 v[64:65], v[64:65], -v[80:81]
	v_fma_f64 v[80:81], -v[74:75], v[76:77], 1.0
	v_fmac_f64_e32 v[76:77], v[80:81], v[76:77]
	v_fma_f64 v[80:81], -v[74:75], v[76:77], 1.0
	v_fmac_f64_e32 v[76:77], v[80:81], v[76:77]
	v_mul_f64 v[80:81], v[78:79], v[76:77]
	v_mul_f64 v[82:83], v[74:75], v[80:81]
	v_fma_f64 v[74:75], v[80:81], v[74:75], -v[82:83]
	v_fmac_f64_e32 v[74:75], v[80:81], v[64:65]
	v_add_f64 v[64:65], v[82:83], v[74:75]
	v_add_f64 v[84:85], v[78:79], -v[64:65]
	v_add_f64 v[82:83], v[64:65], -v[82:83]
	;; [unrolled: 1-line block ×5, first 2 shown]
	v_add_f64 v[64:65], v[74:75], v[64:65]
	v_add_f64 v[64:65], v[84:85], v[64:65]
	v_mul_f64 v[64:65], v[76:77], v[64:65]
	v_add_f64 v[74:75], v[80:81], v[64:65]
	v_add_f64 v[76:77], v[74:75], -v[80:81]
	v_add_f64 v[64:65], v[64:65], -v[76:77]
	v_mul_f64 v[76:77], v[74:75], v[74:75]
	v_fma_f64 v[78:79], v[74:75], v[74:75], -v[76:77]
	v_add_f64 v[80:81], v[64:65], v[64:65]
	v_fmac_f64_e32 v[78:79], v[74:75], v[80:81]
	v_add_f64 v[80:81], v[76:77], v[78:79]
	v_add_f64 v[76:77], v[80:81], -v[76:77]
	v_add_f64 v[76:77], v[78:79], -v[76:77]
	v_pk_mov_b32 v[78:79], v[10:11], v[10:11] op_sel:[0,1]
	v_fmac_f64_e32 v[78:79], s[42:43], v[80:81]
	v_pk_mov_b32 v[82:83], v[12:13], v[12:13] op_sel:[0,1]
	v_fmac_f64_e32 v[82:83], v[80:81], v[78:79]
	;; [unrolled: 2-line block ×8, first 2 shown]
	v_cvt_f64_i32_e32 v[78:79], v3
	v_mul_f64 v[84:85], v[78:79], s[38:39]
	v_mul_f64 v[90:91], v[74:75], v[80:81]
	v_fma_f64 v[86:87], v[78:79], s[38:39], -v[84:85]
	v_fma_f64 v[92:93], v[80:81], v[74:75], -v[90:91]
	v_fmac_f64_e32 v[86:87], s[40:41], v[78:79]
	v_fmac_f64_e32 v[92:93], v[80:81], v[64:65]
	v_add_f64 v[78:79], v[84:85], v[86:87]
	v_fmac_f64_e32 v[92:93], v[76:77], v[74:75]
	v_add_f64 v[84:85], v[78:79], -v[84:85]
	v_ldexp_f64 v[88:89], v[64:65], 1
	v_add_f64 v[64:65], v[90:91], v[92:93]
	v_add_f64 v[84:85], v[86:87], -v[84:85]
	v_ldexp_f64 v[86:87], v[74:75], 1
	v_add_f64 v[74:75], v[64:65], -v[90:91]
	v_mul_f64 v[90:91], v[80:81], v[82:83]
	v_fma_f64 v[80:81], v[80:81], v[82:83], -v[90:91]
	v_fmac_f64_e32 v[80:81], v[76:77], v[82:83]
	v_add_f64 v[76:77], v[90:91], v[80:81]
	v_add_f64 v[82:83], v[76:77], -v[90:91]
	v_add_f64 v[80:81], v[80:81], -v[82:83]
	v_add_f64 v[82:83], v[76:77], s[36:37]
	s_mov_b32 s46, s36
	v_add_f64 v[90:91], v[82:83], s[46:47]
	v_add_f64 v[76:77], v[76:77], -v[90:91]
	v_add_f64 v[80:81], v[80:81], s[44:45]
	v_add_f64 v[76:77], v[80:81], v[76:77]
	;; [unrolled: 1-line block ×3, first 2 shown]
	v_add_f64 v[82:83], v[82:83], -v[80:81]
	v_add_f64 v[76:77], v[76:77], v[82:83]
	v_mul_f64 v[82:83], v[64:65], v[80:81]
	v_fma_f64 v[90:91], v[64:65], v[80:81], -v[82:83]
	v_add_f64 v[74:75], v[92:93], -v[74:75]
	v_fmac_f64_e32 v[90:91], v[64:65], v[76:77]
	v_fmac_f64_e32 v[90:91], v[74:75], v[80:81]
	v_add_f64 v[64:65], v[82:83], v[90:91]
	v_add_f64 v[74:75], v[64:65], -v[82:83]
	v_add_f64 v[76:77], v[86:87], v[64:65]
	v_add_f64 v[74:75], v[90:91], -v[74:75]
	v_add_f64 v[80:81], v[76:77], -v[86:87]
	;; [unrolled: 1-line block ×3, first 2 shown]
	v_add_f64 v[74:75], v[88:89], v[74:75]
	v_add_f64 v[64:65], v[74:75], v[64:65]
	;; [unrolled: 1-line block ×3, first 2 shown]
	v_add_f64 v[76:77], v[74:75], -v[76:77]
	v_add_f64 v[64:65], v[64:65], -v[76:77]
	v_add_f64 v[76:77], v[78:79], v[74:75]
	v_add_f64 v[80:81], v[76:77], -v[78:79]
	v_add_f64 v[82:83], v[76:77], -v[80:81]
	;; [unrolled: 1-line block ×4, first 2 shown]
	v_add_f64 v[74:75], v[74:75], v[78:79]
	v_add_f64 v[78:79], v[84:85], v[64:65]
	v_add_f64 v[80:81], v[78:79], -v[84:85]
	v_add_f64 v[74:75], v[78:79], v[74:75]
	v_add_f64 v[82:83], v[78:79], -v[80:81]
	;; [unrolled: 2-line block ×3, first 2 shown]
	v_add_f64 v[64:65], v[64:65], -v[80:81]
	v_add_f64 v[76:77], v[78:79], -v[76:77]
	v_add_f64 v[64:65], v[64:65], v[82:83]
	v_add_f64 v[74:75], v[74:75], -v[76:77]
	v_add_f64 v[64:65], v[64:65], v[74:75]
	v_add_f64 v[74:75], v[78:79], v[64:65]
	v_add_f64 v[76:77], v[74:75], -v[78:79]
	v_add_f64 v[64:65], v[64:65], -v[76:77]
	v_mul_f64 v[76:77], v[58:59], v[74:75]
	v_fma_f64 v[74:75], v[58:59], v[74:75], -v[76:77]
	v_fmac_f64_e32 v[74:75], v[58:59], v[64:65]
	v_add_f64 v[64:65], v[76:77], v[74:75]
	v_cmp_class_f64_e64 s[2:3], v[76:77], s68
	v_add_f64 v[78:79], v[64:65], -v[76:77]
	v_cndmask_b32_e64 v65, v65, v77, s[2:3]
	v_cndmask_b32_e64 v64, v64, v76, s[2:3]
	v_mul_f64 v[76:77], v[64:65], s[52:53]
	v_rndne_f64_e32 v[76:77], v[76:77]
	s_mov_b32 s54, s38
	v_add_f64 v[74:75], v[74:75], -v[78:79]
	v_fma_f64 v[78:79], s[54:55], v[76:77], v[64:65]
	s_mov_b32 s56, s40
	v_fmac_f64_e32 v[78:79], s[56:57], v[76:77]
	v_pk_mov_b32 v[80:81], v[26:27], v[26:27] op_sel:[0,1]
	v_fmac_f64_e32 v[80:81], s[58:59], v[78:79]
	v_pk_mov_b32 v[82:83], v[28:29], v[28:29] op_sel:[0,1]
	;; [unrolled: 2-line block ×9, first 2 shown]
	v_fmac_f64_e32 v[80:81], v[78:79], v[82:83]
	v_fma_f64 v[80:81], v[78:79], v[80:81], 1.0
	v_cmp_neq_f64_e64 s[2:3], |v[64:65]|, s[34:35]
	v_fma_f64 v[78:79], v[78:79], v[80:81], 1.0
	v_cvt_i32_f64_e32 v3, v[76:77]
	v_cndmask_b32_e64 v75, 0, v75, s[2:3]
	v_cndmask_b32_e64 v74, 0, v74, s[2:3]
	v_ldexp_f64 v[76:77], v[78:79], v3
	v_cmp_lt_f64_e64 s[2:3], s[50:51], v[64:65]
	v_cndmask_b32_e64 v3, v76, 0, s[2:3]
	v_cndmask_b32_e64 v78, v77, v72, s[2:3]
	v_cmp_ngt_f64_e64 s[6:7], s[48:49], v[64:65]
	v_and_b32_e32 v77, 0x7fffffff, v77
	v_cndmask_b32_e64 v65, 0, v78, s[6:7]
	v_cndmask_b32_e64 v64, 0, v3, s[6:7]
	v_cmp_eq_f64_e64 s[8:9], s[34:35], v[76:77]
	v_pk_mov_b32 v[78:79], v[64:65], v[64:65] op_sel:[0,1]
	s_or_b64 s[2:3], s[2:3], s[8:9]
	v_fmac_f64_e32 v[78:79], v[78:79], v[74:75]
	s_and_b64 s[2:3], s[6:7], s[2:3]
	v_mul_f64 v[74:75], v[58:59], 0.5
	v_cndmask_b32_e64 v3, v78, v64, s[2:3]
	v_cndmask_b32_e64 v78, v79, v65, s[2:3]
	v_trunc_f64_e32 v[64:65], v[58:59]
	v_trunc_f64_e32 v[76:77], v[74:75]
	v_cmp_neq_f64_e64 s[2:3], v[76:77], v[74:75]
	v_cmp_eq_f64_e64 s[6:7], v[64:65], v[58:59]
	s_and_b64 s[2:3], s[6:7], s[2:3]
	v_cndmask_b32_e64 v65, v71, v61, s[2:3]
	v_bfi_b32 v65, s63, v78, v65
	v_and_b32_e32 v57, 0x7fffffff, v57
	v_cndmask_b32_e64 v64, 0, v3, s[6:7]
	v_cndmask_b32_e64 v74, v73, v65, s[6:7]
	v_cmp_gt_f64_e64 s[6:7], 0, v[60:61]
	v_cndmask_b32_e64 v57, v57, v71, s[0:1]
	v_cndmask_b32_e64 v56, v56, 0, s[0:1]
	v_cndmask_b32_e64 v65, v65, v74, s[6:7]
	v_cndmask_b32_e64 v3, v3, v64, s[6:7]
	v_cmp_neq_f64_e64 s[6:7], v[58:59], v[56:57]
	v_cmp_gt_f64_e64 s[8:9], 1.0, v[62:63]
	s_xor_b64 s[6:7], s[6:7], s[8:9]
	v_cndmask_b32_e64 v64, v56, 0, s[6:7]
	v_cndmask_b32_e64 v74, v57, 0, s[6:7]
	v_cmp_eq_f64_e64 s[6:7], 1.0, v[62:63]
	v_cmp_eq_f64_e64 s[8:9], 0, v[60:61]
	v_cmp_gt_f64_e64 s[10:11], 0, v[58:59]
	v_cndmask_b32_e64 v74, v74, v63, s[6:7]
	v_cndmask_b32_e64 v64, v64, v62, s[6:7]
	v_cmp_eq_f64_e64 s[6:7], s[34:35], v[56:57]
	s_xor_b64 s[10:11], s[10:11], s[8:9]
	v_cndmask_b32_e64 v3, v3, v64, s[6:7]
	v_cndmask_b32_e64 v56, v65, v74, s[6:7]
	v_cmp_eq_f64_e64 s[6:7], s[34:35], v[62:63]
	v_cndmask_b32_e64 v57, v72, 0, s[10:11]
	v_cndmask_b32_e64 v62, 0, v61, s[2:3]
	v_bfi_b32 v57, s63, v57, v62
	s_or_b64 s[2:3], s[6:7], s[8:9]
	v_cndmask_b32_e64 v57, v56, v57, s[2:3]
	v_cndmask_b32_e64 v3, v3, 0, s[2:3]
	v_cmp_o_f64_e64 s[2:3], v[60:61], v[58:59]
	v_cndmask_b32_e64 v56, 0, v3, s[2:3]
	v_cndmask_b32_e64 v57, v73, v57, s[2:3]
	v_mov_b32_e32 v3, s27
	v_add_co_u32_e64 v58, s[2:3], s26, v44
	v_addc_co_u32_e64 v59, s[2:3], v9, v3, s[2:3]
	global_store_dwordx2 v[58:59], v[56:57], off
	s_or_b64 exec, exec, s[12:13]
	s_and_saveexec_b64 s[10:11], vcc
	s_cbranch_execz .LBB77_3
.LBB77_19:                              ;   in Loop: Header=BB77_4 Depth=1
	s_waitcnt vmcnt(0)
	v_cndmask_b32_e64 v57, v55, v71, s[0:1]
	v_cndmask_b32_e64 v56, v54, 0, s[0:1]
	v_mov_b32_e32 v3, s25
	v_cmp_eq_f64_e32 vcc, 0, v[56:57]
	v_cndmask_b32_e32 v59, v3, v71, vcc
	v_mov_b32_e32 v3, s24
	v_cndmask_b32_e64 v58, v3, 0, vcc
	v_mov_b32_e32 v3, s64
	v_cndmask_b32_e32 v61, v3, v71, vcc
	v_mov_b32_e32 v3, s65
	v_cndmask_b32_e64 v60, v3, 0, vcc
	v_frexp_mant_f64_e32 v[62:63], v[60:61]
	v_cmp_gt_f64_e32 vcc, s[36:37], v[62:63]
	v_cndmask_b32_e64 v3, v71, 2.0, vcc
	v_frexp_exp_i32_f64_e32 v64, v[60:61]
	v_mul_f64 v[62:63], v[62:63], v[2:3]
	v_subbrev_co_u32_e32 v3, vcc, 0, v64, vcc
	v_add_f64 v[64:65], v[62:63], 1.0
	v_rcp_f64_e32 v[74:75], v[64:65]
	v_add_f64 v[78:79], v[64:65], -1.0
	v_add_f64 v[76:77], v[62:63], -1.0
	v_add_f64 v[62:63], v[62:63], -v[78:79]
	v_fma_f64 v[78:79], -v[64:65], v[74:75], 1.0
	v_fmac_f64_e32 v[74:75], v[78:79], v[74:75]
	v_fma_f64 v[78:79], -v[64:65], v[74:75], 1.0
	v_fmac_f64_e32 v[74:75], v[78:79], v[74:75]
	v_mul_f64 v[78:79], v[76:77], v[74:75]
	v_mul_f64 v[80:81], v[64:65], v[78:79]
	v_fma_f64 v[64:65], v[78:79], v[64:65], -v[80:81]
	v_fmac_f64_e32 v[64:65], v[78:79], v[62:63]
	v_add_f64 v[62:63], v[80:81], v[64:65]
	v_add_f64 v[82:83], v[76:77], -v[62:63]
	v_add_f64 v[80:81], v[62:63], -v[80:81]
	;; [unrolled: 1-line block ×5, first 2 shown]
	v_add_f64 v[62:63], v[64:65], v[62:63]
	v_add_f64 v[62:63], v[82:83], v[62:63]
	v_mul_f64 v[62:63], v[74:75], v[62:63]
	v_add_f64 v[64:65], v[78:79], v[62:63]
	v_add_f64 v[74:75], v[64:65], -v[78:79]
	v_add_f64 v[62:63], v[62:63], -v[74:75]
	v_mul_f64 v[74:75], v[64:65], v[64:65]
	v_fma_f64 v[76:77], v[64:65], v[64:65], -v[74:75]
	v_add_f64 v[78:79], v[62:63], v[62:63]
	v_fmac_f64_e32 v[76:77], v[64:65], v[78:79]
	v_add_f64 v[78:79], v[74:75], v[76:77]
	v_add_f64 v[74:75], v[78:79], -v[74:75]
	v_add_f64 v[74:75], v[76:77], -v[74:75]
	v_pk_mov_b32 v[76:77], v[10:11], v[10:11] op_sel:[0,1]
	v_fmac_f64_e32 v[76:77], s[42:43], v[78:79]
	v_pk_mov_b32 v[80:81], v[12:13], v[12:13] op_sel:[0,1]
	v_fmac_f64_e32 v[80:81], v[78:79], v[76:77]
	;; [unrolled: 2-line block ×8, first 2 shown]
	v_cvt_f64_i32_e32 v[76:77], v3
	v_mul_f64 v[82:83], v[76:77], s[38:39]
	v_mul_f64 v[88:89], v[64:65], v[78:79]
	v_fma_f64 v[84:85], v[76:77], s[38:39], -v[82:83]
	v_fma_f64 v[90:91], v[78:79], v[64:65], -v[88:89]
	v_fmac_f64_e32 v[84:85], s[40:41], v[76:77]
	v_fmac_f64_e32 v[90:91], v[78:79], v[62:63]
	v_add_f64 v[76:77], v[82:83], v[84:85]
	v_fmac_f64_e32 v[90:91], v[74:75], v[64:65]
	v_add_f64 v[82:83], v[76:77], -v[82:83]
	v_ldexp_f64 v[86:87], v[62:63], 1
	v_add_f64 v[62:63], v[88:89], v[90:91]
	v_add_f64 v[82:83], v[84:85], -v[82:83]
	v_ldexp_f64 v[84:85], v[64:65], 1
	v_add_f64 v[64:65], v[62:63], -v[88:89]
	v_mul_f64 v[88:89], v[78:79], v[80:81]
	v_fma_f64 v[78:79], v[78:79], v[80:81], -v[88:89]
	v_fmac_f64_e32 v[78:79], v[74:75], v[80:81]
	v_add_f64 v[74:75], v[88:89], v[78:79]
	v_add_f64 v[80:81], v[74:75], -v[88:89]
	v_add_f64 v[78:79], v[78:79], -v[80:81]
	v_add_f64 v[80:81], v[74:75], s[36:37]
	s_mov_b32 s46, s36
	v_add_f64 v[88:89], v[80:81], s[46:47]
	v_add_f64 v[74:75], v[74:75], -v[88:89]
	v_add_f64 v[78:79], v[78:79], s[44:45]
	v_add_f64 v[74:75], v[78:79], v[74:75]
	;; [unrolled: 1-line block ×3, first 2 shown]
	v_add_f64 v[80:81], v[80:81], -v[78:79]
	v_add_f64 v[74:75], v[74:75], v[80:81]
	v_mul_f64 v[80:81], v[62:63], v[78:79]
	v_fma_f64 v[88:89], v[62:63], v[78:79], -v[80:81]
	v_add_f64 v[64:65], v[90:91], -v[64:65]
	v_fmac_f64_e32 v[88:89], v[62:63], v[74:75]
	v_fmac_f64_e32 v[88:89], v[64:65], v[78:79]
	v_add_f64 v[62:63], v[80:81], v[88:89]
	v_add_f64 v[64:65], v[62:63], -v[80:81]
	v_add_f64 v[74:75], v[84:85], v[62:63]
	v_add_f64 v[64:65], v[88:89], -v[64:65]
	v_add_f64 v[78:79], v[74:75], -v[84:85]
	;; [unrolled: 1-line block ×3, first 2 shown]
	v_add_f64 v[64:65], v[86:87], v[64:65]
	v_add_f64 v[62:63], v[64:65], v[62:63]
	;; [unrolled: 1-line block ×3, first 2 shown]
	v_add_f64 v[74:75], v[64:65], -v[74:75]
	v_add_f64 v[62:63], v[62:63], -v[74:75]
	v_add_f64 v[74:75], v[76:77], v[64:65]
	v_add_f64 v[78:79], v[74:75], -v[76:77]
	v_add_f64 v[80:81], v[74:75], -v[78:79]
	;; [unrolled: 1-line block ×4, first 2 shown]
	v_add_f64 v[64:65], v[64:65], v[76:77]
	v_add_f64 v[76:77], v[82:83], v[62:63]
	v_add_f64 v[78:79], v[76:77], -v[82:83]
	v_add_f64 v[64:65], v[76:77], v[64:65]
	v_add_f64 v[80:81], v[76:77], -v[78:79]
	;; [unrolled: 2-line block ×3, first 2 shown]
	v_add_f64 v[62:63], v[62:63], -v[78:79]
	v_add_f64 v[74:75], v[76:77], -v[74:75]
	v_add_f64 v[62:63], v[62:63], v[80:81]
	v_add_f64 v[64:65], v[64:65], -v[74:75]
	v_add_f64 v[62:63], v[62:63], v[64:65]
	v_add_f64 v[64:65], v[76:77], v[62:63]
	v_add_f64 v[74:75], v[64:65], -v[76:77]
	v_add_f64 v[62:63], v[62:63], -v[74:75]
	v_mul_f64 v[74:75], v[56:57], v[64:65]
	v_fma_f64 v[64:65], v[56:57], v[64:65], -v[74:75]
	v_fmac_f64_e32 v[64:65], v[56:57], v[62:63]
	v_add_f64 v[62:63], v[74:75], v[64:65]
	v_cmp_class_f64_e64 vcc, v[74:75], s68
	v_add_f64 v[76:77], v[62:63], -v[74:75]
	v_cndmask_b32_e32 v63, v63, v75, vcc
	v_cndmask_b32_e32 v62, v62, v74, vcc
	v_mul_f64 v[74:75], v[62:63], s[52:53]
	v_rndne_f64_e32 v[74:75], v[74:75]
	s_mov_b32 s54, s38
	v_add_f64 v[64:65], v[64:65], -v[76:77]
	v_fma_f64 v[76:77], s[54:55], v[74:75], v[62:63]
	s_mov_b32 s56, s40
	v_fmac_f64_e32 v[76:77], s[56:57], v[74:75]
	v_pk_mov_b32 v[78:79], v[26:27], v[26:27] op_sel:[0,1]
	v_fmac_f64_e32 v[78:79], s[58:59], v[76:77]
	v_pk_mov_b32 v[80:81], v[28:29], v[28:29] op_sel:[0,1]
	;; [unrolled: 2-line block ×9, first 2 shown]
	v_fmac_f64_e32 v[78:79], v[76:77], v[80:81]
	v_fma_f64 v[78:79], v[76:77], v[78:79], 1.0
	v_cmp_neq_f64_e64 vcc, |v[62:63]|, s[34:35]
	v_fma_f64 v[76:77], v[76:77], v[78:79], 1.0
	v_cvt_i32_f64_e32 v3, v[74:75]
	v_cndmask_b32_e32 v65, 0, v65, vcc
	v_cndmask_b32_e32 v64, 0, v64, vcc
	v_ldexp_f64 v[74:75], v[76:77], v3
	v_cmp_lt_f64_e32 vcc, s[50:51], v[62:63]
	v_cndmask_b32_e64 v3, v74, 0, vcc
	v_cndmask_b32_e32 v76, v75, v72, vcc
	v_cmp_ngt_f64_e64 s[2:3], s[48:49], v[62:63]
	v_and_b32_e32 v75, 0x7fffffff, v75
	v_cndmask_b32_e64 v63, 0, v76, s[2:3]
	v_cndmask_b32_e64 v62, 0, v3, s[2:3]
	v_cmp_eq_f64_e64 s[6:7], s[34:35], v[74:75]
	v_pk_mov_b32 v[76:77], v[62:63], v[62:63] op_sel:[0,1]
	s_or_b64 s[6:7], vcc, s[6:7]
	v_fmac_f64_e32 v[76:77], v[76:77], v[64:65]
	s_and_b64 vcc, s[2:3], s[6:7]
	v_mul_f64 v[64:65], v[56:57], 0.5
	v_cndmask_b32_e32 v3, v76, v62, vcc
	v_cndmask_b32_e32 v76, v77, v63, vcc
	v_trunc_f64_e32 v[62:63], v[56:57]
	v_trunc_f64_e32 v[74:75], v[64:65]
	v_cmp_neq_f64_e32 vcc, v[74:75], v[64:65]
	v_cmp_eq_f64_e64 s[2:3], v[62:63], v[56:57]
	s_and_b64 vcc, s[2:3], vcc
	v_cndmask_b32_e32 v63, v71, v59, vcc
	v_bfi_b32 v63, s63, v76, v63
	v_and_b32_e32 v55, 0x7fffffff, v55
	v_cndmask_b32_e64 v62, 0, v3, s[2:3]
	v_cndmask_b32_e64 v64, v73, v63, s[2:3]
	v_cmp_gt_f64_e64 s[2:3], 0, v[58:59]
	v_cndmask_b32_e64 v55, v55, v71, s[0:1]
	v_cndmask_b32_e64 v54, v54, 0, s[0:1]
	v_cndmask_b32_e64 v63, v63, v64, s[2:3]
	v_cndmask_b32_e64 v3, v3, v62, s[2:3]
	v_cmp_neq_f64_e64 s[2:3], v[56:57], v[54:55]
	v_cmp_gt_f64_e64 s[6:7], 1.0, v[60:61]
	s_xor_b64 s[2:3], s[2:3], s[6:7]
	v_cndmask_b32_e64 v62, v54, 0, s[2:3]
	v_cndmask_b32_e64 v64, v55, 0, s[2:3]
	v_cmp_eq_f64_e64 s[2:3], 1.0, v[60:61]
	v_cmp_eq_f64_e64 s[6:7], 0, v[58:59]
	v_cmp_gt_f64_e64 s[8:9], 0, v[56:57]
	v_cndmask_b32_e64 v64, v64, v61, s[2:3]
	v_cndmask_b32_e64 v62, v62, v60, s[2:3]
	v_cmp_eq_f64_e64 s[2:3], s[34:35], v[54:55]
	s_xor_b64 s[8:9], s[8:9], s[6:7]
	v_cndmask_b32_e64 v3, v3, v62, s[2:3]
	v_cndmask_b32_e64 v54, v63, v64, s[2:3]
	v_cmp_eq_f64_e64 s[2:3], s[34:35], v[60:61]
	v_cndmask_b32_e64 v55, v72, 0, s[8:9]
	v_cndmask_b32_e32 v60, 0, v59, vcc
	v_bfi_b32 v55, s63, v55, v60
	s_or_b64 vcc, s[2:3], s[6:7]
	v_cndmask_b32_e32 v55, v54, v55, vcc
	v_cndmask_b32_e64 v3, v3, 0, vcc
	v_cmp_o_f64_e32 vcc, v[58:59], v[56:57]
	v_cndmask_b32_e32 v54, 0, v3, vcc
	v_cndmask_b32_e32 v55, v73, v55, vcc
	v_mov_b32_e32 v3, s27
	v_add_co_u32_e32 v56, vcc, s26, v6
	v_addc_co_u32_e32 v57, vcc, v5, v3, vcc
	global_store_dwordx2 v[56:57], v[54:55], off
	s_branch .LBB77_3
.LBB77_20:
	s_mov_b64 s[0:1], 0
.LBB77_21:
	s_andn2_b64 vcc, exec, s[0:1]
	s_cbranch_vccnz .LBB77_25
; %bb.22:
	v_mov_b32_e32 v4, 0
	v_lshlrev_b32_e32 v2, 2, v0
	v_mov_b32_e32 v3, v4
	s_mov_b32 s0, 0
	v_cmp_gt_i64_e32 vcc, s[22:23], v[2:3]
	s_and_saveexec_b64 s[2:3], vcc
	s_cbranch_execz .LBB77_25
; %bb.23:
	s_load_dword s1, s[4:5], 0xc64
	s_and_b32 s2, s25, 0x7fffffff
	v_mov_b32_e32 v54, s2
	s_mov_b32 s2, 0x968915a9
	s_mov_b32 s3, 0x3fba6564
	v_pk_mov_b32 v[10:11], s[2:3], s[2:3] op_sel:[0,1]
	s_mov_b32 s2, 0xfca7ab0c
	v_cmp_eq_f64_e64 vcc, s[24:25], 1.0
	s_waitcnt lgkmcnt(0)
	s_and_b32 s1, s1, 0xffff
	v_mov_b32_e32 v52, s25
	v_mov_b32_e32 v53, s24
	;; [unrolled: 1-line block ×3, first 2 shown]
	s_mov_b32 s18, 0x55555555
	s_mov_b32 s20, 0x4222de17
	;; [unrolled: 1-line block ×28, first 2 shown]
	s_brev_b32 s89, -2
	v_add_lshl_u32 v6, v0, s1, 2
	v_mov_b32_e32 v7, v4
	s_lshl_b32 s90, s1, 2
	v_lshlrev_b32_e32 v8, 5, v0
	s_lshl_b32 s91, s1, 5
	s_mov_b64 s[16:17], 0
	v_mov_b32_e32 v9, 0x3ff00000
	s_mov_b32 s19, 0x3fe55555
	s_mov_b32 s21, 0x3fbdee67
	;; [unrolled: 1-line block ×16, first 2 shown]
	s_movk_i32 s92, 0x204
	s_mov_b32 s53, 0x7ff00000
	s_mov_b32 s55, 0x3ff71547
	;; [unrolled: 1-line block ×3, first 2 shown]
	v_pk_mov_b32 v[12:13], s[2:3], s[2:3] op_sel:[0,1]
	s_mov_b32 s59, 0x3ec71dee
	s_mov_b32 s61, 0x3efa0199
	;; [unrolled: 1-line block ×9, first 2 shown]
	v_mov_b32_e32 v56, 0x7ff00000
	s_mov_b32 s77, 0xc090cc00
	v_mov_b32_e32 v57, 0x7ff80000
	s_mov_b64 s[78:79], 0xffff
	v_mov_b32_e32 v58, s0
.LBB77_24:                              ; =>This Inner Loop Header: Depth=1
	v_cmp_le_i64_e64 s[2:3], s[22:23], v[6:7]
	v_cmp_lt_u64_e64 s[4:5], s[78:79], v[6:7]
	v_add_co_u32_e64 v6, s[6:7], s90, v6
	v_addc_co_u32_e64 v7, s[6:7], v7, v58, s[6:7]
	v_mov_b32_e32 v0, s86
	v_add_co_u32_e64 v16, s[6:7], s33, v8
	v_mov_b32_e32 v1, s88
	v_add_co_u32_e64 v14, s[0:1], s87, v8
	v_addc_co_u32_e64 v17, s[6:7], 0, v0, s[6:7]
	v_addc_co_u32_e64 v15, s[0:1], 0, v1, s[0:1]
	global_load_dwordx4 v[0:3], v[16:17], off
	global_load_dwordx4 v[22:25], v[16:17], off offset:16
	s_or_b64 s[80:81], s[2:3], s[4:5]
	s_waitcnt vmcnt(1)
	v_cndmask_b32_e32 v21, v1, v9, vcc
	v_cndmask_b32_e64 v20, v0, 0, vcc
	v_and_b32_e32 v5, 0x7fffffff, v1
	s_waitcnt vmcnt(0)
	v_cndmask_b32_e32 v1, v23, v9, vcc
	v_cndmask_b32_e64 v0, v22, 0, vcc
	v_cmp_eq_f64_e64 s[0:1], 0, v[20:21]
	v_and_b32_e32 v22, 0x7fffffff, v25
	v_cndmask_b32_e32 v35, v5, v9, vcc
	v_mov_b32_e32 v34, v20
	v_cmp_eq_f64_e64 s[6:7], 0, v[0:1]
	v_cndmask_b32_e64 v43, v54, v9, s[0:1]
	v_cndmask_b32_e64 v42, v55, 0, s[0:1]
	v_cndmask_b32_e32 v19, v3, v9, vcc
	v_cndmask_b32_e64 v18, v2, 0, vcc
	v_and_b32_e32 v17, 0x7fffffff, v23
	v_cndmask_b32_e64 v27, v52, v9, s[0:1]
	v_cndmask_b32_e64 v23, v52, v9, s[6:7]
	v_cndmask_b32_e32 v29, v22, v9, vcc
	v_cndmask_b32_e64 v26, v53, 0, s[0:1]
	v_cmp_neq_f64_e64 s[0:1], v[20:21], v[34:35]
	v_cndmask_b32_e64 v22, v53, 0, s[6:7]
	v_cndmask_b32_e64 v37, v54, v9, s[6:7]
	;; [unrolled: 1-line block ×3, first 2 shown]
	v_cmp_gt_f64_e64 s[6:7], 1.0, v[42:43]
	v_and_b32_e32 v16, 0x7fffffff, v3
	v_cmp_gt_f64_e64 s[2:3], 0, v[20:21]
	v_cmp_eq_f64_e64 s[4:5], 0, v[18:19]
	s_xor_b64 s[82:83], s[0:1], s[6:7]
	v_cmp_eq_f64_e64 s[6:7], 0, v[26:27]
	v_cndmask_b32_e32 v33, v16, v9, vcc
	v_mov_b32_e32 v32, v18
	v_cndmask_b32_e64 v41, v54, v9, s[4:5]
	v_cndmask_b32_e64 v40, v55, 0, s[4:5]
	s_xor_b64 s[0:1], s[2:3], s[6:7]
	v_cndmask_b32_e32 v3, v25, v9, vcc
	v_cndmask_b32_e64 v2, v24, 0, vcc
	v_cndmask_b32_e64 v25, v52, v9, s[4:5]
	v_cndmask_b32_e64 v24, v53, 0, s[4:5]
	v_cmp_neq_f64_e64 s[4:5], v[18:19], v[32:33]
	v_cndmask_b32_e64 v60, v56, 0, s[0:1]
	v_cmp_gt_f64_e64 s[0:1], 1.0, v[40:41]
	v_cmp_gt_f64_e64 s[8:9], 0, v[18:19]
	s_xor_b64 s[84:85], s[4:5], s[0:1]
	v_cmp_eq_f64_e64 s[4:5], 0, v[24:25]
	v_cndmask_b32_e32 v31, v17, v9, vcc
	v_mov_b32_e32 v30, v0
	s_xor_b64 s[0:1], s[8:9], s[4:5]
	v_cmp_gt_f64_e64 s[10:11], 0, v[0:1]
	v_cmp_eq_f64_e64 s[12:13], 0, v[2:3]
	v_cmp_neq_f64_e64 s[14:15], v[0:1], v[30:31]
	v_cndmask_b32_e64 v61, v56, 0, s[0:1]
	v_cmp_gt_f64_e64 s[0:1], 1.0, v[36:37]
	v_cmp_eq_f64_e64 s[2:3], 0, v[22:23]
	v_mov_b32_e32 v28, v2
	v_cndmask_b32_e64 v39, v54, v9, s[12:13]
	v_cndmask_b32_e64 v38, v55, 0, s[12:13]
	s_xor_b64 s[14:15], s[14:15], s[0:1]
	s_xor_b64 s[0:1], s[10:11], s[2:3]
	v_cndmask_b32_e64 v17, v52, v9, s[12:13]
	v_cndmask_b32_e64 v16, v53, 0, s[12:13]
	v_cmp_neq_f64_e64 s[12:13], v[2:3], v[28:29]
	v_cndmask_b32_e64 v62, v56, 0, s[0:1]
	v_cmp_gt_f64_e64 s[0:1], 1.0, v[38:39]
	s_xor_b64 s[12:13], s[12:13], s[0:1]
	v_cmp_gt_f64_e64 s[8:9], 0, v[2:3]
	v_cmp_eq_f64_e64 s[0:1], 0, v[16:17]
	s_xor_b64 s[8:9], s[8:9], s[0:1]
	v_frexp_mant_f64_e32 v[44:45], v[42:43]
	v_cndmask_b32_e64 v59, v56, 0, s[8:9]
	v_frexp_exp_i32_f64_e32 v46, v[42:43]
	v_cmp_gt_f64_e64 s[8:9], s[18:19], v[44:45]
	v_cndmask_b32_e64 v5, v9, 2.0, s[8:9]
	v_subbrev_co_u32_e64 v63, s[8:9], 0, v46, s[8:9]
	v_frexp_mant_f64_e32 v[46:47], v[40:41]
	v_frexp_exp_i32_f64_e32 v48, v[40:41]
	v_cmp_gt_f64_e64 s[8:9], s[18:19], v[46:47]
	v_mul_f64 v[44:45], v[44:45], v[4:5]
	v_cndmask_b32_e64 v5, v9, 2.0, s[8:9]
	v_subbrev_co_u32_e64 v84, s[8:9], 0, v48, s[8:9]
	v_frexp_mant_f64_e32 v[48:49], v[36:37]
	v_frexp_exp_i32_f64_e32 v64, v[36:37]
	v_cmp_gt_f64_e64 s[8:9], s[18:19], v[48:49]
	v_mul_f64 v[50:51], v[46:47], v[4:5]
	;; [unrolled: 6-line block ×3, first 2 shown]
	v_cndmask_b32_e64 v5, v9, 2.0, s[8:9]
	v_subbrev_co_u32_e64 v91, s[8:9], 0, v66, s[8:9]
	v_add_f64 v[66:67], v[44:45], 1.0
	v_cvt_f64_i32_e32 v[68:69], v63
	v_rcp_f64_e32 v[72:73], v[66:67]
	v_add_f64 v[70:71], v[66:67], -1.0
	v_mul_f64 v[74:75], v[68:69], s[40:41]
	v_add_f64 v[48:49], v[44:45], -1.0
	v_add_f64 v[44:45], v[44:45], -v[70:71]
	v_fma_f64 v[70:71], v[68:69], s[40:41], -v[74:75]
	v_fmac_f64_e32 v[70:71], s[44:45], v[68:69]
	v_add_f64 v[68:69], v[74:75], v[70:71]
	v_fma_f64 v[76:77], -v[66:67], v[72:73], 1.0
	v_add_f64 v[74:75], v[68:69], -v[74:75]
	v_fmac_f64_e32 v[72:73], v[76:77], v[72:73]
	v_add_f64 v[70:71], v[70:71], -v[74:75]
	v_fma_f64 v[74:75], -v[66:67], v[72:73], 1.0
	v_fmac_f64_e32 v[72:73], v[74:75], v[72:73]
	v_mul_f64 v[74:75], v[48:49], v[72:73]
	v_mul_f64 v[76:77], v[66:67], v[74:75]
	v_fma_f64 v[66:67], v[74:75], v[66:67], -v[76:77]
	v_fmac_f64_e32 v[66:67], v[74:75], v[44:45]
	v_add_f64 v[44:45], v[76:77], v[66:67]
	v_add_f64 v[78:79], v[48:49], -v[44:45]
	v_add_f64 v[76:77], v[44:45], -v[76:77]
	;; [unrolled: 1-line block ×5, first 2 shown]
	v_add_f64 v[44:45], v[66:67], v[44:45]
	v_add_f64 v[44:45], v[78:79], v[44:45]
	v_mul_f64 v[44:45], v[72:73], v[44:45]
	v_add_f64 v[48:49], v[74:75], v[44:45]
	v_add_f64 v[66:67], v[48:49], -v[74:75]
	v_mul_f64 v[72:73], v[48:49], v[48:49]
	v_add_f64 v[44:45], v[44:45], -v[66:67]
	v_fma_f64 v[66:67], v[48:49], v[48:49], -v[72:73]
	v_add_f64 v[76:77], v[44:45], v[44:45]
	v_fmac_f64_e32 v[66:67], v[48:49], v[76:77]
	v_add_f64 v[76:77], v[72:73], v[66:67]
	v_add_f64 v[72:73], v[76:77], -v[72:73]
	v_fma_f64 v[80:81], s[20:21], v[76:77], v[10:11]
	v_mul_f64 v[82:83], v[48:49], v[76:77]
	v_add_f64 v[66:67], v[66:67], -v[72:73]
	v_fma_f64 v[72:73], v[76:77], v[80:81], s[24:25]
	v_fma_f64 v[80:81], v[76:77], v[48:49], -v[82:83]
	v_fma_f64 v[72:73], v[76:77], v[72:73], s[26:27]
	v_ldexp_f64 v[78:79], v[44:45], 1
	v_fmac_f64_e32 v[80:81], v[76:77], v[44:45]
	v_fma_f64 v[44:45], v[76:77], v[72:73], s[28:29]
	v_fma_f64 v[44:45], v[76:77], v[44:45], s[30:31]
	v_fmac_f64_e32 v[80:81], v[66:67], v[48:49]
	v_fma_f64 v[44:45], v[76:77], v[44:45], s[34:35]
	v_ldexp_f64 v[74:75], v[48:49], 1
	v_add_f64 v[48:49], v[82:83], v[80:81]
	v_fma_f64 v[44:45], v[76:77], v[44:45], s[36:37]
	v_add_f64 v[72:73], v[48:49], -v[82:83]
	v_fma_f64 v[44:45], v[76:77], v[44:45], s[38:39]
	v_add_f64 v[72:73], v[80:81], -v[72:73]
	v_mul_f64 v[80:81], v[76:77], v[44:45]
	v_fma_f64 v[76:77], v[76:77], v[44:45], -v[80:81]
	v_fmac_f64_e32 v[76:77], v[66:67], v[44:45]
	v_add_f64 v[44:45], v[80:81], v[76:77]
	v_add_f64 v[66:67], v[44:45], -v[80:81]
	v_add_f64 v[80:81], v[44:45], s[18:19]
	v_add_f64 v[66:67], v[76:77], -v[66:67]
	;; [unrolled: 2-line block ×3, first 2 shown]
	v_add_f64 v[66:67], v[66:67], s[50:51]
	v_add_f64 v[44:45], v[66:67], v[44:45]
	v_add_f64 v[66:67], v[80:81], v[44:45]
	v_add_f64 v[76:77], v[80:81], -v[66:67]
	v_mul_f64 v[80:81], v[48:49], v[66:67]
	v_add_f64 v[44:45], v[44:45], v[76:77]
	v_fma_f64 v[76:77], v[48:49], v[66:67], -v[80:81]
	v_fmac_f64_e32 v[76:77], v[48:49], v[44:45]
	v_fmac_f64_e32 v[76:77], v[72:73], v[66:67]
	v_add_f64 v[44:45], v[80:81], v[76:77]
	v_add_f64 v[48:49], v[44:45], -v[80:81]
	v_add_f64 v[66:67], v[74:75], v[44:45]
	v_add_f64 v[48:49], v[76:77], -v[48:49]
	v_add_f64 v[72:73], v[66:67], -v[74:75]
	;; [unrolled: 1-line block ×3, first 2 shown]
	v_add_f64 v[48:49], v[78:79], v[48:49]
	v_add_f64 v[44:45], v[48:49], v[44:45]
	;; [unrolled: 1-line block ×3, first 2 shown]
	v_add_f64 v[66:67], v[48:49], -v[66:67]
	v_add_f64 v[72:73], v[68:69], v[48:49]
	v_add_f64 v[44:45], v[44:45], -v[66:67]
	v_add_f64 v[66:67], v[72:73], -v[68:69]
	;; [unrolled: 1-line block ×4, first 2 shown]
	v_add_f64 v[66:67], v[70:71], v[44:45]
	v_add_f64 v[68:69], v[68:69], -v[74:75]
	v_add_f64 v[74:75], v[66:67], -v[70:71]
	v_add_f64 v[48:49], v[48:49], v[68:69]
	v_add_f64 v[68:69], v[66:67], -v[74:75]
	v_add_f64 v[48:49], v[66:67], v[48:49]
	v_add_f64 v[44:45], v[44:45], -v[74:75]
	v_add_f64 v[68:69], v[70:71], -v[68:69]
	v_add_f64 v[66:67], v[72:73], v[48:49]
	v_add_f64 v[44:45], v[44:45], v[68:69]
	v_add_f64 v[68:69], v[66:67], -v[72:73]
	v_add_f64 v[48:49], v[48:49], -v[68:69]
	v_add_f64 v[74:75], v[50:51], 1.0
	v_add_f64 v[44:45], v[44:45], v[48:49]
	v_rcp_f64_e32 v[80:81], v[74:75]
	v_add_f64 v[48:49], v[66:67], v[44:45]
	v_add_f64 v[66:67], v[48:49], -v[66:67]
	v_mul_f64 v[68:69], v[20:21], v[48:49]
	v_add_f64 v[44:45], v[44:45], -v[66:67]
	v_fma_f64 v[66:67], v[20:21], v[48:49], -v[68:69]
	v_cvt_f64_i32_e32 v[48:49], v84
	v_add_f64 v[78:79], v[74:75], -1.0
	v_add_f64 v[72:73], v[50:51], -1.0
	v_mul_f64 v[76:77], v[48:49], s[40:41]
	v_add_f64 v[50:51], v[50:51], -v[78:79]
	v_fma_f64 v[78:79], -v[74:75], v[80:81], 1.0
	v_fma_f64 v[82:83], v[48:49], s[40:41], -v[76:77]
	v_fmac_f64_e32 v[80:81], v[78:79], v[80:81]
	v_fmac_f64_e32 v[82:83], s[44:45], v[48:49]
	v_fma_f64 v[78:79], -v[74:75], v[80:81], 1.0
	v_add_f64 v[48:49], v[76:77], v[82:83]
	v_fmac_f64_e32 v[80:81], v[78:79], v[80:81]
	v_add_f64 v[76:77], v[48:49], -v[76:77]
	v_mul_f64 v[78:79], v[72:73], v[80:81]
	v_add_f64 v[76:77], v[82:83], -v[76:77]
	v_mul_f64 v[82:83], v[74:75], v[78:79]
	v_fma_f64 v[74:75], v[78:79], v[74:75], -v[82:83]
	v_fmac_f64_e32 v[74:75], v[78:79], v[50:51]
	v_add_f64 v[50:51], v[82:83], v[74:75]
	v_add_f64 v[84:85], v[72:73], -v[50:51]
	v_add_f64 v[82:83], v[50:51], -v[82:83]
	v_add_f64 v[72:73], v[72:73], -v[84:85]
	v_add_f64 v[74:75], v[82:83], -v[74:75]
	v_add_f64 v[50:51], v[72:73], -v[50:51]
	v_add_f64 v[50:51], v[74:75], v[50:51]
	v_add_f64 v[50:51], v[84:85], v[50:51]
	v_mul_f64 v[50:51], v[80:81], v[50:51]
	v_add_f64 v[72:73], v[78:79], v[50:51]
	v_add_f64 v[74:75], v[72:73], -v[78:79]
	v_mul_f64 v[78:79], v[72:73], v[72:73]
	v_add_f64 v[50:51], v[50:51], -v[74:75]
	v_fma_f64 v[74:75], v[72:73], v[72:73], -v[78:79]
	v_add_f64 v[82:83], v[50:51], v[50:51]
	v_fmac_f64_e32 v[74:75], v[72:73], v[82:83]
	v_add_f64 v[82:83], v[78:79], v[74:75]
	v_add_f64 v[78:79], v[82:83], -v[78:79]
	v_fma_f64 v[86:87], s[20:21], v[82:83], v[10:11]
	v_mul_f64 v[88:89], v[72:73], v[82:83]
	v_add_f64 v[74:75], v[74:75], -v[78:79]
	v_fma_f64 v[78:79], v[82:83], v[86:87], s[24:25]
	v_fma_f64 v[86:87], v[82:83], v[72:73], -v[88:89]
	v_fma_f64 v[78:79], v[82:83], v[78:79], s[26:27]
	v_ldexp_f64 v[84:85], v[50:51], 1
	v_fmac_f64_e32 v[86:87], v[82:83], v[50:51]
	v_fma_f64 v[50:51], v[82:83], v[78:79], s[28:29]
	v_fma_f64 v[50:51], v[82:83], v[50:51], s[30:31]
	v_fmac_f64_e32 v[86:87], v[74:75], v[72:73]
	v_fma_f64 v[50:51], v[82:83], v[50:51], s[34:35]
	v_ldexp_f64 v[80:81], v[72:73], 1
	v_add_f64 v[72:73], v[88:89], v[86:87]
	v_fma_f64 v[50:51], v[82:83], v[50:51], s[36:37]
	v_add_f64 v[78:79], v[72:73], -v[88:89]
	v_fma_f64 v[50:51], v[82:83], v[50:51], s[38:39]
	v_add_f64 v[78:79], v[86:87], -v[78:79]
	v_mul_f64 v[86:87], v[82:83], v[50:51]
	v_fma_f64 v[82:83], v[82:83], v[50:51], -v[86:87]
	v_fmac_f64_e32 v[82:83], v[74:75], v[50:51]
	v_add_f64 v[50:51], v[86:87], v[82:83]
	v_add_f64 v[74:75], v[50:51], -v[86:87]
	v_add_f64 v[86:87], v[50:51], s[18:19]
	v_add_f64 v[74:75], v[82:83], -v[74:75]
	;; [unrolled: 2-line block ×3, first 2 shown]
	v_add_f64 v[74:75], v[74:75], s[50:51]
	v_add_f64 v[50:51], v[74:75], v[50:51]
	v_add_f64 v[74:75], v[86:87], v[50:51]
	v_add_f64 v[82:83], v[86:87], -v[74:75]
	v_mul_f64 v[86:87], v[72:73], v[74:75]
	v_add_f64 v[50:51], v[50:51], v[82:83]
	v_fma_f64 v[82:83], v[72:73], v[74:75], -v[86:87]
	v_fmac_f64_e32 v[82:83], v[72:73], v[50:51]
	v_fmac_f64_e32 v[82:83], v[78:79], v[74:75]
	v_add_f64 v[50:51], v[86:87], v[82:83]
	v_add_f64 v[72:73], v[50:51], -v[86:87]
	v_add_f64 v[74:75], v[80:81], v[50:51]
	v_add_f64 v[72:73], v[82:83], -v[72:73]
	v_add_f64 v[78:79], v[74:75], -v[80:81]
	;; [unrolled: 1-line block ×3, first 2 shown]
	v_add_f64 v[72:73], v[84:85], v[72:73]
	v_add_f64 v[50:51], v[72:73], v[50:51]
	;; [unrolled: 1-line block ×3, first 2 shown]
	v_add_f64 v[74:75], v[72:73], -v[74:75]
	v_add_f64 v[78:79], v[48:49], v[72:73]
	v_add_f64 v[50:51], v[50:51], -v[74:75]
	v_add_f64 v[74:75], v[78:79], -v[48:49]
	;; [unrolled: 1-line block ×4, first 2 shown]
	v_add_f64 v[74:75], v[76:77], v[50:51]
	v_add_f64 v[48:49], v[48:49], -v[80:81]
	v_add_f64 v[80:81], v[74:75], -v[76:77]
	v_add_f64 v[48:49], v[72:73], v[48:49]
	v_add_f64 v[72:73], v[74:75], -v[80:81]
	v_add_f64 v[50:51], v[50:51], -v[80:81]
	;; [unrolled: 1-line block ×3, first 2 shown]
	v_add_f64 v[48:49], v[74:75], v[48:49]
	v_add_f64 v[50:51], v[50:51], v[72:73]
	;; [unrolled: 1-line block ×3, first 2 shown]
	v_add_f64 v[74:75], v[72:73], -v[78:79]
	v_add_f64 v[48:49], v[48:49], -v[74:75]
	v_add_f64 v[48:49], v[50:51], v[48:49]
	v_fmac_f64_e32 v[66:67], v[20:21], v[44:45]
	v_add_f64 v[50:51], v[72:73], v[48:49]
	v_add_f64 v[70:71], v[68:69], v[66:67]
	v_cmp_class_f64_e64 s[8:9], v[68:69], s92
	v_add_f64 v[72:73], v[50:51], -v[72:73]
	v_mul_f64 v[74:75], v[18:19], v[50:51]
	v_cndmask_b32_e64 v45, v71, v69, s[8:9]
	v_cndmask_b32_e64 v44, v70, v68, s[8:9]
	v_add_f64 v[48:49], v[48:49], -v[72:73]
	v_fma_f64 v[72:73], v[18:19], v[50:51], -v[74:75]
	v_add_f64 v[50:51], v[70:71], -v[68:69]
	v_add_f64 v[70:71], v[64:65], 1.0
	v_rcp_f64_e32 v[82:83], v[70:71]
	v_add_f64 v[50:51], v[66:67], -v[50:51]
	v_cvt_f64_i32_e32 v[66:67], v90
	v_add_f64 v[80:81], v[70:71], -1.0
	v_add_f64 v[68:69], v[64:65], -1.0
	v_mul_f64 v[78:79], v[66:67], s[40:41]
	v_add_f64 v[64:65], v[64:65], -v[80:81]
	v_fma_f64 v[80:81], -v[70:71], v[82:83], 1.0
	v_fma_f64 v[84:85], v[66:67], s[40:41], -v[78:79]
	v_fmac_f64_e32 v[82:83], v[80:81], v[82:83]
	v_fmac_f64_e32 v[84:85], s[44:45], v[66:67]
	v_fma_f64 v[80:81], -v[70:71], v[82:83], 1.0
	v_add_f64 v[66:67], v[78:79], v[84:85]
	v_fmac_f64_e32 v[82:83], v[80:81], v[82:83]
	v_add_f64 v[78:79], v[66:67], -v[78:79]
	v_mul_f64 v[80:81], v[68:69], v[82:83]
	v_add_f64 v[78:79], v[84:85], -v[78:79]
	v_mul_f64 v[84:85], v[70:71], v[80:81]
	v_fma_f64 v[70:71], v[80:81], v[70:71], -v[84:85]
	v_fmac_f64_e32 v[70:71], v[80:81], v[64:65]
	v_add_f64 v[64:65], v[84:85], v[70:71]
	v_add_f64 v[86:87], v[68:69], -v[64:65]
	v_add_f64 v[84:85], v[64:65], -v[84:85]
	;; [unrolled: 1-line block ×5, first 2 shown]
	v_add_f64 v[64:65], v[70:71], v[64:65]
	v_add_f64 v[64:65], v[86:87], v[64:65]
	v_mul_f64 v[64:65], v[82:83], v[64:65]
	v_add_f64 v[68:69], v[80:81], v[64:65]
	v_add_f64 v[70:71], v[68:69], -v[80:81]
	v_mul_f64 v[80:81], v[68:69], v[68:69]
	v_add_f64 v[64:65], v[64:65], -v[70:71]
	v_fma_f64 v[70:71], v[68:69], v[68:69], -v[80:81]
	v_add_f64 v[84:85], v[64:65], v[64:65]
	v_fmac_f64_e32 v[70:71], v[68:69], v[84:85]
	v_add_f64 v[84:85], v[80:81], v[70:71]
	v_add_f64 v[80:81], v[84:85], -v[80:81]
	v_mul_f64 v[88:89], v[68:69], v[84:85]
	v_add_f64 v[70:71], v[70:71], -v[80:81]
	v_fma_f64 v[80:81], v[84:85], v[68:69], -v[88:89]
	v_ldexp_f64 v[86:87], v[64:65], 1
	v_fmac_f64_e32 v[80:81], v[84:85], v[64:65]
	v_fma_f64 v[64:65], s[20:21], v[84:85], v[10:11]
	v_fma_f64 v[64:65], v[84:85], v[64:65], s[24:25]
	;; [unrolled: 1-line block ×5, first 2 shown]
	v_fmac_f64_e32 v[80:81], v[70:71], v[68:69]
	v_fma_f64 v[64:65], v[84:85], v[64:65], s[34:35]
	v_ldexp_f64 v[82:83], v[68:69], 1
	v_add_f64 v[68:69], v[88:89], v[80:81]
	v_fma_f64 v[64:65], v[84:85], v[64:65], s[36:37]
	v_add_f64 v[88:89], v[68:69], -v[88:89]
	v_fma_f64 v[64:65], v[84:85], v[64:65], s[38:39]
	v_add_f64 v[80:81], v[80:81], -v[88:89]
	v_mul_f64 v[88:89], v[84:85], v[64:65]
	v_fma_f64 v[84:85], v[84:85], v[64:65], -v[88:89]
	v_fmac_f64_e32 v[84:85], v[70:71], v[64:65]
	v_add_f64 v[64:65], v[88:89], v[84:85]
	v_add_f64 v[70:71], v[64:65], -v[88:89]
	v_add_f64 v[88:89], v[64:65], s[18:19]
	v_add_f64 v[70:71], v[84:85], -v[70:71]
	;; [unrolled: 2-line block ×3, first 2 shown]
	v_add_f64 v[70:71], v[70:71], s[50:51]
	v_add_f64 v[64:65], v[70:71], v[64:65]
	;; [unrolled: 1-line block ×3, first 2 shown]
	v_add_f64 v[84:85], v[88:89], -v[70:71]
	v_mul_f64 v[88:89], v[68:69], v[70:71]
	v_add_f64 v[64:65], v[64:65], v[84:85]
	v_fma_f64 v[84:85], v[68:69], v[70:71], -v[88:89]
	v_fmac_f64_e32 v[84:85], v[68:69], v[64:65]
	v_fmac_f64_e32 v[84:85], v[80:81], v[70:71]
	v_add_f64 v[64:65], v[88:89], v[84:85]
	v_add_f64 v[68:69], v[64:65], -v[88:89]
	v_add_f64 v[70:71], v[82:83], v[64:65]
	v_add_f64 v[68:69], v[84:85], -v[68:69]
	v_add_f64 v[80:81], v[70:71], -v[82:83]
	;; [unrolled: 1-line block ×3, first 2 shown]
	v_add_f64 v[68:69], v[86:87], v[68:69]
	v_add_f64 v[64:65], v[68:69], v[64:65]
	;; [unrolled: 1-line block ×3, first 2 shown]
	v_add_f64 v[70:71], v[68:69], -v[70:71]
	v_add_f64 v[80:81], v[66:67], v[68:69]
	v_add_f64 v[64:65], v[64:65], -v[70:71]
	v_add_f64 v[70:71], v[80:81], -v[66:67]
	;; [unrolled: 1-line block ×4, first 2 shown]
	v_add_f64 v[70:71], v[78:79], v[64:65]
	v_add_f64 v[66:67], v[66:67], -v[82:83]
	v_add_f64 v[82:83], v[70:71], -v[78:79]
	v_add_f64 v[66:67], v[68:69], v[66:67]
	v_add_f64 v[68:69], v[70:71], -v[82:83]
	v_mul_f64 v[46:47], v[46:47], v[4:5]
	v_add_f64 v[68:69], v[78:79], -v[68:69]
	v_add_f64 v[78:79], v[46:47], 1.0
	v_fmac_f64_e32 v[72:73], v[18:19], v[48:49]
	v_rcp_f64_e32 v[84:85], v[78:79]
	v_add_f64 v[76:77], v[74:75], v[72:73]
	v_cmp_class_f64_e64 s[8:9], v[74:75], s92
	v_cndmask_b32_e64 v49, v77, v75, s[8:9]
	v_cndmask_b32_e64 v48, v76, v74, s[8:9]
	v_add_f64 v[64:65], v[64:65], -v[82:83]
	v_add_f64 v[66:67], v[70:71], v[66:67]
	v_add_f64 v[74:75], v[76:77], -v[74:75]
	v_add_f64 v[64:65], v[64:65], v[68:69]
	v_add_f64 v[68:69], v[80:81], v[66:67]
	v_add_f64 v[72:73], v[72:73], -v[74:75]
	v_cvt_f64_i32_e32 v[74:75], v91
	v_add_f64 v[82:83], v[78:79], -1.0
	v_add_f64 v[70:71], v[68:69], -v[80:81]
	v_add_f64 v[76:77], v[46:47], -1.0
	v_mul_f64 v[80:81], v[74:75], s[40:41]
	v_add_f64 v[46:47], v[46:47], -v[82:83]
	v_fma_f64 v[82:83], -v[78:79], v[84:85], 1.0
	v_fma_f64 v[86:87], v[74:75], s[40:41], -v[80:81]
	v_fmac_f64_e32 v[84:85], v[82:83], v[84:85]
	v_fmac_f64_e32 v[86:87], s[44:45], v[74:75]
	v_fma_f64 v[82:83], -v[78:79], v[84:85], 1.0
	v_add_f64 v[74:75], v[80:81], v[86:87]
	v_fmac_f64_e32 v[84:85], v[82:83], v[84:85]
	v_add_f64 v[80:81], v[74:75], -v[80:81]
	v_mul_f64 v[82:83], v[76:77], v[84:85]
	v_add_f64 v[80:81], v[86:87], -v[80:81]
	v_mul_f64 v[86:87], v[78:79], v[82:83]
	v_fma_f64 v[78:79], v[82:83], v[78:79], -v[86:87]
	v_fmac_f64_e32 v[78:79], v[82:83], v[46:47]
	v_add_f64 v[46:47], v[86:87], v[78:79]
	v_add_f64 v[88:89], v[76:77], -v[46:47]
	v_add_f64 v[86:87], v[46:47], -v[86:87]
	;; [unrolled: 1-line block ×5, first 2 shown]
	v_add_f64 v[46:47], v[78:79], v[46:47]
	v_add_f64 v[46:47], v[88:89], v[46:47]
	v_mul_f64 v[46:47], v[84:85], v[46:47]
	v_add_f64 v[76:77], v[82:83], v[46:47]
	v_add_f64 v[78:79], v[76:77], -v[82:83]
	v_mul_f64 v[82:83], v[76:77], v[76:77]
	v_add_f64 v[46:47], v[46:47], -v[78:79]
	v_fma_f64 v[78:79], v[76:77], v[76:77], -v[82:83]
	v_add_f64 v[86:87], v[46:47], v[46:47]
	v_fmac_f64_e32 v[78:79], v[76:77], v[86:87]
	v_add_f64 v[86:87], v[82:83], v[78:79]
	v_add_f64 v[82:83], v[86:87], -v[82:83]
	v_mul_f64 v[90:91], v[76:77], v[86:87]
	v_add_f64 v[78:79], v[78:79], -v[82:83]
	v_fma_f64 v[82:83], v[86:87], v[76:77], -v[90:91]
	v_ldexp_f64 v[88:89], v[46:47], 1
	v_fmac_f64_e32 v[82:83], v[86:87], v[46:47]
	v_fma_f64 v[46:47], s[20:21], v[86:87], v[10:11]
	v_fma_f64 v[46:47], v[86:87], v[46:47], s[24:25]
	;; [unrolled: 1-line block ×5, first 2 shown]
	v_fmac_f64_e32 v[82:83], v[78:79], v[76:77]
	v_fma_f64 v[46:47], v[86:87], v[46:47], s[34:35]
	v_ldexp_f64 v[84:85], v[76:77], 1
	v_add_f64 v[76:77], v[90:91], v[82:83]
	v_fma_f64 v[46:47], v[86:87], v[46:47], s[36:37]
	v_add_f64 v[90:91], v[76:77], -v[90:91]
	v_fma_f64 v[46:47], v[86:87], v[46:47], s[38:39]
	v_add_f64 v[82:83], v[82:83], -v[90:91]
	v_mul_f64 v[90:91], v[86:87], v[46:47]
	v_fma_f64 v[86:87], v[86:87], v[46:47], -v[90:91]
	v_fmac_f64_e32 v[86:87], v[78:79], v[46:47]
	v_add_f64 v[46:47], v[90:91], v[86:87]
	v_add_f64 v[78:79], v[46:47], -v[90:91]
	v_add_f64 v[90:91], v[46:47], s[18:19]
	v_add_f64 v[78:79], v[86:87], -v[78:79]
	;; [unrolled: 2-line block ×3, first 2 shown]
	v_add_f64 v[78:79], v[78:79], s[50:51]
	v_add_f64 v[46:47], v[78:79], v[46:47]
	;; [unrolled: 1-line block ×3, first 2 shown]
	v_add_f64 v[86:87], v[90:91], -v[78:79]
	v_mul_f64 v[90:91], v[76:77], v[78:79]
	v_add_f64 v[46:47], v[46:47], v[86:87]
	v_fma_f64 v[86:87], v[76:77], v[78:79], -v[90:91]
	v_fmac_f64_e32 v[86:87], v[76:77], v[46:47]
	v_fmac_f64_e32 v[86:87], v[82:83], v[78:79]
	v_add_f64 v[66:67], v[66:67], -v[70:71]
	v_add_f64 v[46:47], v[90:91], v[86:87]
	v_add_f64 v[64:65], v[64:65], v[66:67]
	v_add_f64 v[76:77], v[46:47], -v[90:91]
	v_add_f64 v[78:79], v[84:85], v[46:47]
	v_add_f64 v[66:67], v[68:69], v[64:65]
	v_add_f64 v[76:77], v[86:87], -v[76:77]
	v_add_f64 v[82:83], v[78:79], -v[84:85]
	;; [unrolled: 1-line block ×3, first 2 shown]
	v_mul_f64 v[70:71], v[0:1], v[66:67]
	v_add_f64 v[46:47], v[46:47], -v[82:83]
	v_add_f64 v[76:77], v[88:89], v[76:77]
	v_add_f64 v[64:65], v[64:65], -v[68:69]
	v_fma_f64 v[66:67], v[0:1], v[66:67], -v[70:71]
	v_add_f64 v[46:47], v[76:77], v[46:47]
	v_cmp_neq_f64_e64 s[8:9], |v[44:45]|, s[52:53]
	v_fmac_f64_e32 v[66:67], v[0:1], v[64:65]
	v_add_f64 v[76:77], v[78:79], v[46:47]
	v_cndmask_b32_e64 v51, 0, v51, s[8:9]
	v_cndmask_b32_e64 v50, 0, v50, s[8:9]
	v_add_f64 v[64:65], v[70:71], v[66:67]
	v_cmp_class_f64_e64 s[8:9], v[70:71], s92
	v_add_f64 v[78:79], v[76:77], -v[78:79]
	v_add_f64 v[82:83], v[74:75], v[76:77]
	v_cndmask_b32_e64 v69, v65, v71, s[8:9]
	v_cndmask_b32_e64 v68, v64, v70, s[8:9]
	v_add_f64 v[46:47], v[46:47], -v[78:79]
	v_add_f64 v[78:79], v[82:83], -v[74:75]
	;; [unrolled: 1-line block ×5, first 2 shown]
	v_add_f64 v[78:79], v[80:81], v[46:47]
	v_add_f64 v[64:65], v[66:67], -v[64:65]
	v_mul_f64 v[66:67], v[44:45], s[54:55]
	v_add_f64 v[74:75], v[74:75], -v[84:85]
	v_add_f64 v[84:85], v[78:79], -v[80:81]
	v_rndne_f64_e32 v[66:67], v[66:67]
	v_add_f64 v[74:75], v[76:77], v[74:75]
	v_add_f64 v[76:77], v[78:79], -v[84:85]
	v_fma_f64 v[70:71], s[42:43], v[66:67], v[44:45]
	v_add_f64 v[46:47], v[46:47], -v[84:85]
	v_add_f64 v[76:77], v[80:81], -v[76:77]
	v_add_f64 v[74:75], v[78:79], v[74:75]
	v_fmac_f64_e32 v[70:71], s[46:47], v[66:67]
	v_add_f64 v[46:47], v[46:47], v[76:77]
	v_add_f64 v[76:77], v[82:83], v[74:75]
	v_cvt_i32_f64_e32 v5, v[66:67]
	v_fma_f64 v[66:67], s[56:57], v[70:71], v[12:13]
	v_add_f64 v[78:79], v[76:77], -v[82:83]
	v_fma_f64 v[66:67], v[70:71], v[66:67], s[58:59]
	v_add_f64 v[74:75], v[74:75], -v[78:79]
	v_fma_f64 v[66:67], v[70:71], v[66:67], s[60:61]
	v_add_f64 v[46:47], v[46:47], v[74:75]
	v_fma_f64 v[66:67], v[70:71], v[66:67], s[62:63]
	v_add_f64 v[74:75], v[76:77], v[46:47]
	v_fma_f64 v[66:67], v[70:71], v[66:67], s[64:65]
	v_add_f64 v[76:77], v[74:75], -v[76:77]
	v_mul_f64 v[78:79], v[2:3], v[74:75]
	v_fma_f64 v[66:67], v[70:71], v[66:67], s[66:67]
	v_add_f64 v[46:47], v[46:47], -v[76:77]
	v_fma_f64 v[74:75], v[2:3], v[74:75], -v[78:79]
	v_fma_f64 v[66:67], v[70:71], v[66:67], s[68:69]
	v_cmp_neq_f64_e64 s[8:9], |v[48:49]|, s[52:53]
	v_fmac_f64_e32 v[74:75], v[2:3], v[46:47]
	v_fma_f64 v[66:67], v[70:71], v[66:67], s[70:71]
	v_cndmask_b32_e64 v73, 0, v73, s[8:9]
	v_cndmask_b32_e64 v72, 0, v72, s[8:9]
	v_add_f64 v[46:47], v[78:79], v[74:75]
	v_cmp_class_f64_e64 s[8:9], v[78:79], s92
	v_fma_f64 v[66:67], v[70:71], v[66:67], s[72:73]
	v_cndmask_b32_e64 v77, v47, v79, s[8:9]
	v_cndmask_b32_e64 v76, v46, v78, s[8:9]
	v_cmp_neq_f64_e64 s[8:9], |v[68:69]|, s[52:53]
	v_add_f64 v[46:47], v[46:47], -v[78:79]
	v_fma_f64 v[66:67], v[70:71], v[66:67], 1.0
	v_cndmask_b32_e64 v65, 0, v65, s[8:9]
	v_cndmask_b32_e64 v64, 0, v64, s[8:9]
	v_add_f64 v[46:47], v[74:75], -v[46:47]
	v_cmp_neq_f64_e64 s[8:9], |v[76:77]|, s[52:53]
	v_fma_f64 v[66:67], v[70:71], v[66:67], 1.0
	v_cndmask_b32_e64 v47, 0, v47, s[8:9]
	v_cndmask_b32_e64 v46, 0, v46, s[8:9]
	v_ldexp_f64 v[66:67], v[66:67], v5
	v_cmp_lt_f64_e64 s[8:9], s[74:75], v[44:45]
	v_cndmask_b32_e64 v63, v67, v56, s[8:9]
	v_and_b32_e32 v67, 0x7fffffff, v67
	v_cndmask_b32_e64 v5, v66, 0, s[8:9]
	v_cmp_eq_f64_e64 s[10:11], s[52:53], v[66:67]
	v_mul_f64 v[66:67], v[48:49], s[54:55]
	v_rndne_f64_e32 v[66:67], v[66:67]
	v_fma_f64 v[70:71], s[42:43], v[66:67], v[48:49]
	v_fmac_f64_e32 v[70:71], s[46:47], v[66:67]
	v_cvt_i32_f64_e32 v74, v[66:67]
	v_fma_f64 v[66:67], s[56:57], v[70:71], v[12:13]
	v_fma_f64 v[66:67], v[70:71], v[66:67], s[58:59]
	;; [unrolled: 1-line block ×8, first 2 shown]
	v_mul_f64 v[80:81], v[68:69], s[54:55]
	v_fma_f64 v[66:67], v[70:71], v[66:67], s[72:73]
	v_rndne_f64_e32 v[80:81], v[80:81]
	v_fma_f64 v[66:67], v[70:71], v[66:67], 1.0
	v_fma_f64 v[82:83], s[42:43], v[80:81], v[68:69]
	v_fma_f64 v[66:67], v[70:71], v[66:67], 1.0
	v_fmac_f64_e32 v[82:83], s[46:47], v[80:81]
	s_or_b64 s[94:95], s[8:9], s[10:11]
	v_ldexp_f64 v[66:67], v[66:67], v74
	v_cmp_lt_f64_e64 s[8:9], s[74:75], v[48:49]
	v_fma_f64 v[84:85], s[56:57], v[82:83], v[12:13]
	v_cndmask_b32_e64 v71, v67, v56, s[8:9]
	v_and_b32_e32 v67, 0x7fffffff, v67
	v_fma_f64 v[84:85], v[82:83], v[84:85], s[58:59]
	v_cmp_eq_f64_e64 s[10:11], s[52:53], v[66:67]
	v_fma_f64 v[84:85], v[82:83], v[84:85], s[60:61]
	v_cndmask_b32_e64 v70, v66, 0, s[8:9]
	s_or_b64 s[10:11], s[8:9], s[10:11]
	v_cmp_ngt_f64_e64 s[8:9], s[76:77], v[44:45]
	v_fma_f64 v[84:85], v[82:83], v[84:85], s[62:63]
	v_cndmask_b32_e64 v45, 0, v63, s[8:9]
	v_cndmask_b32_e64 v44, 0, v5, s[8:9]
	v_fma_f64 v[84:85], v[82:83], v[84:85], s[64:65]
	v_pk_mov_b32 v[66:67], v[44:45], v[44:45] op_sel:[0,1]
	v_fma_f64 v[84:85], v[82:83], v[84:85], s[66:67]
	v_fmac_f64_e32 v[66:67], v[66:67], v[50:51]
	s_and_b64 s[8:9], s[8:9], s[94:95]
	v_fma_f64 v[84:85], v[82:83], v[84:85], s[68:69]
	v_cndmask_b32_e64 v5, v66, v44, s[8:9]
	v_cndmask_b32_e64 v63, v67, v45, s[8:9]
	v_cmp_ngt_f64_e64 s[8:9], s[76:77], v[48:49]
	v_fma_f64 v[84:85], v[82:83], v[84:85], s[70:71]
	v_cndmask_b32_e64 v45, 0, v71, s[8:9]
	v_cndmask_b32_e64 v44, 0, v70, s[8:9]
	v_fma_f64 v[84:85], v[82:83], v[84:85], s[72:73]
	v_pk_mov_b32 v[48:49], v[44:45], v[44:45] op_sel:[0,1]
	v_fma_f64 v[84:85], v[82:83], v[84:85], 1.0
	v_fmac_f64_e32 v[48:49], v[48:49], v[72:73]
	s_and_b64 s[8:9], s[8:9], s[10:11]
	v_fma_f64 v[82:83], v[82:83], v[84:85], 1.0
	v_cvt_i32_f64_e32 v80, v[80:81]
	v_cndmask_b32_e64 v86, v48, v44, s[8:9]
	v_cndmask_b32_e64 v87, v49, v45, s[8:9]
	v_ldexp_f64 v[80:81], v[82:83], v80
	v_cmp_lt_f64_e64 s[8:9], s[74:75], v[68:69]
	v_cndmask_b32_e64 v83, v81, v56, s[8:9]
	v_and_b32_e32 v81, 0x7fffffff, v81
	v_cmp_eq_f64_e64 s[10:11], s[52:53], v[80:81]
	v_cndmask_b32_e64 v82, v80, 0, s[8:9]
	s_or_b64 s[10:11], s[8:9], s[10:11]
	v_cmp_ngt_f64_e64 s[8:9], s[76:77], v[68:69]
	v_cndmask_b32_e64 v69, 0, v83, s[8:9]
	v_cndmask_b32_e64 v68, 0, v82, s[8:9]
	v_mul_f64 v[48:49], v[20:21], 0.5
	v_mul_f64 v[66:67], v[18:19], 0.5
	v_pk_mov_b32 v[82:83], v[68:69], v[68:69] op_sel:[0,1]
	v_trunc_f64_e32 v[80:81], v[48:49]
	v_fmac_f64_e32 v[82:83], v[82:83], v[64:65]
	v_trunc_f64_e32 v[64:65], v[66:67]
	s_and_b64 s[8:9], s[8:9], s[10:11]
	v_cmp_neq_f64_e64 s[10:11], v[80:81], v[48:49]
	v_cndmask_b32_e64 v80, v82, v68, s[8:9]
	v_cndmask_b32_e64 v81, v83, v69, s[8:9]
	v_cmp_neq_f64_e64 s[8:9], v[64:65], v[66:67]
	v_mul_f64 v[64:65], v[76:77], s[54:55]
	v_rndne_f64_e32 v[64:65], v[64:65]
	v_fma_f64 v[66:67], s[42:43], v[64:65], v[76:77]
	v_fmac_f64_e32 v[66:67], s[46:47], v[64:65]
	v_fma_f64 v[68:69], s[56:57], v[66:67], v[12:13]
	v_fma_f64 v[68:69], v[66:67], v[68:69], s[58:59]
	;; [unrolled: 1-line block ×9, first 2 shown]
	v_fma_f64 v[68:69], v[66:67], v[68:69], 1.0
	v_cndmask_b32_e64 v88, v20, 0, s[82:83]
	v_cndmask_b32_e64 v84, v35, 0, s[82:83]
	;; [unrolled: 1-line block ×4, first 2 shown]
	v_fma_f64 v[66:67], v[66:67], v[68:69], 1.0
	v_cndmask_b32_e64 v68, v31, 0, s[14:15]
	v_cndmask_b32_e64 v69, v29, 0, s[12:13]
	v_cmp_eq_f64_e64 s[12:13], 1.0, v[38:39]
	v_cmp_eq_f64_e64 s[14:15], 1.0, v[42:43]
	v_cvt_i32_f64_e32 v64, v[64:65]
	v_cndmask_b32_e64 v89, v18, 0, s[84:85]
	v_cndmask_b32_e64 v85, v33, 0, s[84:85]
	;; [unrolled: 1-line block ×4, first 2 shown]
	v_cmp_eq_f64_e64 s[14:15], 1.0, v[40:41]
	v_cndmask_b32_e64 v69, v69, v39, s[12:13]
	v_cndmask_b32_e64 v83, v83, v38, s[12:13]
	v_ldexp_f64 v[64:65], v[66:67], v64
	v_cmp_lt_f64_e64 s[12:13], s[74:75], v[76:77]
	v_cndmask_b32_e64 v85, v85, v41, s[14:15]
	v_cndmask_b32_e64 v89, v89, v40, s[14:15]
	v_cmp_eq_f64_e64 s[14:15], 1.0, v[36:37]
	v_cndmask_b32_e64 v67, v65, v56, s[12:13]
	v_and_b32_e32 v65, 0x7fffffff, v65
	v_trunc_f64_e32 v[44:45], v[20:21]
	v_cndmask_b32_e64 v68, v68, v37, s[14:15]
	v_cndmask_b32_e64 v82, v82, v36, s[14:15]
	v_cmp_eq_f64_e64 s[14:15], s[52:53], v[64:65]
	v_cndmask_b32_e64 v66, v64, 0, s[12:13]
	s_or_b64 s[14:15], s[12:13], s[14:15]
	v_cmp_eq_f64_e64 s[12:13], v[44:45], v[20:21]
	s_and_b64 s[10:11], s[12:13], s[10:11]
	v_cndmask_b32_e64 v91, v9, v27, s[10:11]
	v_cndmask_b32_e64 v92, 0, v27, s[10:11]
	v_cmp_ngt_f64_e64 s[10:11], s[76:77], v[76:77]
	v_trunc_f64_e32 v[50:51], v[18:19]
	v_cndmask_b32_e64 v45, 0, v67, s[10:11]
	v_cndmask_b32_e64 v44, 0, v66, s[10:11]
	s_and_b64 s[10:11], s[10:11], s[14:15]
	v_cmp_eq_f64_e64 s[14:15], s[52:53], v[42:43]
	v_bfi_b32 v42, s89, v63, v91
	v_cndmask_b32_e64 v90, 0, v5, s[12:13]
	v_pk_mov_b32 v[64:65], v[44:45], v[44:45] op_sel:[0,1]
	v_cndmask_b32_e64 v43, v57, v42, s[12:13]
	v_cmp_eq_f64_e64 s[12:13], v[50:51], v[18:19]
	v_fmac_f64_e32 v[64:65], v[64:65], v[46:47]
	s_and_b64 s[8:9], s[12:13], s[8:9]
	v_mul_f64 v[72:73], v[0:1], 0.5
	v_cndmask_b32_e64 v51, v9, v25, s[8:9]
	v_cndmask_b32_e64 v63, 0, v25, s[8:9]
	v_cmp_eq_f64_e64 s[8:9], s[52:53], v[40:41]
	v_cndmask_b32_e64 v40, v64, v44, s[10:11]
	v_cndmask_b32_e64 v41, v65, v45, s[10:11]
	v_cmp_gt_f64_e64 s[10:11], 0, v[26:27]
	v_trunc_f64_e32 v[70:71], v[0:1]
	v_trunc_f64_e32 v[48:49], v[72:73]
	v_cndmask_b32_e64 v42, v42, v43, s[10:11]
	v_bfi_b32 v43, s89, v87, v51
	v_cndmask_b32_e64 v50, 0, v86, s[12:13]
	v_cndmask_b32_e64 v5, v5, v90, s[10:11]
	v_cmp_neq_f64_e64 s[10:11], v[48:49], v[72:73]
	v_cndmask_b32_e64 v44, v57, v43, s[12:13]
	v_cmp_eq_f64_e64 s[12:13], v[70:71], v[0:1]
	s_and_b64 s[10:11], s[12:13], s[10:11]
	v_cndmask_b32_e64 v48, v9, v23, s[10:11]
	v_cndmask_b32_e64 v49, 0, v23, s[10:11]
	v_cmp_eq_f64_e64 s[10:11], s[52:53], v[34:35]
	v_mul_f64 v[78:79], v[2:3], 0.5
	v_cndmask_b32_e64 v5, v5, v88, s[10:11]
	v_cndmask_b32_e64 v34, v42, v84, s[10:11]
	v_cmp_gt_f64_e64 s[10:11], 0, v[24:25]
	v_trunc_f64_e32 v[74:75], v[2:3]
	v_trunc_f64_e32 v[46:47], v[78:79]
	v_cndmask_b32_e64 v35, v43, v44, s[10:11]
	v_bfi_b32 v43, s89, v81, v48
	v_cndmask_b32_e64 v45, 0, v80, s[12:13]
	v_cndmask_b32_e64 v42, v86, v50, s[10:11]
	v_cmp_neq_f64_e64 s[10:11], v[46:47], v[78:79]
	v_cndmask_b32_e64 v44, v57, v43, s[12:13]
	v_cmp_eq_f64_e64 s[12:13], v[74:75], v[2:3]
	s_and_b64 s[10:11], s[12:13], s[10:11]
	v_cndmask_b32_e64 v47, v9, v17, s[10:11]
	v_cndmask_b32_e64 v48, 0, v17, s[10:11]
	v_cmp_eq_f64_e64 s[10:11], s[52:53], v[36:37]
	v_bfi_b32 v36, s89, v60, v92
	s_or_b64 s[6:7], s[14:15], s[6:7]
	v_cmp_eq_f64_e64 s[14:15], s[52:53], v[38:39]
	v_cndmask_b32_e64 v34, v34, v36, s[6:7]
	v_cndmask_b32_e64 v5, v5, 0, s[6:7]
	v_cmp_eq_f64_e64 s[6:7], s[52:53], v[32:33]
	v_bfi_b32 v39, s89, v41, v47
	v_cndmask_b32_e64 v32, v42, v89, s[6:7]
	v_cndmask_b32_e64 v33, v35, v85, s[6:7]
	v_cmp_gt_f64_e64 s[6:7], 0, v[22:23]
	s_or_b64 s[4:5], s[8:9], s[4:5]
	s_or_b64 s[2:3], s[10:11], s[2:3]
	;; [unrolled: 1-line block ×3, first 2 shown]
	v_cndmask_b32_e64 v46, 0, v40, s[12:13]
	v_bfi_b32 v37, s89, v61, v63
	v_cndmask_b32_e64 v35, v43, v44, s[6:7]
	v_cndmask_b32_e64 v36, v80, v45, s[6:7]
	v_cmp_eq_f64_e64 s[6:7], s[52:53], v[30:31]
	v_cndmask_b32_e64 v30, v57, v39, s[12:13]
	v_cmp_gt_f64_e64 s[8:9], 0, v[16:17]
	v_cmp_o_f64_e64 s[12:13], v[26:27], v[20:21]
	s_add_u32 s33, s33, s91
	v_bfi_b32 v38, s89, v62, v49
	v_cndmask_b32_e64 v26, 0, v5, s[12:13]
	v_cndmask_b32_e64 v5, v33, v37, s[4:5]
	v_cndmask_b32_e64 v20, v32, 0, s[4:5]
	v_cndmask_b32_e64 v21, v36, v82, s[6:7]
	v_cndmask_b32_e64 v32, v35, v68, s[6:7]
	v_cndmask_b32_e64 v30, v39, v30, s[8:9]
	v_cndmask_b32_e64 v33, v40, v46, s[8:9]
	v_cmp_eq_f64_e64 s[4:5], s[52:53], v[28:29]
	v_cmp_o_f64_e64 s[6:7], v[24:25], v[18:19]
	s_addc_u32 s86, s86, 0
	v_bfi_b32 v31, s89, v59, v48
	v_cndmask_b32_e64 v28, 0, v20, s[6:7]
	v_cndmask_b32_e64 v29, v57, v5, s[6:7]
	;; [unrolled: 1-line block ×6, first 2 shown]
	v_cmp_o_f64_e64 s[2:3], v[22:23], v[0:1]
	s_add_u32 s87, s87, s91
	v_cndmask_b32_e64 v0, 0, v18, s[2:3]
	v_cndmask_b32_e64 v1, v57, v5, s[2:3]
	;; [unrolled: 1-line block ×4, first 2 shown]
	v_cmp_o_f64_e64 s[0:1], v[16:17], v[2:3]
	s_addc_u32 s88, s88, 0
	v_cndmask_b32_e64 v2, 0, v18, s[0:1]
	v_cndmask_b32_e64 v3, v57, v5, s[0:1]
	s_and_b64 s[0:1], exec, s[80:81]
	v_cndmask_b32_e64 v27, v57, v34, s[12:13]
	s_or_b64 s[16:17], s[0:1], s[16:17]
	global_store_dwordx4 v[14:15], v[26:29], off
	global_store_dwordx4 v[14:15], v[0:3], off offset:16
	s_andn2_b64 exec, exec, s[16:17]
	s_cbranch_execnz .LBB77_24
.LBB77_25:
	s_endpgm
	.section	.rodata,"a",@progbits
	.p2align	6, 0x0
	.amdhsa_kernel _ZN2at6native12_GLOBAL__N_125multi_tensor_apply_kernelINS1_18TensorListMetadataILi2EEENS1_21BinaryOpScalarFunctorIdLi2ELi1ELi1EEEJNS1_21reverse_power_functorIdEEdEEEvT_T0_DpT1_
		.amdhsa_group_segment_fixed_size 0
		.amdhsa_private_segment_fixed_size 0
		.amdhsa_kernarg_size 3416
		.amdhsa_user_sgpr_count 6
		.amdhsa_user_sgpr_private_segment_buffer 1
		.amdhsa_user_sgpr_dispatch_ptr 0
		.amdhsa_user_sgpr_queue_ptr 0
		.amdhsa_user_sgpr_kernarg_segment_ptr 1
		.amdhsa_user_sgpr_dispatch_id 0
		.amdhsa_user_sgpr_flat_scratch_init 0
		.amdhsa_user_sgpr_kernarg_preload_length 0
		.amdhsa_user_sgpr_kernarg_preload_offset 0
		.amdhsa_user_sgpr_private_segment_size 0
		.amdhsa_uses_dynamic_stack 0
		.amdhsa_system_sgpr_private_segment_wavefront_offset 0
		.amdhsa_system_sgpr_workgroup_id_x 1
		.amdhsa_system_sgpr_workgroup_id_y 0
		.amdhsa_system_sgpr_workgroup_id_z 0
		.amdhsa_system_sgpr_workgroup_info 0
		.amdhsa_system_vgpr_workitem_id 0
		.amdhsa_next_free_vgpr 96
		.amdhsa_next_free_sgpr 96
		.amdhsa_accum_offset 96
		.amdhsa_reserve_vcc 1
		.amdhsa_reserve_flat_scratch 0
		.amdhsa_float_round_mode_32 0
		.amdhsa_float_round_mode_16_64 0
		.amdhsa_float_denorm_mode_32 3
		.amdhsa_float_denorm_mode_16_64 3
		.amdhsa_dx10_clamp 1
		.amdhsa_ieee_mode 1
		.amdhsa_fp16_overflow 0
		.amdhsa_tg_split 0
		.amdhsa_exception_fp_ieee_invalid_op 0
		.amdhsa_exception_fp_denorm_src 0
		.amdhsa_exception_fp_ieee_div_zero 0
		.amdhsa_exception_fp_ieee_overflow 0
		.amdhsa_exception_fp_ieee_underflow 0
		.amdhsa_exception_fp_ieee_inexact 0
		.amdhsa_exception_int_div_zero 0
	.end_amdhsa_kernel
	.section	.text._ZN2at6native12_GLOBAL__N_125multi_tensor_apply_kernelINS1_18TensorListMetadataILi2EEENS1_21BinaryOpScalarFunctorIdLi2ELi1ELi1EEEJNS1_21reverse_power_functorIdEEdEEEvT_T0_DpT1_,"axG",@progbits,_ZN2at6native12_GLOBAL__N_125multi_tensor_apply_kernelINS1_18TensorListMetadataILi2EEENS1_21BinaryOpScalarFunctorIdLi2ELi1ELi1EEEJNS1_21reverse_power_functorIdEEdEEEvT_T0_DpT1_,comdat
.Lfunc_end77:
	.size	_ZN2at6native12_GLOBAL__N_125multi_tensor_apply_kernelINS1_18TensorListMetadataILi2EEENS1_21BinaryOpScalarFunctorIdLi2ELi1ELi1EEEJNS1_21reverse_power_functorIdEEdEEEvT_T0_DpT1_, .Lfunc_end77-_ZN2at6native12_GLOBAL__N_125multi_tensor_apply_kernelINS1_18TensorListMetadataILi2EEENS1_21BinaryOpScalarFunctorIdLi2ELi1ELi1EEEJNS1_21reverse_power_functorIdEEdEEEvT_T0_DpT1_
                                        ; -- End function
	.section	.AMDGPU.csdata,"",@progbits
; Kernel info:
; codeLenInByte = 14556
; NumSgprs: 100
; NumVgprs: 96
; NumAgprs: 0
; TotalNumVgprs: 96
; ScratchSize: 0
; MemoryBound: 0
; FloatMode: 240
; IeeeMode: 1
; LDSByteSize: 0 bytes/workgroup (compile time only)
; SGPRBlocks: 12
; VGPRBlocks: 11
; NumSGPRsForWavesPerEU: 100
; NumVGPRsForWavesPerEU: 96
; AccumOffset: 96
; Occupancy: 5
; WaveLimiterHint : 0
; COMPUTE_PGM_RSRC2:SCRATCH_EN: 0
; COMPUTE_PGM_RSRC2:USER_SGPR: 6
; COMPUTE_PGM_RSRC2:TRAP_HANDLER: 0
; COMPUTE_PGM_RSRC2:TGID_X_EN: 1
; COMPUTE_PGM_RSRC2:TGID_Y_EN: 0
; COMPUTE_PGM_RSRC2:TGID_Z_EN: 0
; COMPUTE_PGM_RSRC2:TIDIG_COMP_CNT: 0
; COMPUTE_PGM_RSRC3_GFX90A:ACCUM_OFFSET: 23
; COMPUTE_PGM_RSRC3_GFX90A:TG_SPLIT: 0
	.section	.text._ZN2at6native12_GLOBAL__N_125multi_tensor_apply_kernelINS1_18TensorListMetadataILi2EEENS1_21BinaryOpScalarFunctorIfLi2ELi1ELi1EEEJNS1_21reverse_power_functorIfEEfEEEvT_T0_DpT1_,"axG",@progbits,_ZN2at6native12_GLOBAL__N_125multi_tensor_apply_kernelINS1_18TensorListMetadataILi2EEENS1_21BinaryOpScalarFunctorIfLi2ELi1ELi1EEEJNS1_21reverse_power_functorIfEEfEEEvT_T0_DpT1_,comdat
	.globl	_ZN2at6native12_GLOBAL__N_125multi_tensor_apply_kernelINS1_18TensorListMetadataILi2EEENS1_21BinaryOpScalarFunctorIfLi2ELi1ELi1EEEJNS1_21reverse_power_functorIfEEfEEEvT_T0_DpT1_ ; -- Begin function _ZN2at6native12_GLOBAL__N_125multi_tensor_apply_kernelINS1_18TensorListMetadataILi2EEENS1_21BinaryOpScalarFunctorIfLi2ELi1ELi1EEEJNS1_21reverse_power_functorIfEEfEEEvT_T0_DpT1_
	.p2align	8
	.type	_ZN2at6native12_GLOBAL__N_125multi_tensor_apply_kernelINS1_18TensorListMetadataILi2EEENS1_21BinaryOpScalarFunctorIfLi2ELi1ELi1EEEJNS1_21reverse_power_functorIfEEfEEEvT_T0_DpT1_,@function
_ZN2at6native12_GLOBAL__N_125multi_tensor_apply_kernelINS1_18TensorListMetadataILi2EEENS1_21BinaryOpScalarFunctorIfLi2ELi1ELi1EEEJNS1_21reverse_power_functorIfEEfEEEvT_T0_DpT1_: ; @_ZN2at6native12_GLOBAL__N_125multi_tensor_apply_kernelINS1_18TensorListMetadataILi2EEENS1_21BinaryOpScalarFunctorIfLi2ELi1ELi1EEEJNS1_21reverse_power_functorIfEEfEEEvT_T0_DpT1_
; %bb.0:
	v_mov_b32_e32 v1, s6
	global_load_ubyte v1, v1, s[4:5] offset:1536
	s_add_u32 s0, s4, s6
	s_mul_hi_u32 s2, s6, 3
	s_mul_i32 s6, s6, 3
	s_addc_u32 s7, s5, 0
	s_add_u32 s6, s0, s6
	s_addc_u32 s7, s7, s2
	s_load_dword s6, s[6:7], 0x740
	s_mov_b32 s1, 0
	s_mov_b32 s11, s1
	;; [unrolled: 1-line block ×3, first 2 shown]
	s_waitcnt lgkmcnt(0)
	s_ashr_i32 s7, s6, 31
	s_lshl_b64 s[20:21], s[6:7], 18
	s_waitcnt vmcnt(0)
	v_readfirstlane_b32 s0, v1
	s_lshl_b32 s0, s0, 3
	s_load_dwordx2 s[56:57], s[4:5], s0 offset:0x0
	s_load_dword s30, s[4:5], 0xc4c
	s_load_dwordx2 s[8:9], s[4:5], s0 offset:0x400
	s_load_dwordx2 s[58:59], s[4:5], s0 offset:0x200
	s_waitcnt lgkmcnt(0)
	s_and_b32 s0, s56, 15
	s_and_b32 s10, s8, 3
	;; [unrolled: 1-line block ×3, first 2 shown]
	s_or_b64 s[0:1], s[0:1], s[10:11]
	s_or_b64 s[0:1], s[2:3], s[0:1]
	s_lshl_b64 s[2:3], s[6:7], 16
	s_sub_u32 s60, s8, s2
	s_subb_u32 s61, s9, s3
	s_cmp_eq_u64 s[0:1], 0
	s_mov_b64 s[0:1], -1
	s_cbranch_scc1 .LBB78_21
; %bb.1:
	v_cmp_lt_i64_e64 s[0:1], s[60:61], 1
	s_and_b64 vcc, exec, s[0:1]
	s_cbranch_vccnz .LBB78_20
; %bb.2:
	s_load_dword s0, s[4:5], 0xc5c
	v_mov_b32_e32 v2, 0x10000
	v_mov_b32_e32 v3, 0
	v_cmp_lt_u64_e32 vcc, s[60:61], v[2:3]
	v_lshlrev_b32_e32 v10, 2, v0
	s_waitcnt lgkmcnt(0)
	s_and_b32 s2, s0, 0xffff
	s_and_b64 s[0:1], vcc, exec
	v_mov_b32_e32 v13, s57
	v_add_co_u32_e32 v2, vcc, s56, v10
	v_addc_co_u32_e32 v1, vcc, 0, v13, vcc
	v_mov_b32_e32 v11, 0
	v_mov_b32_e32 v15, s59
	v_add_co_u32_e32 v4, vcc, s58, v10
	v_addc_co_u32_e32 v3, vcc, 0, v15, vcc
	v_mad_u64_u32 v[8:9], s[0:1], s2, 12, v[10:11]
	v_add_co_u32_e32 v6, vcc, s56, v8
	v_addc_co_u32_e32 v5, vcc, v13, v9, vcc
	v_add_co_u32_e32 v8, vcc, s58, v8
	s_mul_i32 s6, s2, 3
	v_addc_co_u32_e32 v7, vcc, v15, v9, vcc
	v_add_co_u32_e32 v17, vcc, s6, v0
	v_addc_co_u32_e64 v18, s[0:1], 0, 0, vcc
	s_cselect_b32 s23, s61, 0
	s_cselect_b32 s22, s60, 0x10000
	s_lshl_b32 s0, s2, 3
	v_add_co_u32_e32 v11, vcc, s0, v10
	v_addc_co_u32_e64 v14, s[0:1], 0, 0, vcc
	v_add_co_u32_e32 v10, vcc, s56, v11
	v_addc_co_u32_e32 v9, vcc, v13, v14, vcc
	v_add_co_u32_e32 v12, vcc, s58, v11
	s_lshl_b32 s3, s2, 1
	v_addc_co_u32_e32 v11, vcc, v15, v14, vcc
	v_add_co_u32_e32 v19, vcc, s3, v0
	v_addc_co_u32_e64 v20, s[0:1], 0, 0, vcc
	v_add_co_u32_e32 v21, vcc, s2, v0
	v_lshlrev_b32_e32 v16, 2, v21
	v_addc_co_u32_e64 v22, s[0:1], 0, 0, vcc
	v_add_co_u32_e32 v14, vcc, s56, v16
	v_addc_co_u32_e32 v13, vcc, 0, v13, vcc
	v_add_co_u32_e32 v16, vcc, s58, v16
	s_mov_b32 s31, 0
	v_cmp_eq_f32_e64 s[24:25], s30, 1.0
	s_lshl_b32 s33, s2, 2
	s_lshl_b32 s34, s2, 4
	v_addc_co_u32_e32 v15, vcc, 0, v15, vcc
	s_mov_b64 s[26:27], 0
	s_mov_b32 s35, 0x7f800000
	s_brev_b32 s36, -2
	s_mov_b32 s37, 0x3f2aaaab
	s_mov_b32 s38, 0x3f317218
	v_mov_b32_e32 v23, 0x3ecccdef
	s_movk_i32 s39, 0x204
	s_mov_b32 s40, 0x42b17218
	s_mov_b32 s41, 0x3fb8aa3b
	s_mov_b32 s42, 0xc2ce8ed0
	v_mov_b32_e32 v24, 0x7f800000
	v_mov_b32_e32 v25, 0x37000000
	;; [unrolled: 1-line block ×3, first 2 shown]
	s_branch .LBB78_4
.LBB78_3:                               ;   in Loop: Header=BB78_4 Depth=1
	s_or_b64 exec, exec, s[8:9]
	s_add_u32 s26, s26, s33
	s_addc_u32 s27, s27, 0
	s_waitcnt vmcnt(0)
	v_pk_mov_b32 v[28:29], s[60:61], s[60:61] op_sel:[0,1]
	v_cmp_lt_i64_e32 vcc, s[26:27], v[28:29]
	v_mov_b32_e32 v28, 0x10000
	v_mov_b32_e32 v29, 0
	v_cmp_lt_u64_e64 s[0:1], s[26:27], v[28:29]
	s_and_b64 s[0:1], vcc, s[0:1]
	v_mov_b32_e32 v27, s31
	v_add_co_u32_e32 v2, vcc, s34, v2
	v_addc_co_u32_e32 v1, vcc, v1, v27, vcc
	v_add_co_u32_e32 v4, vcc, s34, v4
	v_addc_co_u32_e32 v3, vcc, v3, v27, vcc
	;; [unrolled: 2-line block ×8, first 2 shown]
	s_and_b64 vcc, exec, s[0:1]
	s_cbranch_vccz .LBB78_20
.LBB78_4:                               ; =>This Inner Loop Header: Depth=1
	v_mov_b32_e32 v27, s27
	v_add_co_u32_e32 v28, vcc, s26, v0
	v_addc_co_u32_e32 v29, vcc, 0, v27, vcc
	v_cmp_gt_u64_e64 s[6:7], s[22:23], v[28:29]
	v_mov_b32_e32 v30, 0
	s_and_saveexec_b64 s[0:1], s[6:7]
	s_cbranch_execz .LBB78_6
; %bb.5:                                ;   in Loop: Header=BB78_4 Depth=1
	v_mov_b32_e32 v27, s21
	v_add_co_u32_e32 v28, vcc, s20, v2
	v_addc_co_u32_e32 v29, vcc, v1, v27, vcc
	global_load_dword v30, v[28:29], off
.LBB78_6:                               ;   in Loop: Header=BB78_4 Depth=1
	s_or_b64 exec, exec, s[0:1]
	v_mov_b32_e32 v27, s27
	v_add_co_u32_e32 v28, vcc, s26, v21
	v_addc_co_u32_e32 v29, vcc, v22, v27, vcc
	v_cmp_gt_u64_e64 s[2:3], s[22:23], v[28:29]
	v_mov_b32_e32 v29, 0
	s_and_saveexec_b64 s[0:1], s[2:3]
	s_cbranch_execz .LBB78_8
; %bb.7:                                ;   in Loop: Header=BB78_4 Depth=1
	v_mov_b32_e32 v27, s21
	v_add_co_u32_e32 v28, vcc, s20, v14
	v_addc_co_u32_e32 v29, vcc, v13, v27, vcc
	global_load_dword v29, v[28:29], off
.LBB78_8:                               ;   in Loop: Header=BB78_4 Depth=1
	s_or_b64 exec, exec, s[0:1]
	v_mov_b32_e32 v27, s27
	v_add_co_u32_e32 v32, vcc, s26, v19
	v_addc_co_u32_e32 v33, vcc, v20, v27, vcc
	v_cmp_gt_u64_e64 s[0:1], s[22:23], v[32:33]
	v_mov_b32_e32 v27, 0
	v_mov_b32_e32 v28, 0
	s_and_saveexec_b64 s[8:9], s[0:1]
	s_cbranch_execz .LBB78_10
; %bb.9:                                ;   in Loop: Header=BB78_4 Depth=1
	v_mov_b32_e32 v28, s21
	v_add_co_u32_e32 v32, vcc, s20, v10
	v_addc_co_u32_e32 v33, vcc, v9, v28, vcc
	global_load_dword v28, v[32:33], off
.LBB78_10:                              ;   in Loop: Header=BB78_4 Depth=1
	s_or_b64 exec, exec, s[8:9]
	v_mov_b32_e32 v31, s27
	v_add_co_u32_e32 v32, vcc, s26, v17
	v_addc_co_u32_e32 v33, vcc, v18, v31, vcc
	v_cmp_gt_u64_e32 vcc, s[22:23], v[32:33]
	s_and_saveexec_b64 s[10:11], vcc
	s_cbranch_execnz .LBB78_15
; %bb.11:                               ;   in Loop: Header=BB78_4 Depth=1
	s_or_b64 exec, exec, s[10:11]
	s_and_saveexec_b64 s[28:29], s[6:7]
	s_cbranch_execnz .LBB78_16
.LBB78_12:                              ;   in Loop: Header=BB78_4 Depth=1
	s_or_b64 exec, exec, s[28:29]
	s_and_saveexec_b64 s[12:13], s[2:3]
	s_cbranch_execnz .LBB78_17
.LBB78_13:                              ;   in Loop: Header=BB78_4 Depth=1
	s_or_b64 exec, exec, s[12:13]
	s_and_saveexec_b64 s[10:11], s[0:1]
	s_cbranch_execnz .LBB78_18
.LBB78_14:                              ;   in Loop: Header=BB78_4 Depth=1
	s_or_b64 exec, exec, s[10:11]
	s_and_saveexec_b64 s[8:9], vcc
	s_cbranch_execz .LBB78_3
	s_branch .LBB78_19
.LBB78_15:                              ;   in Loop: Header=BB78_4 Depth=1
	v_mov_b32_e32 v27, s21
	v_add_co_u32_e64 v32, s[8:9], s20, v6
	v_addc_co_u32_e64 v33, s[8:9], v5, v27, s[8:9]
	global_load_dword v27, v[32:33], off
	s_or_b64 exec, exec, s[10:11]
	s_and_saveexec_b64 s[28:29], s[6:7]
	s_cbranch_execz .LBB78_12
.LBB78_16:                              ;   in Loop: Header=BB78_4 Depth=1
	v_mov_b32_e32 v31, s21
	v_add_co_u32_e64 v32, s[6:7], s20, v4
	v_addc_co_u32_e64 v33, s[6:7], v3, v31, s[6:7]
	s_waitcnt vmcnt(0)
	v_cndmask_b32_e64 v48, v30, 1.0, s[24:25]
	v_mov_b32_e32 v31, s30
	v_cmp_eq_f32_e64 s[6:7], 0, v48
	v_cndmask_b32_e64 v49, v31, 1.0, s[6:7]
	v_cmp_eq_f32_e64 s[8:9], 0, v49
	v_cmp_gt_f32_e64 s[10:11], 0, v48
	s_xor_b64 s[10:11], s[10:11], s[8:9]
	v_trunc_f32_e32 v34, v48
	v_cndmask_b32_e64 v50, |v31|, 1.0, s[6:7]
	v_cndmask_b32_e64 v31, v24, 0, s[10:11]
	v_cmp_eq_f32_e64 s[10:11], v34, v48
	v_mul_f32_e32 v34, 0.5, v48
	v_trunc_f32_e32 v35, v34
	v_cmp_neq_f32_e64 s[12:13], v35, v34
	s_and_b64 s[12:13], s[10:11], s[12:13]
	v_cndmask_b32_e64 v34, 0, v49, s[12:13]
	v_bfi_b32 v51, s36, v31, v34
	v_cvt_f64_f32_e32 v[34:35], v50
	v_frexp_exp_i32_f64_e32 v31, v[34:35]
	v_frexp_mant_f32_e32 v35, v50
	v_cmp_gt_f32_e64 s[18:19], s37, v35
	v_subbrev_co_u32_e64 v31, s[14:15], 0, v31, s[18:19]
	v_cvt_f32_i32_e32 v31, v31
	v_cndmask_b32_e64 v52, |v30|, 1.0, s[24:25]
	v_cmp_neq_f32_e64 s[14:15], v48, v52
	v_cmp_gt_f32_e64 s[16:17], 1.0, v50
	v_mul_f32_e32 v30, 0x3f317218, v31
	v_fma_f32 v34, v31, s38, -v30
	v_fmac_f32_e32 v34, 0xb102e308, v31
	v_cndmask_b32_e64 v31, 1.0, 2.0, s[18:19]
	v_mul_f32_e32 v31, v35, v31
	v_add_f32_e32 v35, 1.0, v31
	v_rcp_f32_e32 v44, v35
	v_add_f32_e32 v36, -1.0, v35
	v_add_f32_e32 v37, -1.0, v31
	v_sub_f32_e32 v36, v31, v36
	v_mul_f32_e32 v31, v37, v44
	v_mul_f32_e32 v38, v35, v31
	v_fma_f32 v40, v31, v35, -v38
	v_fmac_f32_e32 v40, v31, v36
	v_add_f32_e32 v36, v38, v40
	v_sub_f32_e32 v39, v37, v36
	v_pk_add_f32 v[42:43], v[36:37], v[38:39] neg_lo:[0,1] neg_hi:[0,1]
	v_mov_b32_e32 v41, v36
	v_pk_add_f32 v[36:37], v[42:43], v[40:41] neg_lo:[0,1] neg_hi:[0,1]
	v_add_f32_e32 v35, v36, v37
	v_add_f32_e32 v35, v39, v35
	v_mul_f32_e32 v37, v44, v35
	v_add_f32_e32 v36, v31, v37
	v_sub_f32_e32 v31, v36, v31
	v_mul_f32_e32 v39, v36, v36
	v_sub_f32_e32 v46, v37, v31
	v_add_f32_e32 v31, v46, v46
	v_fma_f32 v37, v36, v36, -v39
	v_fmac_f32_e32 v37, v36, v31
	v_add_f32_e32 v38, v39, v37
	v_sub_f32_e32 v31, v38, v39
	v_sub_f32_e32 v31, v37, v31
	v_mov_b32_e32 v37, 0x3e91f4c4
	v_fmac_f32_e32 v37, 0x3e76c4e1, v38
	v_fma_f32 v37, v38, v37, v23
	v_mul_f32_e32 v39, v38, v37
	v_fma_f32 v40, v38, v37, -v39
	v_fmac_f32_e32 v40, v31, v37
	v_add_f32_e32 v42, v39, v40
	v_add_f32_e32 v41, 0x3f2aaaaa, v42
	v_sub_f32_e32 v37, v42, v39
	v_sub_f32_e32 v37, v40, v37
	v_add_f32_e32 v39, 0xbf2aaaaa, v41
	v_add_f32_e32 v37, 0x31739010, v37
	v_sub_f32_e32 v39, v42, v39
	v_pk_mul_f32 v[42:43], v[36:37], v[38:39]
	v_fma_f32 v40, v38, v36, -v42
	v_pk_add_f32 v[44:45], v[36:37], v[38:39]
	v_fmac_f32_e32 v40, v38, v46
	v_mov_b32_e32 v43, v45
	v_fmac_f32_e32 v40, v31, v36
	v_ldexp_f32 v35, v36, 1
	v_pk_add_f32 v[36:37], v[42:43], v[40:41]
	v_mov_b32_e32 v38, v37
	v_pk_mul_f32 v[38:39], v[36:37], v[38:39]
	v_sub_f32_e32 v31, v36, v42
	v_sub_f32_e32 v39, v41, v37
	;; [unrolled: 1-line block ×3, first 2 shown]
	v_add_f32_e32 v39, v45, v39
	v_fma_f32 v40, v36, v37, -v38
	v_fmac_f32_e32 v40, v36, v39
	v_fmac_f32_e32 v40, v31, v37
	v_add_f32_e32 v31, v38, v40
	v_pk_add_f32 v[36:37], v[30:31], v[34:35]
	v_mov_b32_e32 v42, v31
	v_mov_b32_e32 v43, v37
	;; [unrolled: 1-line block ×3, first 2 shown]
	v_pk_add_f32 v[38:39], v[42:43], v[38:39] neg_lo:[0,1] neg_hi:[0,1]
	v_mov_b32_e32 v41, v31
	v_ldexp_f32 v44, v46, 1
	v_pk_add_f32 v[38:39], v[40:41], v[38:39] neg_lo:[0,1] neg_hi:[0,1]
	v_add_f32_e32 v31, v44, v38
	v_add_f32_e32 v31, v31, v39
	v_pk_add_f32 v[38:39], v[36:37], v[30:31] neg_lo:[0,1] neg_hi:[0,1]
	v_pk_add_f32 v[40:41], v[36:37], v[30:31]
	v_mov_b32_e32 v42, v38
	v_mov_b32_e32 v43, v41
	;; [unrolled: 1-line block ×3, first 2 shown]
	v_pk_add_f32 v[42:43], v[34:35], v[42:43]
	v_mov_b32_e32 v30, v43
	v_pk_add_f32 v[44:45], v[30:31], v[36:37] neg_lo:[0,1] neg_hi:[0,1]
	v_mov_b32_e32 v45, v44
	v_mov_b32_e32 v42, v41
	;; [unrolled: 1-line block ×4, first 2 shown]
	v_pk_add_f32 v[38:39], v[34:35], v[38:39] neg_lo:[0,1] neg_hi:[0,1]
	v_pk_add_f32 v[46:47], v[40:41], v[44:45] neg_lo:[0,1] neg_hi:[0,1]
	;; [unrolled: 1-line block ×3, first 2 shown]
	v_mov_b32_e32 v34, v31
	v_pk_add_f32 v[34:35], v[34:35], v[36:37] neg_lo:[0,1] neg_hi:[0,1]
	v_mov_b32_e32 v46, v38
	v_pk_add_f32 v[36:37], v[46:47], v[34:35]
	v_mov_b32_e32 v40, v37
	v_pk_add_f32 v[40:41], v[36:37], v[40:41]
	v_pk_add_f32 v[30:31], v[30:31], v[40:41]
	v_mov_b32_e32 v39, v43
	v_mov_b32_e32 v37, v30
	v_pk_add_f32 v[42:43], v[36:37], v[38:39] neg_lo:[0,1] neg_hi:[0,1]
	v_mov_b32_e32 v35, v40
	v_sub_f32_e32 v31, v36, v42
	v_pk_add_f32 v[34:35], v[34:35], v[42:43] neg_lo:[0,1] neg_hi:[0,1]
	v_sub_f32_e32 v31, v38, v31
	v_add_f32_e32 v31, v34, v31
	v_add_f32_e32 v31, v31, v35
	;; [unrolled: 1-line block ×3, first 2 shown]
	v_mul_f32_e32 v35, v48, v34
	v_sub_f32_e32 v30, v34, v30
	v_sub_f32_e32 v30, v31, v30
	v_fma_f32 v31, v48, v34, -v35
	v_fmac_f32_e32 v31, v48, v30
	v_add_f32_e32 v30, v35, v31
	v_cmp_class_f32_e64 s[18:19], v35, s39
	v_cndmask_b32_e64 v34, v30, v35, s[18:19]
	v_cmp_eq_f32_e64 s[18:19], s40, v34
	v_cndmask_b32_e64 v36, 0, v25, s[18:19]
	v_sub_f32_e32 v37, v34, v36
	v_mul_f32_e32 v38, 0x3fb8aa3b, v37
	v_fma_f32 v39, v37, s41, -v38
	v_rndne_f32_e32 v40, v38
	v_fmac_f32_e32 v39, 0x32a5705f, v37
	v_sub_f32_e32 v38, v38, v40
	v_add_f32_e32 v38, v38, v39
	v_exp_f32_e32 v38, v38
	v_cvt_i32_f32_e32 v39, v40
	s_xor_b64 s[14:15], s[14:15], s[16:17]
	v_cndmask_b32_e64 v40, v52, 0, s[14:15]
	v_cmp_eq_f32_e64 s[14:15], 1.0, v50
	v_cndmask_b32_e64 v40, v40, v50, s[14:15]
	v_ldexp_f32 v38, v38, v39
	v_cmp_ngt_f32_e64 s[14:15], s42, v37
	v_cndmask_b32_e64 v38, 0, v38, s[14:15]
	v_cmp_nlt_f32_e64 s[14:15], s40, v37
	v_sub_f32_e32 v30, v30, v35
	v_cndmask_b32_e64 v37, v24, v38, s[14:15]
	v_sub_f32_e32 v30, v31, v30
	v_cmp_neq_f32_e64 s[14:15], |v34|, s35
	v_cndmask_b32_e64 v30, 0, v30, s[14:15]
	v_add_f32_e32 v30, v36, v30
	v_fma_f32 v30, v37, v30, v37
	v_cmp_class_f32_e64 s[14:15], v37, s39
	v_cndmask_b32_e64 v30, v30, v37, s[14:15]
	v_cndmask_b32_e64 v31, 1.0, v49, s[12:13]
	v_bfi_b32 v30, s36, v30, v31
	v_cndmask_b32_e64 v31, v26, v30, s[10:11]
	v_cmp_gt_f32_e64 s[10:11], 0, v49
	v_cmp_eq_f32_e64 s[6:7], s35, v50
	v_cndmask_b32_e64 v30, v30, v31, s[10:11]
	v_cmp_eq_f32_e64 s[10:11], s35, v52
	v_cndmask_b32_e64 v30, v30, v40, s[10:11]
	s_or_b64 s[6:7], s[6:7], s[8:9]
	v_cndmask_b32_e64 v30, v30, v51, s[6:7]
	v_cmp_o_f32_e64 s[6:7], v49, v48
	v_cndmask_b32_e64 v30, v26, v30, s[6:7]
	global_store_dword v[32:33], v30, off
	s_or_b64 exec, exec, s[28:29]
	s_and_saveexec_b64 s[12:13], s[2:3]
	s_cbranch_execz .LBB78_13
.LBB78_17:                              ;   in Loop: Header=BB78_4 Depth=1
	s_waitcnt vmcnt(0)
	v_cndmask_b32_e64 v46, v29, 1.0, s[24:25]
	v_mov_b32_e32 v47, s30
	v_cmp_eq_f32_e64 s[2:3], 0, v46
	v_cndmask_b32_e64 v48, |v47|, 1.0, s[2:3]
	v_frexp_mant_f32_e32 v30, v48
	v_cmp_gt_f32_e64 s[6:7], s37, v30
	v_cndmask_b32_e64 v31, 1.0, 2.0, s[6:7]
	v_mul_f32_e32 v30, v30, v31
	v_add_f32_e32 v33, 1.0, v30
	v_rcp_f32_e32 v38, v33
	v_add_f32_e32 v31, -1.0, v33
	v_sub_f32_e32 v35, v30, v31
	v_add_f32_e32 v31, -1.0, v30
	v_mul_f32_e32 v39, v31, v38
	v_mul_f32_e32 v32, v33, v39
	v_fma_f32 v34, v39, v33, -v32
	v_fmac_f32_e32 v34, v39, v35
	v_add_f32_e32 v30, v32, v34
	v_sub_f32_e32 v33, v31, v30
	v_pk_add_f32 v[36:37], v[30:31], v[32:33] neg_lo:[0,1] neg_hi:[0,1]
	v_mov_b32_e32 v35, v30
	v_pk_add_f32 v[30:31], v[36:37], v[34:35] neg_lo:[0,1] neg_hi:[0,1]
	v_add_f32_e32 v30, v30, v31
	v_add_f32_e32 v30, v33, v30
	v_mul_f32_e32 v31, v38, v30
	v_add_f32_e32 v30, v39, v31
	v_sub_f32_e32 v32, v30, v39
	v_sub_f32_e32 v40, v31, v32
	v_mul_f32_e32 v31, v30, v30
	v_fma_f32 v33, v30, v30, -v31
	v_add_f32_e32 v32, v40, v40
	v_fmac_f32_e32 v33, v30, v32
	v_add_f32_e32 v32, v31, v33
	v_mov_b32_e32 v34, 0x3e91f4c4
	v_fmac_f32_e32 v34, 0x3e76c4e1, v32
	v_fma_f32 v34, v32, v34, v23
	v_sub_f32_e32 v31, v32, v31
	v_sub_f32_e32 v41, v33, v31
	v_mul_f32_e32 v31, v32, v34
	v_fma_f32 v33, v32, v34, -v31
	v_fmac_f32_e32 v33, v41, v34
	v_add_f32_e32 v34, v31, v33
	v_add_f32_e32 v35, 0x3f2aaaaa, v34
	v_sub_f32_e32 v31, v34, v31
	v_sub_f32_e32 v31, v33, v31
	v_add_f32_e32 v33, 0xbf2aaaaa, v35
	v_add_f32_e32 v31, 0x31739010, v31
	v_sub_f32_e32 v33, v34, v33
	v_pk_mul_f32 v[36:37], v[30:31], v[32:33]
	v_fma_f32 v34, v32, v30, -v36
	v_pk_add_f32 v[38:39], v[30:31], v[32:33]
	v_fmac_f32_e32 v34, v32, v40
	v_mov_b32_e32 v37, v39
	v_fmac_f32_e32 v34, v41, v30
	v_pk_add_f32 v[32:33], v[36:37], v[34:35]
	v_sub_f32_e32 v31, v32, v36
	v_sub_f32_e32 v31, v34, v31
	;; [unrolled: 1-line block ×3, first 2 shown]
	v_add_f32_e32 v38, v39, v34
	v_mov_b32_e32 v34, v33
	v_pk_mul_f32 v[34:35], v[32:33], v[34:35]
	v_cvt_f64_f32_e32 v[36:37], v48
	v_frexp_exp_i32_f64_e32 v35, v[36:37]
	v_subbrev_co_u32_e64 v35, s[6:7], 0, v35, s[6:7]
	v_cvt_f32_i32_e32 v35, v35
	v_fma_f32 v36, v32, v33, -v34
	v_fmac_f32_e32 v36, v32, v38
	v_fmac_f32_e32 v36, v31, v33
	v_mul_f32_e32 v32, 0x3f317218, v35
	v_fma_f32 v38, v35, s38, -v32
	v_fmac_f32_e32 v38, 0xb102e308, v35
	v_ldexp_f32 v39, v30, 1
	v_add_f32_e32 v33, v34, v36
	v_pk_add_f32 v[30:31], v[32:33], v[38:39]
	v_ldexp_f32 v42, v40, 1
	v_mov_b32_e32 v40, v33
	v_mov_b32_e32 v41, v31
	;; [unrolled: 1-line block ×3, first 2 shown]
	v_pk_add_f32 v[34:35], v[40:41], v[34:35] neg_lo:[0,1] neg_hi:[0,1]
	v_mov_b32_e32 v37, v33
	v_pk_add_f32 v[34:35], v[36:37], v[34:35] neg_lo:[0,1] neg_hi:[0,1]
	v_add_f32_e32 v33, v42, v34
	v_add_f32_e32 v33, v33, v35
	v_pk_add_f32 v[34:35], v[30:31], v[32:33] neg_lo:[0,1] neg_hi:[0,1]
	v_pk_add_f32 v[36:37], v[30:31], v[32:33]
	v_mov_b32_e32 v40, v34
	v_mov_b32_e32 v41, v37
	;; [unrolled: 1-line block ×3, first 2 shown]
	v_pk_add_f32 v[40:41], v[38:39], v[40:41]
	v_mov_b32_e32 v32, v41
	v_pk_add_f32 v[42:43], v[32:33], v[30:31] neg_lo:[0,1] neg_hi:[0,1]
	v_mov_b32_e32 v43, v42
	v_mov_b32_e32 v40, v37
	;; [unrolled: 1-line block ×4, first 2 shown]
	v_pk_add_f32 v[34:35], v[38:39], v[34:35] neg_lo:[0,1] neg_hi:[0,1]
	v_pk_add_f32 v[44:45], v[36:37], v[42:43] neg_lo:[0,1] neg_hi:[0,1]
	;; [unrolled: 1-line block ×3, first 2 shown]
	v_mov_b32_e32 v38, v33
	v_pk_add_f32 v[30:31], v[38:39], v[30:31] neg_lo:[0,1] neg_hi:[0,1]
	v_mov_b32_e32 v44, v34
	v_pk_add_f32 v[36:37], v[44:45], v[30:31]
	v_mov_b32_e32 v38, v37
	v_pk_add_f32 v[38:39], v[36:37], v[38:39]
	v_pk_add_f32 v[32:33], v[32:33], v[38:39]
	v_mov_b32_e32 v35, v41
	v_mov_b32_e32 v37, v32
	v_pk_add_f32 v[40:41], v[36:37], v[34:35] neg_lo:[0,1] neg_hi:[0,1]
	v_mov_b32_e32 v31, v38
	v_sub_f32_e32 v33, v36, v40
	v_pk_add_f32 v[30:31], v[30:31], v[40:41] neg_lo:[0,1] neg_hi:[0,1]
	v_sub_f32_e32 v33, v34, v33
	v_add_f32_e32 v30, v30, v33
	v_add_f32_e32 v30, v30, v31
	;; [unrolled: 1-line block ×3, first 2 shown]
	v_sub_f32_e32 v32, v31, v32
	v_sub_f32_e32 v30, v30, v32
	v_mul_f32_e32 v32, v46, v31
	v_fma_f32 v31, v46, v31, -v32
	v_fmac_f32_e32 v31, v46, v30
	v_add_f32_e32 v30, v32, v31
	v_cmp_class_f32_e64 s[6:7], v32, s39
	v_sub_f32_e32 v33, v30, v32
	v_cndmask_b32_e64 v30, v30, v32, s[6:7]
	v_cmp_eq_f32_e64 s[6:7], s40, v30
	v_cndmask_b32_e64 v32, 0, v25, s[6:7]
	v_sub_f32_e32 v31, v31, v33
	v_sub_f32_e32 v33, v30, v32
	v_mul_f32_e32 v34, 0x3fb8aa3b, v33
	v_fma_f32 v35, v33, s41, -v34
	v_rndne_f32_e32 v36, v34
	v_fmac_f32_e32 v35, 0x32a5705f, v33
	v_sub_f32_e32 v34, v34, v36
	v_add_f32_e32 v34, v34, v35
	v_exp_f32_e32 v34, v34
	v_cvt_i32_f32_e32 v35, v36
	v_cmp_neq_f32_e64 s[6:7], |v30|, s35
	v_cndmask_b32_e64 v30, 0, v31, s[6:7]
	v_cmp_ngt_f32_e64 s[6:7], s42, v33
	v_ldexp_f32 v31, v34, v35
	v_cndmask_b32_e64 v31, 0, v31, s[6:7]
	v_cmp_nlt_f32_e64 s[6:7], s40, v33
	v_add_f32_e32 v30, v32, v30
	v_cndmask_b32_e64 v31, v24, v31, s[6:7]
	v_fma_f32 v30, v31, v30, v31
	v_cmp_class_f32_e64 s[6:7], v31, s39
	v_trunc_f32_e32 v32, v46
	v_cndmask_b32_e64 v30, v30, v31, s[6:7]
	v_cndmask_b32_e64 v31, v47, 1.0, s[2:3]
	v_cmp_eq_f32_e64 s[2:3], v32, v46
	v_mul_f32_e32 v32, 0.5, v46
	v_trunc_f32_e32 v33, v32
	v_cmp_neq_f32_e64 s[6:7], v33, v32
	s_and_b64 s[6:7], s[2:3], s[6:7]
	v_cndmask_b32_e64 v32, 1.0, v31, s[6:7]
	v_bfi_b32 v30, s36, v30, v32
	v_cndmask_b32_e64 v32, v26, v30, s[2:3]
	v_cmp_gt_f32_e64 s[2:3], 0, v31
	v_cndmask_b32_e64 v29, |v29|, 1.0, s[24:25]
	v_cndmask_b32_e64 v30, v30, v32, s[2:3]
	v_cmp_neq_f32_e64 s[2:3], v46, v29
	v_cmp_gt_f32_e64 s[8:9], 1.0, v48
	s_xor_b64 s[2:3], s[2:3], s[8:9]
	v_cndmask_b32_e64 v32, v29, 0, s[2:3]
	v_cmp_eq_f32_e64 s[2:3], 1.0, v48
	v_cmp_eq_f32_e64 s[8:9], 0, v31
	v_cmp_gt_f32_e64 s[10:11], 0, v46
	v_cndmask_b32_e64 v32, v32, v48, s[2:3]
	v_cmp_eq_f32_e64 s[2:3], s35, v29
	s_xor_b64 s[10:11], s[10:11], s[8:9]
	v_cndmask_b32_e64 v29, v30, v32, s[2:3]
	v_cmp_eq_f32_e64 s[2:3], s35, v48
	v_cndmask_b32_e64 v30, v24, 0, s[10:11]
	v_cndmask_b32_e64 v32, 0, v31, s[6:7]
	v_bfi_b32 v30, s36, v30, v32
	s_or_b64 s[2:3], s[2:3], s[8:9]
	v_cndmask_b32_e64 v29, v29, v30, s[2:3]
	v_cmp_o_f32_e64 s[2:3], v31, v46
	v_cndmask_b32_e64 v29, v26, v29, s[2:3]
	v_mov_b32_e32 v31, s21
	v_add_co_u32_e64 v30, s[2:3], s20, v16
	v_addc_co_u32_e64 v31, s[2:3], v15, v31, s[2:3]
	global_store_dword v[30:31], v29, off
	s_or_b64 exec, exec, s[12:13]
	s_and_saveexec_b64 s[10:11], s[0:1]
	s_cbranch_execz .LBB78_14
.LBB78_18:                              ;   in Loop: Header=BB78_4 Depth=1
	s_waitcnt vmcnt(0)
	v_cndmask_b32_e64 v46, v28, 1.0, s[24:25]
	v_mov_b32_e32 v47, s30
	v_cmp_eq_f32_e64 s[0:1], 0, v46
	v_cndmask_b32_e64 v48, |v47|, 1.0, s[0:1]
	v_frexp_mant_f32_e32 v29, v48
	v_cmp_gt_f32_e64 s[2:3], s37, v29
	v_cndmask_b32_e64 v30, 1.0, 2.0, s[2:3]
	v_mul_f32_e32 v29, v29, v30
	v_add_f32_e32 v30, 1.0, v29
	v_rcp_f32_e32 v38, v30
	v_add_f32_e32 v31, -1.0, v30
	v_sub_f32_e32 v33, v29, v31
	v_add_f32_e32 v31, -1.0, v29
	v_mul_f32_e32 v29, v31, v38
	v_mul_f32_e32 v32, v30, v29
	v_fma_f32 v34, v29, v30, -v32
	v_fmac_f32_e32 v34, v29, v33
	v_add_f32_e32 v30, v32, v34
	v_sub_f32_e32 v33, v31, v30
	v_pk_add_f32 v[36:37], v[30:31], v[32:33] neg_lo:[0,1] neg_hi:[0,1]
	v_mov_b32_e32 v35, v30
	v_pk_add_f32 v[30:31], v[36:37], v[34:35] neg_lo:[0,1] neg_hi:[0,1]
	v_add_f32_e32 v30, v30, v31
	v_add_f32_e32 v30, v33, v30
	v_mul_f32_e32 v31, v38, v30
	v_add_f32_e32 v30, v29, v31
	v_sub_f32_e32 v29, v30, v29
	v_sub_f32_e32 v29, v31, v29
	v_mul_f32_e32 v31, v30, v30
	v_fma_f32 v33, v30, v30, -v31
	v_add_f32_e32 v32, v29, v29
	v_fmac_f32_e32 v33, v30, v32
	v_add_f32_e32 v32, v31, v33
	v_mov_b32_e32 v34, 0x3e91f4c4
	v_fmac_f32_e32 v34, 0x3e76c4e1, v32
	v_fma_f32 v34, v32, v34, v23
	v_sub_f32_e32 v31, v32, v31
	v_sub_f32_e32 v40, v33, v31
	v_mul_f32_e32 v31, v32, v34
	v_fma_f32 v33, v32, v34, -v31
	v_fmac_f32_e32 v33, v40, v34
	v_add_f32_e32 v34, v31, v33
	v_add_f32_e32 v35, 0x3f2aaaaa, v34
	v_sub_f32_e32 v31, v34, v31
	v_sub_f32_e32 v31, v33, v31
	v_add_f32_e32 v33, 0xbf2aaaaa, v35
	v_add_f32_e32 v31, 0x31739010, v31
	v_sub_f32_e32 v33, v34, v33
	v_pk_mul_f32 v[36:37], v[30:31], v[32:33]
	v_fma_f32 v34, v32, v30, -v36
	v_pk_add_f32 v[38:39], v[30:31], v[32:33]
	v_fmac_f32_e32 v34, v32, v29
	v_mov_b32_e32 v37, v39
	v_fmac_f32_e32 v34, v40, v30
	v_pk_add_f32 v[32:33], v[36:37], v[34:35]
	v_sub_f32_e32 v31, v32, v36
	v_sub_f32_e32 v31, v34, v31
	;; [unrolled: 1-line block ×3, first 2 shown]
	v_add_f32_e32 v38, v39, v34
	v_mov_b32_e32 v34, v33
	v_pk_mul_f32 v[34:35], v[32:33], v[34:35]
	v_cvt_f64_f32_e32 v[36:37], v48
	v_frexp_exp_i32_f64_e32 v35, v[36:37]
	v_subbrev_co_u32_e64 v35, s[2:3], 0, v35, s[2:3]
	v_cvt_f32_i32_e32 v35, v35
	v_fma_f32 v36, v32, v33, -v34
	v_fmac_f32_e32 v36, v32, v38
	v_fmac_f32_e32 v36, v31, v33
	v_mul_f32_e32 v32, 0x3f317218, v35
	v_fma_f32 v38, v35, s38, -v32
	v_fmac_f32_e32 v38, 0xb102e308, v35
	v_ldexp_f32 v39, v30, 1
	v_add_f32_e32 v33, v34, v36
	v_pk_add_f32 v[30:31], v[32:33], v[38:39]
	v_mov_b32_e32 v40, v33
	v_mov_b32_e32 v41, v31
	v_mov_b32_e32 v35, v39
	v_pk_add_f32 v[34:35], v[40:41], v[34:35] neg_lo:[0,1] neg_hi:[0,1]
	v_mov_b32_e32 v37, v33
	v_ldexp_f32 v29, v29, 1
	v_pk_add_f32 v[34:35], v[36:37], v[34:35] neg_lo:[0,1] neg_hi:[0,1]
	v_add_f32_e32 v29, v29, v34
	v_add_f32_e32 v33, v29, v35
	v_pk_add_f32 v[34:35], v[30:31], v[32:33] neg_lo:[0,1] neg_hi:[0,1]
	v_pk_add_f32 v[36:37], v[30:31], v[32:33]
	v_mov_b32_e32 v40, v34
	v_mov_b32_e32 v41, v37
	;; [unrolled: 1-line block ×3, first 2 shown]
	v_pk_add_f32 v[40:41], v[38:39], v[40:41]
	v_mov_b32_e32 v32, v41
	v_pk_add_f32 v[42:43], v[32:33], v[30:31] neg_lo:[0,1] neg_hi:[0,1]
	v_mov_b32_e32 v29, v42
	v_mov_b32_e32 v40, v37
	v_mov_b32_e32 v30, v31
	v_mov_b32_e32 v31, v42
	v_pk_add_f32 v[34:35], v[38:39], v[34:35] neg_lo:[0,1] neg_hi:[0,1]
	v_pk_add_f32 v[44:45], v[36:37], v[28:29] neg_lo:[0,1] neg_hi:[0,1]
	;; [unrolled: 1-line block ×3, first 2 shown]
	v_mov_b32_e32 v38, v33
	v_pk_add_f32 v[30:31], v[38:39], v[30:31] neg_lo:[0,1] neg_hi:[0,1]
	v_mov_b32_e32 v44, v34
	v_pk_add_f32 v[36:37], v[44:45], v[30:31]
	v_mov_b32_e32 v38, v37
	v_pk_add_f32 v[38:39], v[36:37], v[38:39]
	v_pk_add_f32 v[32:33], v[32:33], v[38:39]
	v_mov_b32_e32 v35, v41
	v_mov_b32_e32 v37, v32
	v_pk_add_f32 v[40:41], v[36:37], v[34:35] neg_lo:[0,1] neg_hi:[0,1]
	v_mov_b32_e32 v31, v38
	v_sub_f32_e32 v29, v36, v40
	v_pk_add_f32 v[30:31], v[30:31], v[40:41] neg_lo:[0,1] neg_hi:[0,1]
	v_sub_f32_e32 v29, v34, v29
	v_add_f32_e32 v29, v30, v29
	v_add_f32_e32 v29, v29, v31
	;; [unrolled: 1-line block ×3, first 2 shown]
	v_sub_f32_e32 v31, v30, v32
	v_sub_f32_e32 v29, v29, v31
	v_mul_f32_e32 v31, v46, v30
	v_fma_f32 v30, v46, v30, -v31
	v_fmac_f32_e32 v30, v46, v29
	v_add_f32_e32 v29, v31, v30
	v_cmp_class_f32_e64 s[2:3], v31, s39
	v_sub_f32_e32 v32, v29, v31
	v_cndmask_b32_e64 v29, v29, v31, s[2:3]
	v_cmp_eq_f32_e64 s[2:3], s40, v29
	v_cndmask_b32_e64 v31, 0, v25, s[2:3]
	v_sub_f32_e32 v30, v30, v32
	v_sub_f32_e32 v32, v29, v31
	v_mul_f32_e32 v33, 0x3fb8aa3b, v32
	v_fma_f32 v34, v32, s41, -v33
	v_rndne_f32_e32 v35, v33
	v_fmac_f32_e32 v34, 0x32a5705f, v32
	v_sub_f32_e32 v33, v33, v35
	v_add_f32_e32 v33, v33, v34
	v_exp_f32_e32 v33, v33
	v_cvt_i32_f32_e32 v34, v35
	v_cmp_neq_f32_e64 s[2:3], |v29|, s35
	v_cndmask_b32_e64 v29, 0, v30, s[2:3]
	v_cmp_ngt_f32_e64 s[2:3], s42, v32
	v_ldexp_f32 v30, v33, v34
	v_cndmask_b32_e64 v30, 0, v30, s[2:3]
	v_cmp_nlt_f32_e64 s[2:3], s40, v32
	v_add_f32_e32 v29, v31, v29
	v_cndmask_b32_e64 v30, v24, v30, s[2:3]
	v_fma_f32 v29, v30, v29, v30
	v_cmp_class_f32_e64 s[2:3], v30, s39
	v_trunc_f32_e32 v31, v46
	v_cndmask_b32_e64 v29, v29, v30, s[2:3]
	v_cndmask_b32_e64 v30, v47, 1.0, s[0:1]
	v_cmp_eq_f32_e64 s[0:1], v31, v46
	v_mul_f32_e32 v31, 0.5, v46
	v_trunc_f32_e32 v32, v31
	v_cmp_neq_f32_e64 s[2:3], v32, v31
	s_and_b64 s[2:3], s[0:1], s[2:3]
	v_cndmask_b32_e64 v31, 1.0, v30, s[2:3]
	v_bfi_b32 v29, s36, v29, v31
	v_cndmask_b32_e64 v31, v26, v29, s[0:1]
	v_cmp_gt_f32_e64 s[0:1], 0, v30
	v_cndmask_b32_e64 v28, |v28|, 1.0, s[24:25]
	v_cndmask_b32_e64 v29, v29, v31, s[0:1]
	v_cmp_neq_f32_e64 s[0:1], v46, v28
	v_cmp_gt_f32_e64 s[6:7], 1.0, v48
	s_xor_b64 s[0:1], s[0:1], s[6:7]
	v_cndmask_b32_e64 v31, v28, 0, s[0:1]
	v_cmp_eq_f32_e64 s[0:1], 1.0, v48
	v_cmp_eq_f32_e64 s[6:7], 0, v30
	v_cmp_gt_f32_e64 s[8:9], 0, v46
	v_cndmask_b32_e64 v31, v31, v48, s[0:1]
	v_cmp_eq_f32_e64 s[0:1], s35, v28
	s_xor_b64 s[8:9], s[8:9], s[6:7]
	v_cndmask_b32_e64 v28, v29, v31, s[0:1]
	v_cmp_eq_f32_e64 s[0:1], s35, v48
	v_cndmask_b32_e64 v29, v24, 0, s[8:9]
	v_cndmask_b32_e64 v31, 0, v30, s[2:3]
	v_bfi_b32 v29, s36, v29, v31
	s_or_b64 s[0:1], s[0:1], s[6:7]
	v_cndmask_b32_e64 v28, v28, v29, s[0:1]
	v_cmp_o_f32_e64 s[0:1], v30, v46
	v_cndmask_b32_e64 v30, v26, v28, s[0:1]
	v_mov_b32_e32 v29, s21
	v_add_co_u32_e64 v28, s[0:1], s20, v12
	v_addc_co_u32_e64 v29, s[0:1], v11, v29, s[0:1]
	global_store_dword v[28:29], v30, off
	s_or_b64 exec, exec, s[10:11]
	s_and_saveexec_b64 s[8:9], vcc
	s_cbranch_execz .LBB78_3
.LBB78_19:                              ;   in Loop: Header=BB78_4 Depth=1
	s_waitcnt vmcnt(0)
	v_cndmask_b32_e64 v44, v27, 1.0, s[24:25]
	v_mov_b32_e32 v45, s30
	v_cmp_eq_f32_e32 vcc, 0, v44
	v_cndmask_b32_e64 v46, |v45|, 1.0, vcc
	v_frexp_mant_f32_e32 v28, v46
	v_cmp_gt_f32_e64 s[0:1], s37, v28
	v_cndmask_b32_e64 v29, 1.0, 2.0, s[0:1]
	v_mul_f32_e32 v28, v28, v29
	v_add_f32_e32 v31, 1.0, v28
	v_rcp_f32_e32 v36, v31
	v_add_f32_e32 v29, -1.0, v31
	v_sub_f32_e32 v33, v28, v29
	v_add_f32_e32 v29, -1.0, v28
	v_mul_f32_e32 v37, v29, v36
	v_mul_f32_e32 v30, v31, v37
	v_fma_f32 v32, v37, v31, -v30
	v_fmac_f32_e32 v32, v37, v33
	v_add_f32_e32 v28, v30, v32
	v_sub_f32_e32 v31, v29, v28
	v_pk_add_f32 v[34:35], v[28:29], v[30:31] neg_lo:[0,1] neg_hi:[0,1]
	v_mov_b32_e32 v33, v28
	v_pk_add_f32 v[28:29], v[34:35], v[32:33] neg_lo:[0,1] neg_hi:[0,1]
	v_add_f32_e32 v28, v28, v29
	v_add_f32_e32 v28, v31, v28
	v_mul_f32_e32 v29, v36, v28
	v_add_f32_e32 v28, v37, v29
	v_sub_f32_e32 v30, v28, v37
	v_sub_f32_e32 v38, v29, v30
	v_mul_f32_e32 v29, v28, v28
	v_fma_f32 v31, v28, v28, -v29
	v_add_f32_e32 v30, v38, v38
	v_fmac_f32_e32 v31, v28, v30
	v_add_f32_e32 v30, v29, v31
	v_mov_b32_e32 v32, 0x3e91f4c4
	v_fmac_f32_e32 v32, 0x3e76c4e1, v30
	v_fma_f32 v32, v30, v32, v23
	v_sub_f32_e32 v29, v30, v29
	v_sub_f32_e32 v39, v31, v29
	v_mul_f32_e32 v29, v30, v32
	v_fma_f32 v31, v30, v32, -v29
	v_fmac_f32_e32 v31, v39, v32
	v_add_f32_e32 v32, v29, v31
	v_add_f32_e32 v33, 0x3f2aaaaa, v32
	v_sub_f32_e32 v29, v32, v29
	v_sub_f32_e32 v29, v31, v29
	v_add_f32_e32 v31, 0xbf2aaaaa, v33
	v_add_f32_e32 v29, 0x31739010, v29
	v_sub_f32_e32 v31, v32, v31
	v_pk_mul_f32 v[34:35], v[28:29], v[30:31]
	v_fma_f32 v32, v30, v28, -v34
	v_pk_add_f32 v[36:37], v[28:29], v[30:31]
	v_fmac_f32_e32 v32, v30, v38
	v_mov_b32_e32 v35, v37
	v_fmac_f32_e32 v32, v39, v28
	v_pk_add_f32 v[30:31], v[34:35], v[32:33]
	v_sub_f32_e32 v29, v30, v34
	v_sub_f32_e32 v29, v32, v29
	;; [unrolled: 1-line block ×3, first 2 shown]
	v_add_f32_e32 v36, v37, v32
	v_mov_b32_e32 v32, v31
	v_pk_mul_f32 v[32:33], v[30:31], v[32:33]
	v_cvt_f64_f32_e32 v[34:35], v46
	v_frexp_exp_i32_f64_e32 v33, v[34:35]
	v_subbrev_co_u32_e64 v33, s[0:1], 0, v33, s[0:1]
	v_cvt_f32_i32_e32 v33, v33
	v_fma_f32 v34, v30, v31, -v32
	v_fmac_f32_e32 v34, v30, v36
	v_fmac_f32_e32 v34, v29, v31
	v_mul_f32_e32 v30, 0x3f317218, v33
	v_fma_f32 v36, v33, s38, -v30
	v_fmac_f32_e32 v36, 0xb102e308, v33
	v_ldexp_f32 v37, v28, 1
	v_add_f32_e32 v31, v32, v34
	v_pk_add_f32 v[28:29], v[30:31], v[36:37]
	v_ldexp_f32 v40, v38, 1
	v_mov_b32_e32 v38, v31
	v_mov_b32_e32 v39, v29
	;; [unrolled: 1-line block ×3, first 2 shown]
	v_pk_add_f32 v[32:33], v[38:39], v[32:33] neg_lo:[0,1] neg_hi:[0,1]
	v_mov_b32_e32 v35, v31
	v_pk_add_f32 v[32:33], v[34:35], v[32:33] neg_lo:[0,1] neg_hi:[0,1]
	v_add_f32_e32 v31, v40, v32
	v_add_f32_e32 v31, v31, v33
	v_pk_add_f32 v[32:33], v[28:29], v[30:31] neg_lo:[0,1] neg_hi:[0,1]
	v_pk_add_f32 v[34:35], v[28:29], v[30:31]
	v_mov_b32_e32 v38, v32
	v_mov_b32_e32 v39, v35
	;; [unrolled: 1-line block ×3, first 2 shown]
	v_pk_add_f32 v[38:39], v[36:37], v[38:39]
	v_mov_b32_e32 v30, v39
	v_pk_add_f32 v[40:41], v[30:31], v[28:29] neg_lo:[0,1] neg_hi:[0,1]
	v_mov_b32_e32 v41, v40
	v_mov_b32_e32 v38, v35
	;; [unrolled: 1-line block ×4, first 2 shown]
	v_pk_add_f32 v[32:33], v[36:37], v[32:33] neg_lo:[0,1] neg_hi:[0,1]
	v_pk_add_f32 v[42:43], v[34:35], v[40:41] neg_lo:[0,1] neg_hi:[0,1]
	;; [unrolled: 1-line block ×3, first 2 shown]
	v_mov_b32_e32 v36, v31
	v_pk_add_f32 v[28:29], v[36:37], v[28:29] neg_lo:[0,1] neg_hi:[0,1]
	v_mov_b32_e32 v42, v32
	v_pk_add_f32 v[34:35], v[42:43], v[28:29]
	v_mov_b32_e32 v36, v35
	v_pk_add_f32 v[36:37], v[34:35], v[36:37]
	v_pk_add_f32 v[30:31], v[30:31], v[36:37]
	v_mov_b32_e32 v33, v39
	v_mov_b32_e32 v35, v30
	v_pk_add_f32 v[38:39], v[34:35], v[32:33] neg_lo:[0,1] neg_hi:[0,1]
	v_mov_b32_e32 v29, v36
	v_sub_f32_e32 v31, v34, v38
	v_pk_add_f32 v[28:29], v[28:29], v[38:39] neg_lo:[0,1] neg_hi:[0,1]
	v_sub_f32_e32 v31, v32, v31
	v_add_f32_e32 v28, v28, v31
	v_add_f32_e32 v28, v28, v29
	;; [unrolled: 1-line block ×3, first 2 shown]
	v_sub_f32_e32 v30, v29, v30
	v_sub_f32_e32 v28, v28, v30
	v_mul_f32_e32 v30, v44, v29
	v_fma_f32 v29, v44, v29, -v30
	v_fmac_f32_e32 v29, v44, v28
	v_add_f32_e32 v28, v30, v29
	v_cmp_class_f32_e64 s[0:1], v30, s39
	v_sub_f32_e32 v31, v28, v30
	v_cndmask_b32_e64 v28, v28, v30, s[0:1]
	v_cmp_eq_f32_e64 s[0:1], s40, v28
	v_cndmask_b32_e64 v30, 0, v25, s[0:1]
	v_sub_f32_e32 v29, v29, v31
	v_sub_f32_e32 v31, v28, v30
	v_mul_f32_e32 v32, 0x3fb8aa3b, v31
	v_fma_f32 v33, v31, s41, -v32
	v_rndne_f32_e32 v34, v32
	v_fmac_f32_e32 v33, 0x32a5705f, v31
	v_sub_f32_e32 v32, v32, v34
	v_add_f32_e32 v32, v32, v33
	v_exp_f32_e32 v32, v32
	v_cvt_i32_f32_e32 v33, v34
	v_cmp_neq_f32_e64 s[0:1], |v28|, s35
	v_cndmask_b32_e64 v28, 0, v29, s[0:1]
	v_cmp_ngt_f32_e64 s[0:1], s42, v31
	v_ldexp_f32 v29, v32, v33
	v_cndmask_b32_e64 v29, 0, v29, s[0:1]
	v_cmp_nlt_f32_e64 s[0:1], s40, v31
	v_add_f32_e32 v28, v30, v28
	v_cndmask_b32_e64 v29, v24, v29, s[0:1]
	v_fma_f32 v28, v29, v28, v29
	v_cmp_class_f32_e64 s[0:1], v29, s39
	v_trunc_f32_e32 v30, v44
	v_cndmask_b32_e64 v28, v28, v29, s[0:1]
	v_cndmask_b32_e64 v29, v45, 1.0, vcc
	v_cmp_eq_f32_e32 vcc, v30, v44
	v_mul_f32_e32 v30, 0.5, v44
	v_trunc_f32_e32 v31, v30
	v_cmp_neq_f32_e64 s[0:1], v31, v30
	s_and_b64 s[0:1], vcc, s[0:1]
	v_cndmask_b32_e64 v30, 1.0, v29, s[0:1]
	v_bfi_b32 v28, s36, v28, v30
	v_cndmask_b32_e32 v30, v26, v28, vcc
	v_cmp_gt_f32_e32 vcc, 0, v29
	v_cndmask_b32_e64 v27, |v27|, 1.0, s[24:25]
	v_cndmask_b32_e32 v28, v28, v30, vcc
	v_cmp_neq_f32_e32 vcc, v44, v27
	v_cmp_gt_f32_e64 s[2:3], 1.0, v46
	s_xor_b64 s[2:3], vcc, s[2:3]
	v_cndmask_b32_e64 v30, v27, 0, s[2:3]
	v_cmp_eq_f32_e32 vcc, 1.0, v46
	v_cmp_eq_f32_e64 s[2:3], 0, v29
	v_cmp_gt_f32_e64 s[6:7], 0, v44
	v_cndmask_b32_e32 v30, v30, v46, vcc
	v_cmp_eq_f32_e32 vcc, s35, v27
	s_xor_b64 s[6:7], s[6:7], s[2:3]
	v_cndmask_b32_e32 v27, v28, v30, vcc
	v_cmp_eq_f32_e32 vcc, s35, v46
	v_cndmask_b32_e64 v28, v24, 0, s[6:7]
	v_cndmask_b32_e64 v30, 0, v29, s[0:1]
	v_bfi_b32 v28, s36, v28, v30
	s_or_b64 vcc, vcc, s[2:3]
	v_cndmask_b32_e32 v27, v27, v28, vcc
	v_cmp_o_f32_e32 vcc, v29, v44
	v_cndmask_b32_e32 v27, v26, v27, vcc
	v_mov_b32_e32 v29, s21
	v_add_co_u32_e32 v28, vcc, s20, v8
	v_addc_co_u32_e32 v29, vcc, v7, v29, vcc
	global_store_dword v[28:29], v27, off
	s_branch .LBB78_3
.LBB78_20:
	s_mov_b64 s[0:1], 0
.LBB78_21:
	s_andn2_b64 vcc, exec, s[0:1]
	s_cbranch_vccnz .LBB78_25
; %bb.22:
	v_mov_b32_e32 v5, 0
	v_lshlrev_b32_e32 v4, 2, v0
	s_mov_b32 s0, 0
	v_cmp_gt_i64_e32 vcc, s[60:61], v[4:5]
	s_and_saveexec_b64 s[2:3], vcc
	s_cbranch_execz .LBB78_25
; %bb.23:
	s_load_dword s1, s[4:5], 0xc5c
	s_and_b32 s2, s30, 0x7fffffff
	v_lshlrev_b32_e32 v1, 4, v0
	s_mov_b32 s3, s30
	v_mov_b32_e32 v2, s21
	s_waitcnt lgkmcnt(0)
	s_and_b32 s1, s1, 0xffff
	v_add_co_u32_e32 v6, vcc, s20, v1
	v_mov_b32_e32 v16, s57
	v_mov_b32_e32 v18, s2
	;; [unrolled: 1-line block ×5, first 2 shown]
	s_mov_b32 s2, 0x3e91f4c4
	s_mov_b32 s57, 0x3f2aaaaa
	;; [unrolled: 1-line block ×3, first 2 shown]
	v_cmp_eq_f32_e64 s[62:63], s30, 1.0
	s_brev_b32 s33, -2
	v_addc_co_u32_e32 v7, vcc, 0, v2, vcc
	s_lshl_b32 s67, s1, 4
	v_add_lshl_u32 v4, v0, s1, 2
	s_lshl_b32 s69, s1, 2
	s_mov_b64 s[64:65], 0
	v_mov_b32_e32 v17, s59
	s_mov_b32 s59, 0x3f2aaaab
	s_mov_b32 s66, 0x3e76c4e1
	v_pk_mov_b32 v[8:9], s[2:3], s[2:3] op_sel:[0,1]
	s_mov_b32 s68, 0x3ecccdef
	s_mov_b32 s71, 0xbf2aaaaa
	;; [unrolled: 1-line block ×5, first 2 shown]
	v_mov_b32_e32 v22, 0x204
	s_movk_i32 s73, 0x204
	s_mov_b32 s75, 0x42b17218
	v_mov_b32_e32 v23, 0x37000000
	s_mov_b32 s77, 0x3fb8aa3b
	s_mov_b32 s80, 0xc2ce8ed0
	;; [unrolled: 1-line block ×3, first 2 shown]
	v_mov_b32_e32 v24, 0x7f800000
	v_mov_b32_e32 v25, s30
	;; [unrolled: 1-line block ×6, first 2 shown]
	s_mov_b64 s[78:79], 0xffff
	v_mov_b32_e32 v30, s0
	v_mov_b32_e32 v31, s0
	;; [unrolled: 1-line block ×3, first 2 shown]
.LBB78_24:                              ; =>This Inner Loop Header: Depth=1
	v_add_co_u32_e32 v0, vcc, s56, v6
	v_addc_co_u32_e32 v1, vcc, v16, v7, vcc
	global_load_dwordx4 v[0:3], v[0:1], off
	s_waitcnt vmcnt(0)
	v_cndmask_b32_e64 v15, v1, 1.0, s[62:63]
	v_cndmask_b32_e64 v14, v0, 1.0, s[62:63]
	v_cmp_eq_f32_e64 s[2:3], 0, v15
	v_cmp_eq_f32_e64 s[4:5], 0, v14
	v_cndmask_b32_e64 v13, v3, 1.0, s[62:63]
	v_cndmask_b32_e64 v12, v2, 1.0, s[62:63]
	;; [unrolled: 1-line block ×4, first 2 shown]
	v_cmp_eq_f32_e32 vcc, 0, v13
	v_cmp_eq_f32_e64 s[0:1], 0, v12
	v_frexp_mant_f32_e32 v40, v37
	v_frexp_mant_f32_e32 v41, v36
	v_cndmask_b32_e64 v32, |v1|, 1.0, s[62:63]
	v_cndmask_b32_e64 v33, |v0|, 1.0, s[62:63]
	v_cndmask_b32_e64 v34, v18, 1.0, vcc
	v_cndmask_b32_e64 v35, v19, 1.0, s[0:1]
	v_pk_mul_f32 v[0:1], v[12:13], 0.5 op_sel_hi:[1,0]
	v_cmp_gt_f32_e64 s[14:15], s59, v41
	v_cmp_gt_f32_e64 s[18:19], s59, v40
	v_frexp_mant_f32_e32 v42, v35
	v_frexp_mant_f32_e32 v43, v34
	v_trunc_f32_e32 v10, v1
	v_trunc_f32_e32 v48, v0
	v_cndmask_b32_e64 v45, 1.0, 2.0, s[14:15]
	v_cndmask_b32_e64 v44, 1.0, 2.0, s[18:19]
	v_pk_mul_f32 v[38:39], v[14:15], 0.5 op_sel_hi:[1,0]
	v_cmp_gt_f32_e64 s[16:17], s59, v43
	v_cmp_gt_f32_e64 s[20:21], s59, v42
	v_cmp_neq_f32_e64 s[8:9], v10, v1
	v_cmp_neq_f32_e64 s[6:7], v48, v0
	v_pk_mul_f32 v[0:1], v[40:41], v[44:45]
	v_trunc_f32_e32 v49, v38
	v_trunc_f32_e32 v50, v39
	v_cndmask_b32_e64 v47, 1.0, 2.0, s[16:17]
	v_cndmask_b32_e64 v46, 1.0, 2.0, s[20:21]
	v_pk_add_f32 v[40:41], v[0:1], 1.0 op_sel_hi:[1,0]
	v_cmp_neq_f32_e64 s[10:11], v50, v39
	v_cmp_neq_f32_e64 s[12:13], v49, v38
	v_pk_mul_f32 v[38:39], v[42:43], v[46:47]
	v_rcp_f32_e32 v48, v40
	v_rcp_f32_e32 v49, v41
	v_pk_add_f32 v[44:45], v[38:39], 1.0 op_sel_hi:[1,0]
	v_rcp_f32_e32 v54, v44
	v_rcp_f32_e32 v55, v45
	v_pk_add_f32 v[42:43], -1.0, v[0:1] op_sel_hi:[0,1]
	v_pk_add_f32 v[50:51], -1.0, v[40:41] op_sel_hi:[0,1]
	v_pk_add_f32 v[0:1], v[0:1], v[50:51] neg_lo:[0,1] neg_hi:[0,1]
	v_pk_mul_f32 v[50:51], v[42:43], v[48:49]
	v_pk_add_f32 v[46:47], -1.0, v[38:39] op_sel_hi:[0,1]
	v_pk_add_f32 v[52:53], -1.0, v[44:45] op_sel_hi:[0,1]
	v_pk_mul_f32 v[56:57], v[40:41], v[50:51]
	v_pk_add_f32 v[38:39], v[38:39], v[52:53] neg_lo:[0,1] neg_hi:[0,1]
	v_pk_mul_f32 v[52:53], v[46:47], v[54:55]
	v_pk_fma_f32 v[40:41], v[50:51], v[40:41], v[56:57] neg_lo:[0,0,1] neg_hi:[0,0,1]
	v_pk_mul_f32 v[58:59], v[44:45], v[52:53]
	v_pk_fma_f32 v[0:1], v[50:51], v[0:1], v[40:41]
	v_pk_fma_f32 v[44:45], v[52:53], v[44:45], v[58:59] neg_lo:[0,0,1] neg_hi:[0,0,1]
	v_pk_add_f32 v[40:41], v[56:57], v[0:1]
	v_pk_fma_f32 v[38:39], v[52:53], v[38:39], v[44:45]
	v_pk_add_f32 v[60:61], v[42:43], v[40:41] neg_lo:[0,1] neg_hi:[0,1]
	v_pk_add_f32 v[44:45], v[58:59], v[38:39]
	v_pk_add_f32 v[56:57], v[40:41], v[56:57] neg_lo:[0,1] neg_hi:[0,1]
	v_pk_add_f32 v[42:43], v[42:43], v[60:61] neg_lo:[0,1] neg_hi:[0,1]
	;; [unrolled: 1-line block ×7, first 2 shown]
	v_pk_add_f32 v[0:1], v[0:1], v[40:41]
	v_pk_add_f32 v[38:39], v[58:59], v[38:39] neg_lo:[0,1] neg_hi:[0,1]
	v_pk_add_f32 v[42:43], v[46:47], v[44:45] neg_lo:[0,1] neg_hi:[0,1]
	v_pk_add_f32 v[0:1], v[60:61], v[0:1]
	v_pk_add_f32 v[38:39], v[38:39], v[42:43]
	v_pk_mul_f32 v[0:1], v[48:49], v[0:1]
	v_pk_add_f32 v[38:39], v[62:63], v[38:39]
	v_pk_add_f32 v[40:41], v[50:51], v[0:1]
	v_pk_mul_f32 v[38:39], v[54:55], v[38:39]
	v_pk_add_f32 v[44:45], v[40:41], v[50:51] neg_lo:[0,1] neg_hi:[0,1]
	v_pk_add_f32 v[42:43], v[52:53], v[38:39]
	v_pk_mul_f32 v[46:47], v[40:41], v[40:41]
	v_pk_add_f32 v[0:1], v[0:1], v[44:45] neg_lo:[0,1] neg_hi:[0,1]
	v_pk_add_f32 v[48:49], v[42:43], v[52:53] neg_lo:[0,1] neg_hi:[0,1]
	v_pk_fma_f32 v[44:45], v[40:41], v[40:41], v[46:47] neg_lo:[0,0,1] neg_hi:[0,0,1]
	v_pk_add_f32 v[52:53], v[0:1], v[0:1]
	v_pk_mul_f32 v[50:51], v[42:43], v[42:43]
	v_pk_add_f32 v[38:39], v[38:39], v[48:49] neg_lo:[0,1] neg_hi:[0,1]
	v_pk_fma_f32 v[44:45], v[40:41], v[52:53], v[44:45]
	v_pk_fma_f32 v[48:49], v[42:43], v[42:43], v[50:51] neg_lo:[0,0,1] neg_hi:[0,0,1]
	v_pk_add_f32 v[54:55], v[38:39], v[38:39]
	v_pk_add_f32 v[52:53], v[46:47], v[44:45]
	v_pk_fma_f32 v[48:49], v[42:43], v[54:55], v[48:49]
	v_pk_add_f32 v[46:47], v[52:53], v[46:47] neg_lo:[0,1] neg_hi:[0,1]
	v_pk_fma_f32 v[58:59], v[52:53], s[66:67], v[8:9] op_sel_hi:[1,0,0]
	v_pk_add_f32 v[54:55], v[50:51], v[48:49]
	v_pk_mul_f32 v[56:57], v[40:41], v[52:53]
	v_pk_add_f32 v[44:45], v[44:45], v[46:47] neg_lo:[0,1] neg_hi:[0,1]
	v_pk_fma_f32 v[46:47], v[52:53], v[58:59], s[68:69] op_sel_hi:[1,1,0]
	v_pk_add_f32 v[50:51], v[54:55], v[50:51] neg_lo:[0,1] neg_hi:[0,1]
	v_pk_fma_f32 v[60:61], v[54:55], s[66:67], v[8:9] op_sel_hi:[1,0,0]
	v_pk_fma_f32 v[58:59], v[52:53], v[40:41], v[56:57] neg_lo:[0,0,1] neg_hi:[0,0,1]
	v_pk_mul_f32 v[64:65], v[52:53], v[46:47]
	v_pk_mul_f32 v[62:63], v[42:43], v[54:55]
	v_pk_add_f32 v[48:49], v[48:49], v[50:51] neg_lo:[0,1] neg_hi:[0,1]
	v_pk_fma_f32 v[50:51], v[54:55], v[60:61], s[68:69] op_sel_hi:[1,1,0]
	v_pk_fma_f32 v[58:59], v[52:53], v[0:1], v[58:59]
	v_pk_fma_f32 v[52:53], v[52:53], v[46:47], v[64:65] neg_lo:[0,0,1] neg_hi:[0,0,1]
	v_pk_fma_f32 v[60:61], v[54:55], v[42:43], v[62:63] neg_lo:[0,0,1] neg_hi:[0,0,1]
	v_pk_fma_f32 v[46:47], v[44:45], v[46:47], v[52:53]
	v_pk_mul_f32 v[52:53], v[54:55], v[50:51]
	v_pk_fma_f32 v[60:61], v[54:55], v[38:39], v[60:61]
	v_pk_fma_f32 v[54:55], v[54:55], v[50:51], v[52:53] neg_lo:[0,0,1] neg_hi:[0,0,1]
	v_pk_fma_f32 v[44:45], v[44:45], v[40:41], v[58:59]
	v_pk_fma_f32 v[58:59], v[48:49], v[42:43], v[60:61]
	;; [unrolled: 1-line block ×3, first 2 shown]
	v_pk_add_f32 v[50:51], v[64:65], v[46:47]
	v_mov_b32_e32 v10, v46
	v_pk_add_f32 v[54:55], v[50:51], v[64:65] neg_lo:[0,1] neg_hi:[0,1]
	v_mov_b32_e32 v61, v50
	v_pk_add_f32 v[60:61], v[10:11], v[60:61]
	v_pk_add_f32 v[64:65], v[46:47], v[54:55] neg_lo:[0,1] neg_hi:[0,1]
	v_mov_b32_e32 v10, v47
	v_mov_b32_e32 v46, v55
	v_pk_add_f32 v[46:47], v[10:11], v[46:47] neg_lo:[0,1] neg_hi:[0,1]
	v_pk_add_f32 v[54:55], v[50:51], s[56:57]
	v_mov_b32_e32 v65, v61
	v_mov_b32_e32 v47, v55
	v_pk_add_f32 v[54:55], v[64:65], s[70:71]
	v_pk_add_f32 v[46:47], v[46:47], s[70:71]
	v_mov_b32_e32 v64, v55
	v_mov_b32_e32 v65, v47
	;; [unrolled: 1-line block ×3, first 2 shown]
	v_pk_add_f32 v[46:47], v[50:51], s[72:73] op_sel_hi:[1,0]
	v_pk_add_f32 v[50:51], v[50:51], v[64:65] neg_lo:[0,1] neg_hi:[0,1]
	v_pk_add_f32 v[50:51], v[54:55], v[50:51]
	v_pk_add_f32 v[60:61], v[56:57], v[44:45]
	;; [unrolled: 1-line block ×3, first 2 shown]
	v_pk_add_f32 v[46:47], v[46:47], v[54:55] neg_lo:[0,1] neg_hi:[0,1]
	v_pk_mul_f32 v[64:65], v[60:61], v[54:55]
	v_pk_add_f32 v[46:47], v[50:51], v[46:47]
	v_pk_fma_f32 v[50:51], v[60:61], v[54:55], v[64:65] neg_lo:[0,0,1] neg_hi:[0,0,1]
	v_pk_fma_f32 v[46:47], v[60:61], v[46:47], v[50:51]
	v_cvt_f64_f32_e32 v[50:51], v37
	v_frexp_exp_i32_f64_e32 v66, v[50:51]
	v_cvt_f64_f32_e32 v[50:51], v36
	v_frexp_exp_i32_f64_e32 v67, v[50:51]
	v_pk_add_f32 v[50:51], v[60:61], v[56:57] neg_lo:[0,1] neg_hi:[0,1]
	v_pk_add_f32 v[56:57], v[52:53], v[48:49]
	v_pk_add_f32 v[52:53], v[56:57], v[52:53] neg_lo:[0,1] neg_hi:[0,1]
	v_pk_add_f32 v[44:45], v[44:45], v[50:51] neg_lo:[0,1] neg_hi:[0,1]
	v_mov_b32_e32 v50, v49
	v_mov_b32_e32 v10, v48
	v_pk_add_f32 v[48:49], v[48:49], v[52:53] neg_lo:[0,1] neg_hi:[0,1]
	v_mov_b32_e32 v52, v53
	v_mov_b32_e32 v49, v56
	v_pk_add_f32 v[50:51], v[50:51], v[52:53] neg_lo:[0,1] neg_hi:[0,1]
	v_pk_add_f32 v[52:53], v[10:11], v[48:49]
	v_mov_b32_e32 v49, v53
	v_pk_add_f32 v[52:53], v[56:57], s[56:57]
	v_mov_b32_e32 v51, v53
	v_pk_add_f32 v[48:49], v[48:49], s[70:71]
	v_pk_add_f32 v[50:51], v[50:51], s[70:71]
	v_mov_b32_e32 v52, v49
	v_mov_b32_e32 v53, v51
	;; [unrolled: 1-line block ×3, first 2 shown]
	v_cvt_f64_f32_e32 v[50:51], v35
	v_frexp_exp_i32_f64_e32 v10, v[50:51]
	v_cvt_f64_f32_e32 v[50:51], v34
	v_frexp_exp_i32_f64_e32 v60, v[50:51]
	v_pk_add_f32 v[52:53], v[56:57], v[52:53] neg_lo:[0,1] neg_hi:[0,1]
	v_subbrev_co_u32_e64 v51, s[14:15], 0, v67, s[14:15]
	v_subbrev_co_u32_e64 v10, s[14:15], 0, v10, s[20:21]
	;; [unrolled: 1-line block ×3, first 2 shown]
	v_pk_add_f32 v[48:49], v[48:49], v[52:53]
	v_pk_add_f32 v[56:57], v[56:57], s[72:73] op_sel_hi:[1,0]
	v_cvt_f32_i32_e32 v61, v60
	v_cvt_f32_i32_e32 v60, v10
	v_pk_add_f32 v[52:53], v[62:63], v[58:59]
	v_pk_fma_f32 v[44:45], v[44:45], v[54:55], v[46:47]
	v_pk_add_f32 v[46:47], v[56:57], v[48:49]
	v_pk_add_f32 v[54:55], v[56:57], v[46:47] neg_lo:[0,1] neg_hi:[0,1]
	v_pk_mul_f32 v[56:57], v[52:53], v[46:47]
	v_pk_add_f32 v[48:49], v[48:49], v[54:55]
	v_pk_fma_f32 v[54:55], v[52:53], v[46:47], v[56:57] neg_lo:[0,0,1] neg_hi:[0,0,1]
	v_pk_fma_f32 v[48:49], v[52:53], v[48:49], v[54:55]
	v_pk_add_f32 v[52:53], v[52:53], v[62:63] neg_lo:[0,1] neg_hi:[0,1]
	v_pk_mul_f32 v[62:63], v[60:61], s[74:75] op_sel_hi:[1,0]
	v_pk_add_f32 v[52:53], v[58:59], v[52:53] neg_lo:[0,1] neg_hi:[0,1]
	v_pk_fma_f32 v[46:47], v[52:53], v[46:47], v[48:49]
	v_pk_fma_f32 v[48:49], v[60:61], s[74:75], v[62:63] op_sel_hi:[1,0,1] neg_lo:[0,0,1] neg_hi:[0,0,1]
	v_subbrev_co_u32_e64 v50, s[18:19], 0, v66, s[18:19]
	v_pk_fma_f32 v[48:49], v[60:61], s[76:77], v[48:49] op_sel_hi:[1,0,1]
	v_pk_add_f32 v[60:61], v[64:65], v[44:45]
	v_cvt_f32_i32_e32 v51, v51
	v_cvt_f32_i32_e32 v50, v50
	v_pk_add_f32 v[64:65], v[60:61], v[64:65] neg_lo:[0,1] neg_hi:[0,1]
	v_pk_add_f32 v[44:45], v[44:45], v[64:65] neg_lo:[0,1] neg_hi:[0,1]
	v_pk_add_f32 v[64:65], v[56:57], v[46:47]
	v_ldexp_f32 v40, v40, 1
	v_ldexp_f32 v41, v41, 1
	v_pk_add_f32 v[56:57], v[64:65], v[56:57] neg_lo:[0,1] neg_hi:[0,1]
	v_ldexp_f32 v42, v42, 1
	v_ldexp_f32 v43, v43, 1
	;; [unrolled: 1-line block ×4, first 2 shown]
	v_pk_add_f32 v[46:47], v[46:47], v[56:57] neg_lo:[0,1] neg_hi:[0,1]
	v_pk_add_f32 v[56:57], v[40:41], v[60:61]
	v_pk_mul_f32 v[54:55], v[50:51], s[74:75] op_sel_hi:[1,0]
	v_pk_add_f32 v[40:41], v[56:57], v[40:41] neg_lo:[0,1] neg_hi:[0,1]
	v_pk_add_f32 v[0:1], v[0:1], v[44:45]
	v_pk_add_f32 v[44:45], v[42:43], v[64:65]
	v_pk_fma_f32 v[58:59], v[50:51], s[74:75], v[54:55] op_sel_hi:[1,0,1] neg_lo:[0,0,1] neg_hi:[0,0,1]
	v_ldexp_f32 v38, v38, 1
	v_ldexp_f32 v39, v39, 1
	v_pk_add_f32 v[40:41], v[60:61], v[40:41] neg_lo:[0,1] neg_hi:[0,1]
	v_pk_add_f32 v[42:43], v[44:45], v[42:43] neg_lo:[0,1] neg_hi:[0,1]
	v_pk_fma_f32 v[50:51], v[50:51], s[76:77], v[58:59] op_sel_hi:[1,0,1]
	v_pk_add_f32 v[42:43], v[64:65], v[42:43] neg_lo:[0,1] neg_hi:[0,1]
	v_pk_add_f32 v[38:39], v[38:39], v[46:47]
	v_pk_add_f32 v[0:1], v[0:1], v[40:41]
	;; [unrolled: 1-line block ×8, first 2 shown]
	v_mov_b32_e32 v53, v55
	v_mov_b32_e32 v52, v60
	;; [unrolled: 1-line block ×4, first 2 shown]
	v_pk_add_f32 v[68:69], v[64:65], v[66:67]
	v_mov_b32_e32 v59, v63
	v_mov_b32_e32 v58, v64
	v_pk_add_f32 v[46:47], v[46:47], v[52:53] neg_lo:[0,1] neg_hi:[0,1]
	v_mov_b32_e32 v53, v65
	v_mov_b32_e32 v52, v68
	v_pk_add_f32 v[52:53], v[52:53], v[58:59] neg_lo:[0,1] neg_hi:[0,1]
	v_mov_b32_e32 v59, v51
	v_mov_b32_e32 v58, v40
	;; [unrolled: 1-line block ×4, first 2 shown]
	v_pk_add_f32 v[58:59], v[58:59], v[46:47] neg_lo:[0,1] neg_hi:[0,1]
	v_mov_b32_e32 v47, v57
	v_pk_add_f32 v[46:47], v[70:71], v[46:47] neg_lo:[0,1] neg_hi:[0,1]
	v_mov_b32_e32 v71, v1
	v_mov_b32_e32 v1, v41
	v_mov_b32_e32 v41, v43
	v_mov_b32_e32 v57, v61
	v_pk_add_f32 v[40:41], v[40:41], v[56:57] neg_lo:[0,1] neg_hi:[0,1]
	v_mov_b32_e32 v57, v49
	v_mov_b32_e32 v56, v66
	;; [unrolled: 1-line block ×4, first 2 shown]
	v_pk_add_f32 v[56:57], v[56:57], v[52:53] neg_lo:[0,1] neg_hi:[0,1]
	v_mov_b32_e32 v53, v45
	v_pk_add_f32 v[52:53], v[72:73], v[52:53] neg_lo:[0,1] neg_hi:[0,1]
	v_mov_b32_e32 v73, v39
	v_mov_b32_e32 v39, v67
	;; [unrolled: 1-line block ×4, first 2 shown]
	v_pk_add_f32 v[44:45], v[66:67], v[44:45] neg_lo:[0,1] neg_hi:[0,1]
	v_mov_b32_e32 v55, v41
	v_mov_b32_e32 v72, v64
	v_trunc_f32_e32 v49, v15
	v_mov_b32_e32 v51, v61
	v_mov_b32_e32 v61, v43
	;; [unrolled: 1-line block ×3, first 2 shown]
	v_pk_add_f32 v[0:1], v[0:1], v[40:41] neg_lo:[0,1] neg_hi:[0,1]
	v_pk_add_f32 v[40:41], v[72:73], v[52:53] neg_lo:[0,1] neg_hi:[0,1]
	v_mov_b32_e32 v63, v45
	v_pk_add_f32 v[38:39], v[38:39], v[44:45] neg_lo:[0,1] neg_hi:[0,1]
	v_pk_add_f32 v[44:45], v[60:61], v[54:55] neg_lo:[0,1] neg_hi:[0,1]
	v_trunc_f32_e32 v52, v12
	v_trunc_f32_e32 v53, v13
	v_cmp_eq_f32_e64 s[24:25], v49, v15
	v_mov_b32_e32 v49, v65
	v_mov_b32_e32 v65, v69
	v_cndmask_b32_e64 v3, |v3|, 1.0, s[62:63]
	v_cndmask_b32_e64 v2, |v2|, 1.0, s[62:63]
	v_pk_add_f32 v[46:47], v[70:71], v[46:47] neg_lo:[0,1] neg_hi:[0,1]
	v_cmp_eq_f32_e64 s[14:15], v53, v13
	v_cndmask_b32_e64 v60, v25, 1.0, s[4:5]
	v_cmp_eq_f32_e64 s[4:5], v52, v12
	v_pk_add_f32 v[52:53], v[64:65], v[62:63] neg_lo:[0,1] neg_hi:[0,1]
	v_pk_add_f32 v[44:45], v[50:51], v[44:45] neg_lo:[0,1] neg_hi:[0,1]
	v_trunc_f32_e32 v10, v14
	v_cmp_neq_f32_e64 s[34:35], v13, v3
	v_cmp_neq_f32_e64 s[36:37], v2, v12
	;; [unrolled: 1-line block ×4, first 2 shown]
	v_cmp_gt_f32_e64 s[48:49], 1.0, v34
	v_cmp_gt_f32_e64 s[50:51], 1.0, v35
	;; [unrolled: 1-line block ×4, first 2 shown]
	v_pk_add_f32 v[48:49], v[48:49], v[52:53] neg_lo:[0,1] neg_hi:[0,1]
	v_pk_add_f32 v[50:51], v[0:1], v[44:45]
	v_pk_add_f32 v[52:53], v[58:59], v[46:47]
	v_cndmask_b32_e64 v61, v26, 1.0, s[2:3]
	v_cmp_eq_f32_e64 s[28:29], v10, v14
	v_cndmask_b32_e64 v10, v28, 1.0, vcc
	s_xor_b64 s[40:41], s[40:41], s[54:55]
	s_xor_b64 s[38:39], s[38:39], s[52:53]
	;; [unrolled: 1-line block ×4, first 2 shown]
	v_mov_b32_e32 v45, v59
	v_mov_b32_e32 v1, v47
	v_pk_add_f32 v[46:47], v[38:39], v[48:49]
	v_pk_add_f32 v[54:55], v[56:57], v[40:41]
	v_mov_b32_e32 v39, v41
	v_mov_b32_e32 v41, v53
	;; [unrolled: 1-line block ×3, first 2 shown]
	v_cmp_gt_f32_e64 s[42:43], 0, v15
	v_cmp_gt_f32_e64 s[46:47], 0, v13
	v_cndmask_b32_e64 v66, v27, 1.0, s[0:1]
	v_cmp_eq_f32_e64 s[26:27], 0, v10
	v_cmp_eq_f32_e64 s[2:3], 0, v61
	v_cndmask_b32_e64 v62, v33, 0, s[40:41]
	v_cndmask_b32_e64 v63, v32, 0, s[38:39]
	;; [unrolled: 1-line block ×4, first 2 shown]
	v_cmp_eq_f32_e64 s[34:35], 1.0, v37
	v_cmp_eq_f32_e64 s[36:37], 1.0, v36
	v_mov_b32_e32 v49, v57
	v_pk_add_f32 v[50:51], v[52:53], v[50:51]
	v_mov_b32_e32 v53, v55
	v_mov_b32_e32 v52, v46
	v_pk_add_f32 v[46:47], v[54:55], v[46:47]
	v_pk_add_f32 v[54:55], v[40:41], v[44:45] neg_lo:[0,1] neg_hi:[0,1]
	v_cmp_gt_f32_e64 s[44:45], 0, v12
	v_cmp_eq_f32_e32 vcc, s81, v36
	v_cmp_eq_f32_e64 s[0:1], s81, v37
	v_cmp_eq_f32_e64 s[22:23], 0, v66
	v_cmp_eq_f32_e64 s[38:39], 1.0, v35
	v_cmp_eq_f32_e64 s[40:41], 1.0, v34
	s_xor_b64 s[42:43], s[42:43], s[2:3]
	v_pk_add_f32 v[40:41], v[40:41], v[54:55] neg_lo:[0,1] neg_hi:[0,1]
	v_pk_add_f32 v[0:1], v[0:1], v[54:55] neg_lo:[0,1] neg_hi:[0,1]
	;; [unrolled: 1-line block ×3, first 2 shown]
	v_cndmask_b32_e64 v56, v62, v37, s[34:35]
	s_xor_b64 s[34:35], s[46:47], s[26:27]
	v_cndmask_b32_e64 v58, v63, v36, s[36:37]
	s_and_b64 s[8:9], s[14:15], s[8:9]
	v_pk_add_f32 v[36:37], v[42:43], v[50:51]
	v_cmp_eq_f32_e64 s[16:17], s81, v34
	v_cmp_eq_f32_e64 s[18:19], s81, v35
	v_pk_add_f32 v[52:53], v[52:53], v[54:55] neg_lo:[0,1] neg_hi:[0,1]
	v_pk_add_f32 v[38:39], v[38:39], v[54:55] neg_lo:[0,1] neg_hi:[0,1]
	v_cndmask_b32_e64 v54, v24, 0, s[42:43]
	s_xor_b64 s[42:43], s[44:45], s[22:23]
	v_cndmask_b32_e64 v57, v24, 0, s[34:35]
	v_cndmask_b32_e64 v62, v64, v35, s[38:39]
	s_and_b64 s[6:7], s[4:5], s[6:7]
	v_cndmask_b32_e64 v64, v65, v34, s[40:41]
	v_pk_add_f32 v[34:35], v[44:45], v[40:41] neg_lo:[0,1] neg_hi:[0,1]
	v_pk_add_f32 v[40:41], v[36:37], v[42:43] neg_lo:[0,1] neg_hi:[0,1]
	v_cndmask_b32_e64 v43, 0, v10, s[8:9]
	v_cmp_gt_f32_e64 s[30:31], 0, v14
	v_cmp_eq_f32_e64 s[20:21], 0, v60
	v_cndmask_b32_e64 v55, v24, 0, s[42:43]
	s_and_b64 s[10:11], s[24:25], s[10:11]
	v_pk_add_f32 v[40:41], v[50:51], v[40:41] neg_lo:[0,1] neg_hi:[0,1]
	v_bfi_b32 v50, s33, v57, v43
	v_cndmask_b32_e64 v43, 0, v66, s[6:7]
	s_xor_b64 s[30:31], s[30:31], s[20:21]
	s_and_b64 s[12:13], s[28:29], s[12:13]
	v_bfi_b32 v51, s33, v55, v43
	v_cndmask_b32_e64 v43, 0, v61, s[10:11]
	v_cndmask_b32_e64 v42, v24, 0, s[30:31]
	v_bfi_b32 v54, s33, v54, v43
	v_cndmask_b32_e64 v43, 0, v60, s[12:13]
	v_pk_add_f32 v[44:45], v[68:69], v[46:47]
	v_bfi_b32 v57, s33, v42, v43
	v_pk_add_f32 v[42:43], v[48:49], v[52:53] neg_lo:[0,1] neg_hi:[0,1]
	v_pk_add_f32 v[48:49], v[44:45], v[68:69] neg_lo:[0,1] neg_hi:[0,1]
	;; [unrolled: 1-line block ×3, first 2 shown]
	v_pk_add_f32 v[0:1], v[0:1], v[34:35]
	v_pk_add_f32 v[34:35], v[38:39], v[42:43]
	;; [unrolled: 1-line block ×6, first 2 shown]
	v_pk_add_f32 v[36:37], v[38:39], v[36:37] neg_lo:[0,1] neg_hi:[0,1]
	v_pk_mul_f32 v[42:43], v[14:15], v[38:39]
	v_pk_add_f32 v[44:45], v[40:41], v[44:45] neg_lo:[0,1] neg_hi:[0,1]
	v_pk_mul_f32 v[46:47], v[12:13], v[40:41]
	v_pk_add_f32 v[0:1], v[0:1], v[36:37] neg_lo:[0,1] neg_hi:[0,1]
	v_pk_fma_f32 v[36:37], v[14:15], v[38:39], v[42:43] neg_lo:[0,0,1] neg_hi:[0,0,1]
	v_pk_add_f32 v[34:35], v[34:35], v[44:45] neg_lo:[0,1] neg_hi:[0,1]
	v_pk_fma_f32 v[38:39], v[12:13], v[40:41], v[46:47] neg_lo:[0,0,1] neg_hi:[0,0,1]
	v_pk_fma_f32 v[34:35], v[12:13], v[34:35], v[38:39]
	v_cndmask_b32_e64 v55, 1.0, v60, s[12:13]
	v_pk_fma_f32 v[0:1], v[14:15], v[0:1], v[36:37]
	v_pk_add_f32 v[38:39], v[46:47], v[34:35]
	v_cmp_class_f32_e64 s[12:13], v47, v22
	v_cndmask_b32_e64 v65, 1.0, v61, s[10:11]
	v_pk_add_f32 v[36:37], v[42:43], v[0:1]
	v_cmp_class_f32_e64 s[10:11], v42, v22
	v_cmp_class_f32_e64 s[30:31], v46, v22
	;; [unrolled: 1-line block ×3, first 2 shown]
	v_cndmask_b32_e64 v44, v39, v47, s[12:13]
	v_cndmask_b32_e64 v40, v37, v43, s[34:35]
	;; [unrolled: 1-line block ×3, first 2 shown]
	v_pk_add_f32 v[36:37], v[36:37], v[42:43] neg_lo:[0,1] neg_hi:[0,1]
	v_cndmask_b32_e64 v42, v38, v46, s[30:31]
	v_cmp_neq_f32_e64 s[10:11], s75, v44
	v_pk_add_f32 v[38:39], v[38:39], v[46:47] neg_lo:[0,1] neg_hi:[0,1]
	v_pk_add_f32 v[0:1], v[0:1], v[36:37] neg_lo:[0,1] neg_hi:[0,1]
	v_cndmask_b32_e64 v37, v23, 0, s[10:11]
	v_cmp_neq_f32_e64 s[10:11], s75, v42
	v_pk_add_f32 v[34:35], v[34:35], v[38:39] neg_lo:[0,1] neg_hi:[0,1]
	v_cmp_class_f32_e64 s[12:13], v42, s73
	v_cmp_class_f32_e64 s[30:31], v44, s73
	v_cndmask_b32_e64 v36, v23, 0, s[10:11]
	v_cmp_neq_f32_e64 s[10:11], s75, v40
	v_cndmask_b32_e64 v39, v23, 0, s[10:11]
	v_cmp_neq_f32_e64 s[10:11], s75, v41
	v_cndmask_b32_e64 v35, v35, 0, s[30:31]
	v_cndmask_b32_e64 v34, v34, 0, s[12:13]
	v_sub_f32_e32 v43, v44, v37
	v_cmp_class_f32_e64 s[34:35], v41, s73
	v_cndmask_b32_e64 v38, v23, 0, s[10:11]
	v_cmp_class_f32_e64 s[10:11], v40, s73
	v_sub_f32_e32 v42, v42, v36
	v_pk_add_f32 v[34:35], v[36:37], v[34:35]
	v_mul_f32_e32 v36, 0x3fb8aa3b, v43
	v_cndmask_b32_e64 v1, v1, 0, s[10:11]
	v_cndmask_b32_e64 v0, v0, 0, s[34:35]
	v_sub_f32_e32 v41, v41, v38
	v_sub_f32_e32 v40, v40, v39
	v_mul_f32_e32 v37, 0x3fb8aa3b, v42
	v_fma_f32 v44, v43, s77, -v36
	v_rndne_f32_e32 v45, v36
	v_pk_add_f32 v[0:1], v[38:39], v[0:1]
	v_mul_f32_e32 v38, 0x3fb8aa3b, v40
	v_mul_f32_e32 v39, 0x3fb8aa3b, v41
	v_fma_f32 v46, v42, s77, -v37
	v_rndne_f32_e32 v47, v37
	v_fmac_f32_e32 v44, 0x32a5705f, v43
	v_sub_f32_e32 v36, v36, v45
	v_rndne_f32_e32 v49, v38
	v_add_f32_e32 v44, v36, v44
	v_fma_f32 v36, v41, s77, -v39
	v_fmac_f32_e32 v46, 0x32a5705f, v42
	v_sub_f32_e32 v37, v37, v47
	v_rndne_f32_e32 v52, v39
	v_fma_f32 v48, v40, s77, -v38
	v_add_f32_e32 v46, v37, v46
	v_sub_f32_e32 v37, v38, v49
	v_fmac_f32_e32 v36, 0x32a5705f, v41
	v_sub_f32_e32 v38, v39, v52
	v_fmac_f32_e32 v48, 0x32a5705f, v40
	v_add_f32_e32 v38, v38, v36
	v_add_co_u32_e64 v36, s[10:11], s58, v6
	v_add_f32_e32 v39, v37, v48
	v_addc_co_u32_e64 v37, s[10:11], v17, v7, s[10:11]
	v_add_co_u32_e64 v6, s[10:11], s67, v6
	v_cvt_i32_f32_e32 v45, v45
	v_cvt_i32_f32_e32 v47, v47
	;; [unrolled: 1-line block ×4, first 2 shown]
	v_exp_f32_e32 v44, v44
	v_exp_f32_e32 v46, v46
	;; [unrolled: 1-line block ×4, first 2 shown]
	v_addc_co_u32_e64 v7, s[10:11], v7, v30, s[10:11]
	v_cndmask_b32_e64 v59, 1.0, v10, s[8:9]
	v_cndmask_b32_e64 v63, 1.0, v66, s[6:7]
	v_cmp_le_i64_e64 s[6:7], s[60:61], v[4:5]
	v_cmp_lt_u64_e64 s[8:9], s[78:79], v[4:5]
	v_add_co_u32_e64 v4, s[10:11], s69, v4
	v_addc_co_u32_e64 v5, s[10:11], v5, v31, s[10:11]
	s_or_b64 s[30:31], s[6:7], s[8:9]
	v_ldexp_f32 v44, v44, v45
	v_ldexp_f32 v45, v46, v47
	v_cmp_ngt_f32_e64 s[6:7], s80, v43
	v_ldexp_f32 v38, v38, v49
	v_cmp_ngt_f32_e64 s[8:9], s80, v41
	;; [unrolled: 2-line block ×3, first 2 shown]
	v_cmp_ngt_f32_e64 s[12:13], s80, v42
	v_cndmask_b32_e64 v45, 0, v45, s[12:13]
	v_cmp_nlt_f32_e64 s[12:13], s75, v42
	v_cndmask_b32_e64 v42, 0, v44, s[6:7]
	v_cndmask_b32_e64 v44, 0, v39, s[10:11]
	v_cndmask_b32_e64 v46, 0, v38, s[8:9]
	v_cmp_nlt_f32_e64 s[6:7], s75, v41
	v_cmp_nlt_f32_e64 s[8:9], s75, v40
	;; [unrolled: 1-line block ×3, first 2 shown]
	v_cndmask_b32_e64 v39, v24, v42, s[10:11]
	v_cndmask_b32_e64 v38, v24, v45, s[12:13]
	;; [unrolled: 1-line block ×4, first 2 shown]
	v_pk_fma_f32 v[34:35], v[38:39], v[34:35], v[38:39]
	v_cmp_class_f32_e64 s[6:7], v38, v22
	v_pk_fma_f32 v[0:1], v[40:41], v[0:1], v[40:41]
	v_cmp_class_f32_e64 s[8:9], v40, v22
	v_cmp_class_f32_e64 s[10:11], v41, v22
	;; [unrolled: 1-line block ×3, first 2 shown]
	v_cndmask_b32_e64 v35, v35, v39, s[12:13]
	v_cndmask_b32_e64 v34, v34, v38, s[6:7]
	v_cndmask_b32_e64 v1, v1, v41, s[10:11]
	v_cndmask_b32_e64 v0, v0, v40, s[8:9]
	v_bfi_b32 v35, s33, v35, v59
	v_bfi_b32 v34, s33, v34, v63
	;; [unrolled: 1-line block ×4, first 2 shown]
	v_cndmask_b32_e64 v38, v29, v1, s[24:25]
	v_cmp_gt_f32_e64 s[6:7], 0, v61
	v_cndmask_b32_e64 v39, v29, v35, s[14:15]
	v_cmp_gt_f32_e64 s[8:9], 0, v10
	;; [unrolled: 2-line block ×4, first 2 shown]
	v_cndmask_b32_e64 v0, v0, v41, s[10:11]
	v_cmp_eq_f32_e64 s[10:11], s81, v33
	v_cndmask_b32_e64 v1, v1, v38, s[6:7]
	v_cmp_eq_f32_e64 s[6:7], s81, v32
	;; [unrolled: 2-line block ×4, first 2 shown]
	v_cndmask_b32_e64 v2, v2, v64, s[8:9]
	s_or_b64 s[8:9], s[16:17], s[26:27]
	v_cndmask_b32_e64 v3, v32, v62, s[4:5]
	s_or_b64 s[4:5], s[22:23], s[18:19]
	;; [unrolled: 2-line block ×3, first 2 shown]
	v_cndmask_b32_e64 v1, v1, v58, s[6:7]
	s_or_b64 vcc, vcc, s[2:3]
	v_cndmask_b32_e32 v1, v1, v54, vcc
	v_cmp_o_f32_e32 vcc, v61, v15
	v_cndmask_b32_e64 v0, v0, v57, s[0:1]
	v_cmp_o_f32_e64 s[0:1], v60, v14
	s_and_b64 s[6:7], exec, s[30:31]
	v_cndmask_b32_e64 v14, v3, v51, s[4:5]
	v_cmp_o_f32_e64 s[2:3], v66, v12
	v_cndmask_b32_e64 v2, v2, v50, s[8:9]
	v_cmp_o_f32_e64 s[4:5], v10, v13
	s_or_b64 s[64:65], s[6:7], s[64:65]
	v_cndmask_b32_e64 v3, v29, v2, s[4:5]
	v_cndmask_b32_e64 v2, v29, v14, s[2:3]
	v_cndmask_b32_e32 v1, v29, v1, vcc
	v_cndmask_b32_e64 v0, v29, v0, s[0:1]
	global_store_dwordx4 v[36:37], v[0:3], off
	s_andn2_b64 exec, exec, s[64:65]
	s_cbranch_execnz .LBB78_24
.LBB78_25:
	s_endpgm
	.section	.rodata,"a",@progbits
	.p2align	6, 0x0
	.amdhsa_kernel _ZN2at6native12_GLOBAL__N_125multi_tensor_apply_kernelINS1_18TensorListMetadataILi2EEENS1_21BinaryOpScalarFunctorIfLi2ELi1ELi1EEEJNS1_21reverse_power_functorIfEEfEEEvT_T0_DpT1_
		.amdhsa_group_segment_fixed_size 0
		.amdhsa_private_segment_fixed_size 0
		.amdhsa_kernarg_size 3408
		.amdhsa_user_sgpr_count 6
		.amdhsa_user_sgpr_private_segment_buffer 1
		.amdhsa_user_sgpr_dispatch_ptr 0
		.amdhsa_user_sgpr_queue_ptr 0
		.amdhsa_user_sgpr_kernarg_segment_ptr 1
		.amdhsa_user_sgpr_dispatch_id 0
		.amdhsa_user_sgpr_flat_scratch_init 0
		.amdhsa_user_sgpr_kernarg_preload_length 0
		.amdhsa_user_sgpr_kernarg_preload_offset 0
		.amdhsa_user_sgpr_private_segment_size 0
		.amdhsa_uses_dynamic_stack 0
		.amdhsa_system_sgpr_private_segment_wavefront_offset 0
		.amdhsa_system_sgpr_workgroup_id_x 1
		.amdhsa_system_sgpr_workgroup_id_y 0
		.amdhsa_system_sgpr_workgroup_id_z 0
		.amdhsa_system_sgpr_workgroup_info 0
		.amdhsa_system_vgpr_workitem_id 0
		.amdhsa_next_free_vgpr 74
		.amdhsa_next_free_sgpr 82
		.amdhsa_accum_offset 76
		.amdhsa_reserve_vcc 1
		.amdhsa_reserve_flat_scratch 0
		.amdhsa_float_round_mode_32 0
		.amdhsa_float_round_mode_16_64 0
		.amdhsa_float_denorm_mode_32 3
		.amdhsa_float_denorm_mode_16_64 3
		.amdhsa_dx10_clamp 1
		.amdhsa_ieee_mode 1
		.amdhsa_fp16_overflow 0
		.amdhsa_tg_split 0
		.amdhsa_exception_fp_ieee_invalid_op 0
		.amdhsa_exception_fp_denorm_src 0
		.amdhsa_exception_fp_ieee_div_zero 0
		.amdhsa_exception_fp_ieee_overflow 0
		.amdhsa_exception_fp_ieee_underflow 0
		.amdhsa_exception_fp_ieee_inexact 0
		.amdhsa_exception_int_div_zero 0
	.end_amdhsa_kernel
	.section	.text._ZN2at6native12_GLOBAL__N_125multi_tensor_apply_kernelINS1_18TensorListMetadataILi2EEENS1_21BinaryOpScalarFunctorIfLi2ELi1ELi1EEEJNS1_21reverse_power_functorIfEEfEEEvT_T0_DpT1_,"axG",@progbits,_ZN2at6native12_GLOBAL__N_125multi_tensor_apply_kernelINS1_18TensorListMetadataILi2EEENS1_21BinaryOpScalarFunctorIfLi2ELi1ELi1EEEJNS1_21reverse_power_functorIfEEfEEEvT_T0_DpT1_,comdat
.Lfunc_end78:
	.size	_ZN2at6native12_GLOBAL__N_125multi_tensor_apply_kernelINS1_18TensorListMetadataILi2EEENS1_21BinaryOpScalarFunctorIfLi2ELi1ELi1EEEJNS1_21reverse_power_functorIfEEfEEEvT_T0_DpT1_, .Lfunc_end78-_ZN2at6native12_GLOBAL__N_125multi_tensor_apply_kernelINS1_18TensorListMetadataILi2EEENS1_21BinaryOpScalarFunctorIfLi2ELi1ELi1EEEJNS1_21reverse_power_functorIfEEfEEEvT_T0_DpT1_
                                        ; -- End function
	.section	.AMDGPU.csdata,"",@progbits
; Kernel info:
; codeLenInByte = 9444
; NumSgprs: 86
; NumVgprs: 74
; NumAgprs: 0
; TotalNumVgprs: 74
; ScratchSize: 0
; MemoryBound: 0
; FloatMode: 240
; IeeeMode: 1
; LDSByteSize: 0 bytes/workgroup (compile time only)
; SGPRBlocks: 10
; VGPRBlocks: 9
; NumSGPRsForWavesPerEU: 86
; NumVGPRsForWavesPerEU: 74
; AccumOffset: 76
; Occupancy: 6
; WaveLimiterHint : 0
; COMPUTE_PGM_RSRC2:SCRATCH_EN: 0
; COMPUTE_PGM_RSRC2:USER_SGPR: 6
; COMPUTE_PGM_RSRC2:TRAP_HANDLER: 0
; COMPUTE_PGM_RSRC2:TGID_X_EN: 1
; COMPUTE_PGM_RSRC2:TGID_Y_EN: 0
; COMPUTE_PGM_RSRC2:TGID_Z_EN: 0
; COMPUTE_PGM_RSRC2:TIDIG_COMP_CNT: 0
; COMPUTE_PGM_RSRC3_GFX90A:ACCUM_OFFSET: 18
; COMPUTE_PGM_RSRC3_GFX90A:TG_SPLIT: 0
	.section	.text._ZN2at6native12_GLOBAL__N_125multi_tensor_apply_kernelINS1_18TensorListMetadataILi2EEENS1_21BinaryOpScalarFunctorIN3c107complexIdEELi2ELi1ELi1EEEJNS1_21reverse_power_functorIS8_EES8_EEEvT_T0_DpT1_,"axG",@progbits,_ZN2at6native12_GLOBAL__N_125multi_tensor_apply_kernelINS1_18TensorListMetadataILi2EEENS1_21BinaryOpScalarFunctorIN3c107complexIdEELi2ELi1ELi1EEEJNS1_21reverse_power_functorIS8_EES8_EEEvT_T0_DpT1_,comdat
	.globl	_ZN2at6native12_GLOBAL__N_125multi_tensor_apply_kernelINS1_18TensorListMetadataILi2EEENS1_21BinaryOpScalarFunctorIN3c107complexIdEELi2ELi1ELi1EEEJNS1_21reverse_power_functorIS8_EES8_EEEvT_T0_DpT1_ ; -- Begin function _ZN2at6native12_GLOBAL__N_125multi_tensor_apply_kernelINS1_18TensorListMetadataILi2EEENS1_21BinaryOpScalarFunctorIN3c107complexIdEELi2ELi1ELi1EEEJNS1_21reverse_power_functorIS8_EES8_EEEvT_T0_DpT1_
	.p2align	8
	.type	_ZN2at6native12_GLOBAL__N_125multi_tensor_apply_kernelINS1_18TensorListMetadataILi2EEENS1_21BinaryOpScalarFunctorIN3c107complexIdEELi2ELi1ELi1EEEJNS1_21reverse_power_functorIS8_EES8_EEEvT_T0_DpT1_,@function
_ZN2at6native12_GLOBAL__N_125multi_tensor_apply_kernelINS1_18TensorListMetadataILi2EEENS1_21BinaryOpScalarFunctorIN3c107complexIdEELi2ELi1ELi1EEEJNS1_21reverse_power_functorIS8_EES8_EEEvT_T0_DpT1_: ; @_ZN2at6native12_GLOBAL__N_125multi_tensor_apply_kernelINS1_18TensorListMetadataILi2EEENS1_21BinaryOpScalarFunctorIN3c107complexIdEELi2ELi1ELi1EEEJNS1_21reverse_power_functorIS8_EES8_EEEvT_T0_DpT1_
; %bb.0:
	v_mov_b32_e32 v50, v0
	v_mov_b32_e32 v0, s8
	global_load_ubyte v0, v0, s[4:5] offset:1536
	s_load_dwordx4 s[48:51], s[4:5], 0xc50
	s_add_u32 flat_scratch_lo, s6, s9
	s_addc_u32 flat_scratch_hi, s7, 0
	s_add_u32 s0, s0, s9
	s_addc_u32 s1, s1, 0
	s_mov_b64 s[38:39], s[4:5]
	s_add_u32 s4, s38, s8
	s_mul_hi_u32 s5, s8, 3
	s_mul_i32 s8, s8, 3
	s_addc_u32 s6, s39, 0
	s_add_u32 s4, s4, s8
	s_addc_u32 s5, s6, s5
	s_load_dword s14, s[4:5], 0x740
	s_mov_b32 s9, 0
	s_mov_b32 s11, s9
	;; [unrolled: 1-line block ×4, first 2 shown]
	s_waitcnt lgkmcnt(0)
	s_ashr_i32 s15, s14, 31
	s_lshl_b64 s[52:53], s[14:15], 20
	s_waitcnt vmcnt(0)
	v_readfirstlane_b32 s4, v0
	s_lshl_b32 s8, s4, 3
	s_load_dwordx2 s[6:7], s[38:39], s8 offset:0x0
	s_load_dwordx2 s[16:17], s[38:39], s8 offset:0x400
	;; [unrolled: 1-line block ×3, first 2 shown]
	s_waitcnt lgkmcnt(0)
	s_add_u32 s33, s6, s52
	s_addc_u32 s62, s7, s53
	s_add_u32 s63, s4, s52
	s_addc_u32 s64, s5, s53
	s_and_b32 s10, s33, 63
	s_and_b32 s12, s16, 3
	;; [unrolled: 1-line block ×3, first 2 shown]
	s_or_b64 s[10:11], s[10:11], s[12:13]
	s_or_b64 s[8:9], s[8:9], s[10:11]
	s_lshl_b64 s[10:11], s[14:15], 16
	s_sub_u32 s46, s16, s10
	s_subb_u32 s47, s17, s11
	s_cmp_eq_u64 s[8:9], 0
	s_mov_b64 s[8:9], -1
	s_cbranch_scc1 .LBB79_21
; %bb.1:
	v_cmp_lt_i64_e64 s[8:9], s[46:47], 1
	s_and_b64 vcc, exec, s[8:9]
	s_cbranch_vccnz .LBB79_20
; %bb.2:
	s_load_dword s8, s[38:39], 0xc6c
	v_mov_b32_e32 v0, 0x10000
	v_mov_b32_e32 v1, 0
	v_cmp_lt_u64_e32 vcc, s[46:47], v[0:1]
	v_lshl_or_b32 v0, v50, 4, 8
	s_waitcnt lgkmcnt(0)
	s_and_b32 s66, s8, 0xffff
	s_and_b64 s[8:9], vcc, exec
	v_mov_b32_e32 v4, s7
	v_add_co_u32_e32 v52, vcc, s6, v0
	v_addc_co_u32_e32 v53, vcc, 0, v4, vcc
	v_mov_b32_e32 v5, s5
	v_add_co_u32_e32 v54, vcc, s4, v0
	v_mov_b32_e32 v51, 0
	v_addc_co_u32_e32 v55, vcc, 0, v5, vcc
	v_add_lshl_u32 v6, v50, s66, 4
	v_mov_b32_e32 v1, v51
	v_add_co_u32_e32 v56, vcc, s4, v6
	v_addc_co_u32_e32 v57, vcc, 0, v5, vcc
	v_mad_u64_u32 v[2:3], s[8:9], s66, 48, v[0:1]
	v_add_co_u32_e32 v58, vcc, s6, v2
	v_addc_co_u32_e32 v59, vcc, v4, v3, vcc
	v_add_co_u32_e32 v60, vcc, s6, v6
	v_addc_co_u32_e32 v61, vcc, 0, v4, vcc
	v_add_co_u32_e32 v62, vcc, s4, v2
	s_cselect_b32 s55, s47, 0
	s_cselect_b32 s54, s46, 0x10000
	v_addc_co_u32_e32 v63, vcc, v5, v3, vcc
	s_lshl_b32 s5, s66, 5
	v_add_co_u32_e32 v0, vcc, s5, v0
	v_addc_co_u32_e64 v1, s[8:9], 0, 0, vcc
	v_add_co_u32_e32 v64, vcc, s6, v0
	s_mov_b32 s65, 0
	v_addc_co_u32_e32 v65, vcc, v4, v1, vcc
	s_lshl_b32 s56, s66, 2
	s_mov_b32 s57, s65
	v_add_co_u32_e32 v66, vcc, s4, v0
	s_lshl_b32 s67, s66, 1
	s_mov_b32 s68, s65
	s_mul_i32 s69, s66, 3
	s_mov_b32 s70, s65
	s_lshl_b32 s71, s66, 6
	s_mov_b32 s72, s65
	v_addc_co_u32_e32 v67, vcc, v5, v1, vcc
	v_pk_mov_b32 v[68:69], v[50:51], v[50:51] op_sel:[0,1]
	s_mov_b64 s[58:59], s[56:57]
	s_branch .LBB79_4
.LBB79_3:                               ;   in Loop: Header=BB79_4 Depth=1
	s_or_b64 exec, exec, s[42:43]
	v_pk_mov_b32 v[0:1], s[46:47], s[46:47] op_sel:[0,1]
	v_cmp_lt_i64_e32 vcc, s[58:59], v[0:1]
	v_mov_b32_e32 v0, 0x10000
	v_mov_b32_e32 v1, 0
	v_cmp_lt_u64_e64 s[4:5], s[58:59], v[0:1]
	s_and_b64 s[4:5], vcc, s[4:5]
	v_mov_b32_e32 v0, s57
	v_add_co_u32_e32 v68, vcc, s56, v68
	v_addc_co_u32_e32 v69, vcc, v69, v0, vcc
	v_mov_b32_e32 v0, s72
	v_add_co_u32_e32 v52, vcc, s71, v52
	v_addc_co_u32_e32 v53, vcc, v53, v0, vcc
	v_add_co_u32_e32 v54, vcc, s71, v54
	v_addc_co_u32_e32 v55, vcc, v55, v0, vcc
	;; [unrolled: 2-line block ×7, first 2 shown]
	v_add_co_u32_e32 v66, vcc, s71, v66
	s_add_u32 s58, s58, s56
	v_addc_co_u32_e32 v67, vcc, v67, v0, vcc
	s_addc_u32 s59, s59, 0
	s_and_b64 vcc, exec, s[4:5]
	s_cbranch_vccz .LBB79_20
.LBB79_4:                               ; =>This Inner Loop Header: Depth=1
	s_waitcnt vmcnt(0)
	v_pk_mov_b32 v[44:45], 0, 0
	v_cmp_gt_u64_e32 vcc, s[54:55], v[68:69]
	v_pk_mov_b32 v[6:7], v[44:45], v[44:45] op_sel:[0,1]
	v_pk_mov_b32 v[4:5], v[44:45], v[44:45] op_sel:[0,1]
	s_and_saveexec_b64 s[6:7], vcc
	s_cbranch_execz .LBB79_6
; %bb.5:                                ;   in Loop: Header=BB79_4 Depth=1
	v_mov_b32_e32 v1, s53
	v_add_co_u32_e64 v0, s[4:5], s52, v52
	v_addc_co_u32_e64 v1, s[4:5], v53, v1, s[4:5]
	global_load_dwordx4 v[4:7], v[0:1], off offset:-8
.LBB79_6:                               ;   in Loop: Header=BB79_4 Depth=1
	s_or_b64 exec, exec, s[6:7]
	v_mov_b32_e32 v1, s65
	v_add_co_u32_e64 v0, s[4:5], s66, v68
	v_addc_co_u32_e64 v1, s[4:5], v1, v69, s[4:5]
	v_cmp_gt_u64_e64 s[44:45], s[54:55], v[0:1]
	v_pk_mov_b32 v[42:43], v[44:45], v[44:45] op_sel:[0,1]
	s_and_saveexec_b64 s[6:7], s[44:45]
	s_cbranch_execz .LBB79_8
; %bb.7:                                ;   in Loop: Header=BB79_4 Depth=1
	v_mov_b32_e32 v1, s53
	v_add_co_u32_e64 v0, s[4:5], s52, v60
	v_addc_co_u32_e64 v1, s[4:5], v61, v1, s[4:5]
	global_load_dwordx4 v[42:45], v[0:1], off
.LBB79_8:                               ;   in Loop: Header=BB79_4 Depth=1
	s_or_b64 exec, exec, s[6:7]
	v_mov_b32_e32 v1, s68
	v_add_co_u32_e64 v0, s[4:5], s67, v68
	v_addc_co_u32_e64 v1, s[4:5], v1, v69, s[4:5]
	v_pk_mov_b32 v[40:41], 0, 0
	v_cmp_gt_u64_e64 s[42:43], s[54:55], v[0:1]
	v_pk_mov_b32 v[48:49], v[40:41], v[40:41] op_sel:[0,1]
	v_pk_mov_b32 v[46:47], v[40:41], v[40:41] op_sel:[0,1]
	s_and_saveexec_b64 s[6:7], s[42:43]
	s_cbranch_execz .LBB79_10
; %bb.9:                                ;   in Loop: Header=BB79_4 Depth=1
	v_mov_b32_e32 v1, s53
	v_add_co_u32_e64 v0, s[4:5], s52, v64
	v_addc_co_u32_e64 v1, s[4:5], v65, v1, s[4:5]
	global_load_dwordx4 v[46:49], v[0:1], off offset:-8
.LBB79_10:                              ;   in Loop: Header=BB79_4 Depth=1
	s_or_b64 exec, exec, s[6:7]
	v_mov_b32_e32 v1, s70
	v_add_co_u32_e64 v0, s[4:5], s69, v68
	v_addc_co_u32_e64 v1, s[4:5], v1, v69, s[4:5]
	v_cmp_gt_u64_e64 s[40:41], s[54:55], v[0:1]
	v_pk_mov_b32 v[38:39], v[40:41], v[40:41] op_sel:[0,1]
	s_and_saveexec_b64 s[6:7], s[40:41]
	s_cbranch_execnz .LBB79_15
; %bb.11:                               ;   in Loop: Header=BB79_4 Depth=1
	s_or_b64 exec, exec, s[6:7]
	s_and_saveexec_b64 s[60:61], vcc
	s_cbranch_execnz .LBB79_16
.LBB79_12:                              ;   in Loop: Header=BB79_4 Depth=1
	s_or_b64 exec, exec, s[60:61]
	s_and_saveexec_b64 s[60:61], s[44:45]
	s_cbranch_execnz .LBB79_17
.LBB79_13:                              ;   in Loop: Header=BB79_4 Depth=1
	s_or_b64 exec, exec, s[60:61]
	s_and_saveexec_b64 s[44:45], s[42:43]
	s_cbranch_execnz .LBB79_18
.LBB79_14:                              ;   in Loop: Header=BB79_4 Depth=1
	s_or_b64 exec, exec, s[44:45]
	s_and_saveexec_b64 s[42:43], s[40:41]
	s_cbranch_execz .LBB79_3
	s_branch .LBB79_19
.LBB79_15:                              ;   in Loop: Header=BB79_4 Depth=1
	v_mov_b32_e32 v1, s53
	v_add_co_u32_e64 v0, s[4:5], s52, v58
	v_addc_co_u32_e64 v1, s[4:5], v59, v1, s[4:5]
	global_load_dwordx4 v[38:41], v[0:1], off offset:-8
	s_or_b64 exec, exec, s[6:7]
	s_and_saveexec_b64 s[60:61], vcc
	s_cbranch_execz .LBB79_12
.LBB79_16:                              ;   in Loop: Header=BB79_4 Depth=1
	v_mov_b32_e32 v0, s48
	v_mov_b32_e32 v1, s49
	;; [unrolled: 1-line block ×4, first 2 shown]
	s_getpc_b64 s[4:5]
	s_add_u32 s4, s4, _ZN2at6native12_GLOBAL__N_14pow_IdEEN3c107complexIT_EES6_S6_@rel32@lo+4
	s_addc_u32 s5, s5, _ZN2at6native12_GLOBAL__N_14pow_IdEEN3c107complexIT_EES6_S6_@rel32@hi+12
	s_swappc_b64 s[30:31], s[4:5]
	v_mov_b32_e32 v5, s53
	v_add_co_u32_e32 v4, vcc, s52, v54
	v_addc_co_u32_e32 v5, vcc, v55, v5, vcc
	global_store_dwordx4 v[4:5], v[0:3], off offset:-8
	s_or_b64 exec, exec, s[60:61]
	s_and_saveexec_b64 s[60:61], s[44:45]
	s_cbranch_execz .LBB79_13
.LBB79_17:                              ;   in Loop: Header=BB79_4 Depth=1
	v_mov_b32_e32 v0, s48
	v_mov_b32_e32 v1, s49
	;; [unrolled: 1-line block ×4, first 2 shown]
	s_waitcnt vmcnt(0)
	v_mov_b32_e32 v4, v42
	v_mov_b32_e32 v5, v43
	;; [unrolled: 1-line block ×4, first 2 shown]
	s_getpc_b64 s[4:5]
	s_add_u32 s4, s4, _ZN2at6native12_GLOBAL__N_14pow_IdEEN3c107complexIT_EES6_S6_@rel32@lo+4
	s_addc_u32 s5, s5, _ZN2at6native12_GLOBAL__N_14pow_IdEEN3c107complexIT_EES6_S6_@rel32@hi+12
	s_swappc_b64 s[30:31], s[4:5]
	v_mov_b32_e32 v5, s53
	v_add_co_u32_e32 v4, vcc, s52, v56
	v_addc_co_u32_e32 v5, vcc, v57, v5, vcc
	global_store_dwordx4 v[4:5], v[0:3], off
	s_or_b64 exec, exec, s[60:61]
	s_and_saveexec_b64 s[44:45], s[42:43]
	s_cbranch_execz .LBB79_14
.LBB79_18:                              ;   in Loop: Header=BB79_4 Depth=1
	v_mov_b32_e32 v0, s48
	v_mov_b32_e32 v1, s49
	;; [unrolled: 1-line block ×4, first 2 shown]
	s_waitcnt vmcnt(0)
	v_mov_b32_e32 v4, v46
	v_mov_b32_e32 v5, v47
	;; [unrolled: 1-line block ×4, first 2 shown]
	s_getpc_b64 s[4:5]
	s_add_u32 s4, s4, _ZN2at6native12_GLOBAL__N_14pow_IdEEN3c107complexIT_EES6_S6_@rel32@lo+4
	s_addc_u32 s5, s5, _ZN2at6native12_GLOBAL__N_14pow_IdEEN3c107complexIT_EES6_S6_@rel32@hi+12
	s_swappc_b64 s[30:31], s[4:5]
	v_mov_b32_e32 v5, s53
	v_add_co_u32_e32 v4, vcc, s52, v66
	v_addc_co_u32_e32 v5, vcc, v67, v5, vcc
	global_store_dwordx4 v[4:5], v[0:3], off offset:-8
	s_or_b64 exec, exec, s[44:45]
	s_and_saveexec_b64 s[42:43], s[40:41]
	s_cbranch_execz .LBB79_3
.LBB79_19:                              ;   in Loop: Header=BB79_4 Depth=1
	v_mov_b32_e32 v0, s48
	v_mov_b32_e32 v1, s49
	;; [unrolled: 1-line block ×4, first 2 shown]
	s_waitcnt vmcnt(0)
	v_mov_b32_e32 v4, v38
	v_mov_b32_e32 v5, v39
	;; [unrolled: 1-line block ×4, first 2 shown]
	s_getpc_b64 s[4:5]
	s_add_u32 s4, s4, _ZN2at6native12_GLOBAL__N_14pow_IdEEN3c107complexIT_EES6_S6_@rel32@lo+4
	s_addc_u32 s5, s5, _ZN2at6native12_GLOBAL__N_14pow_IdEEN3c107complexIT_EES6_S6_@rel32@hi+12
	s_swappc_b64 s[30:31], s[4:5]
	v_mov_b32_e32 v5, s53
	v_add_co_u32_e32 v4, vcc, s52, v62
	v_addc_co_u32_e32 v5, vcc, v63, v5, vcc
	global_store_dwordx4 v[4:5], v[0:3], off offset:-8
	s_branch .LBB79_3
.LBB79_20:
	s_mov_b64 s[8:9], 0
.LBB79_21:
	s_andn2_b64 vcc, exec, s[8:9]
	s_cbranch_vccnz .LBB79_25
; %bb.22:
	v_mov_b32_e32 v55, 0
	v_lshlrev_b32_e32 v54, 2, v50
	s_mov_b32 s4, 0
	v_cmp_gt_i64_e32 vcc, s[46:47], v[54:55]
	s_and_saveexec_b64 s[6:7], vcc
	s_cbranch_execz .LBB79_25
; %bb.23:
	s_load_dword s5, s[38:39], 0xc6c
	v_lshlrev_b32_e32 v56, 6, v50
	s_mov_b64 s[38:39], 0
	s_mov_b64 s[40:41], 0xffff
	v_mov_b32_e32 v37, s4
	s_waitcnt lgkmcnt(0)
	s_and_b32 s5, s5, 0xffff
	v_add_lshl_u32 v54, v50, s5, 2
	s_lshl_b32 s42, s5, 2
	s_lshl_b32 s43, s5, 6
.LBB79_24:                              ; =>This Inner Loop Header: Depth=1
	v_mov_b32_e32 v1, s62
	v_add_co_u32_e32 v0, vcc, s33, v56
	v_addc_co_u32_e32 v1, vcc, 0, v1, vcc
	global_load_dwordx4 v[4:7], v[0:1], off
	global_load_dwordx4 v[38:41], v[0:1], off offset:16
	global_load_dwordx4 v[42:45], v[0:1], off offset:48
	;; [unrolled: 1-line block ×3, first 2 shown]
	v_mov_b32_e32 v0, s48
	v_mov_b32_e32 v1, s49
	;; [unrolled: 1-line block ×4, first 2 shown]
	s_getpc_b64 s[44:45]
	s_add_u32 s44, s44, _ZN2at6native12_GLOBAL__N_14pow_IdEEN3c107complexIT_EES6_S6_@rel32@lo+4
	s_addc_u32 s45, s45, _ZN2at6native12_GLOBAL__N_14pow_IdEEN3c107complexIT_EES6_S6_@rel32@hi+12
	s_swappc_b64 s[30:31], s[44:45]
	v_mov_b32_e32 v50, v0
	v_mov_b32_e32 v51, v1
	v_mov_b32_e32 v52, v2
	v_mov_b32_e32 v53, v3
	v_mov_b32_e32 v0, s48
	v_mov_b32_e32 v1, s49
	v_mov_b32_e32 v2, s50
	v_mov_b32_e32 v3, s51
	v_mov_b32_e32 v4, v38
	v_mov_b32_e32 v5, v39
	v_mov_b32_e32 v6, v40
	v_mov_b32_e32 v7, v41
	s_swappc_b64 s[30:31], s[44:45]
	v_mov_b32_e32 v38, v0
	v_mov_b32_e32 v39, v1
	v_mov_b32_e32 v40, v2
	v_mov_b32_e32 v41, v3
	v_mov_b32_e32 v0, s48
	v_mov_b32_e32 v1, s49
	v_mov_b32_e32 v2, s50
	v_mov_b32_e32 v3, s51
	v_mov_b32_e32 v4, v46
	v_mov_b32_e32 v5, v47
	v_mov_b32_e32 v6, v48
	v_mov_b32_e32 v7, v49
	;; [unrolled: 13-line block ×3, first 2 shown]
	s_swappc_b64 s[30:31], s[44:45]
	v_cmp_le_i64_e32 vcc, s[46:47], v[54:55]
	v_cmp_lt_u64_e64 s[4:5], s[40:41], v[54:55]
	s_or_b64 s[4:5], vcc, s[4:5]
	v_add_co_u32_e64 v54, s[6:7], s42, v54
	s_add_u32 s33, s33, s43
	v_addc_co_u32_e64 v55, s[6:7], v55, v37, s[6:7]
	s_addc_u32 s62, s62, 0
	v_add_co_u32_e64 v4, s[6:7], s63, v56
	s_add_u32 s63, s63, s43
	v_mov_b32_e32 v5, s64
	s_addc_u32 s64, s64, 0
	s_and_b64 s[4:5], exec, s[4:5]
	v_addc_co_u32_e64 v5, s[6:7], 0, v5, s[6:7]
	s_or_b64 s[38:39], s[4:5], s[38:39]
	global_store_dwordx4 v[4:5], v[50:53], off
	global_store_dwordx4 v[4:5], v[38:41], off offset:16
	global_store_dwordx4 v[4:5], v[46:49], off offset:32
	;; [unrolled: 1-line block ×3, first 2 shown]
	s_andn2_b64 exec, exec, s[38:39]
	s_cbranch_execnz .LBB79_24
.LBB79_25:
	s_endpgm
	.section	.rodata,"a",@progbits
	.p2align	6, 0x0
	.amdhsa_kernel _ZN2at6native12_GLOBAL__N_125multi_tensor_apply_kernelINS1_18TensorListMetadataILi2EEENS1_21BinaryOpScalarFunctorIN3c107complexIdEELi2ELi1ELi1EEEJNS1_21reverse_power_functorIS8_EES8_EEEvT_T0_DpT1_
		.amdhsa_group_segment_fixed_size 0
		.amdhsa_private_segment_fixed_size 8
		.amdhsa_kernarg_size 3424
		.amdhsa_user_sgpr_count 8
		.amdhsa_user_sgpr_private_segment_buffer 1
		.amdhsa_user_sgpr_dispatch_ptr 0
		.amdhsa_user_sgpr_queue_ptr 0
		.amdhsa_user_sgpr_kernarg_segment_ptr 1
		.amdhsa_user_sgpr_dispatch_id 0
		.amdhsa_user_sgpr_flat_scratch_init 1
		.amdhsa_user_sgpr_kernarg_preload_length 0
		.amdhsa_user_sgpr_kernarg_preload_offset 0
		.amdhsa_user_sgpr_private_segment_size 0
		.amdhsa_uses_dynamic_stack 0
		.amdhsa_system_sgpr_private_segment_wavefront_offset 1
		.amdhsa_system_sgpr_workgroup_id_x 1
		.amdhsa_system_sgpr_workgroup_id_y 0
		.amdhsa_system_sgpr_workgroup_id_z 0
		.amdhsa_system_sgpr_workgroup_info 0
		.amdhsa_system_vgpr_workitem_id 0
		.amdhsa_next_free_vgpr 70
		.amdhsa_next_free_sgpr 73
		.amdhsa_accum_offset 72
		.amdhsa_reserve_vcc 1
		.amdhsa_reserve_flat_scratch 1
		.amdhsa_float_round_mode_32 0
		.amdhsa_float_round_mode_16_64 0
		.amdhsa_float_denorm_mode_32 3
		.amdhsa_float_denorm_mode_16_64 3
		.amdhsa_dx10_clamp 1
		.amdhsa_ieee_mode 1
		.amdhsa_fp16_overflow 0
		.amdhsa_tg_split 0
		.amdhsa_exception_fp_ieee_invalid_op 0
		.amdhsa_exception_fp_denorm_src 0
		.amdhsa_exception_fp_ieee_div_zero 0
		.amdhsa_exception_fp_ieee_overflow 0
		.amdhsa_exception_fp_ieee_underflow 0
		.amdhsa_exception_fp_ieee_inexact 0
		.amdhsa_exception_int_div_zero 0
	.end_amdhsa_kernel
	.section	.text._ZN2at6native12_GLOBAL__N_125multi_tensor_apply_kernelINS1_18TensorListMetadataILi2EEENS1_21BinaryOpScalarFunctorIN3c107complexIdEELi2ELi1ELi1EEEJNS1_21reverse_power_functorIS8_EES8_EEEvT_T0_DpT1_,"axG",@progbits,_ZN2at6native12_GLOBAL__N_125multi_tensor_apply_kernelINS1_18TensorListMetadataILi2EEENS1_21BinaryOpScalarFunctorIN3c107complexIdEELi2ELi1ELi1EEEJNS1_21reverse_power_functorIS8_EES8_EEEvT_T0_DpT1_,comdat
.Lfunc_end79:
	.size	_ZN2at6native12_GLOBAL__N_125multi_tensor_apply_kernelINS1_18TensorListMetadataILi2EEENS1_21BinaryOpScalarFunctorIN3c107complexIdEELi2ELi1ELi1EEEJNS1_21reverse_power_functorIS8_EES8_EEEvT_T0_DpT1_, .Lfunc_end79-_ZN2at6native12_GLOBAL__N_125multi_tensor_apply_kernelINS1_18TensorListMetadataILi2EEENS1_21BinaryOpScalarFunctorIN3c107complexIdEELi2ELi1ELi1EEEJNS1_21reverse_power_functorIS8_EES8_EEEvT_T0_DpT1_
                                        ; -- End function
	.section	.AMDGPU.csdata,"",@progbits
; Kernel info:
; codeLenInByte = 1748
; NumSgprs: 79
; NumVgprs: 70
; NumAgprs: 0
; TotalNumVgprs: 70
; ScratchSize: 8
; MemoryBound: 1
; FloatMode: 240
; IeeeMode: 1
; LDSByteSize: 0 bytes/workgroup (compile time only)
; SGPRBlocks: 9
; VGPRBlocks: 8
; NumSGPRsForWavesPerEU: 79
; NumVGPRsForWavesPerEU: 70
; AccumOffset: 72
; Occupancy: 7
; WaveLimiterHint : 0
; COMPUTE_PGM_RSRC2:SCRATCH_EN: 1
; COMPUTE_PGM_RSRC2:USER_SGPR: 8
; COMPUTE_PGM_RSRC2:TRAP_HANDLER: 0
; COMPUTE_PGM_RSRC2:TGID_X_EN: 1
; COMPUTE_PGM_RSRC2:TGID_Y_EN: 0
; COMPUTE_PGM_RSRC2:TGID_Z_EN: 0
; COMPUTE_PGM_RSRC2:TIDIG_COMP_CNT: 0
; COMPUTE_PGM_RSRC3_GFX90A:ACCUM_OFFSET: 17
; COMPUTE_PGM_RSRC3_GFX90A:TG_SPLIT: 0
	.section	.text._ZN2at6native12_GLOBAL__N_125multi_tensor_apply_kernelINS1_18TensorListMetadataILi2EEENS1_21BinaryOpScalarFunctorIN3c107complexIfEELi2ELi1ELi1EEEJNS1_21reverse_power_functorIS8_EES8_EEEvT_T0_DpT1_,"axG",@progbits,_ZN2at6native12_GLOBAL__N_125multi_tensor_apply_kernelINS1_18TensorListMetadataILi2EEENS1_21BinaryOpScalarFunctorIN3c107complexIfEELi2ELi1ELi1EEEJNS1_21reverse_power_functorIS8_EES8_EEEvT_T0_DpT1_,comdat
	.globl	_ZN2at6native12_GLOBAL__N_125multi_tensor_apply_kernelINS1_18TensorListMetadataILi2EEENS1_21BinaryOpScalarFunctorIN3c107complexIfEELi2ELi1ELi1EEEJNS1_21reverse_power_functorIS8_EES8_EEEvT_T0_DpT1_ ; -- Begin function _ZN2at6native12_GLOBAL__N_125multi_tensor_apply_kernelINS1_18TensorListMetadataILi2EEENS1_21BinaryOpScalarFunctorIN3c107complexIfEELi2ELi1ELi1EEEJNS1_21reverse_power_functorIS8_EES8_EEEvT_T0_DpT1_
	.p2align	8
	.type	_ZN2at6native12_GLOBAL__N_125multi_tensor_apply_kernelINS1_18TensorListMetadataILi2EEENS1_21BinaryOpScalarFunctorIN3c107complexIfEELi2ELi1ELi1EEEJNS1_21reverse_power_functorIS8_EES8_EEEvT_T0_DpT1_,@function
_ZN2at6native12_GLOBAL__N_125multi_tensor_apply_kernelINS1_18TensorListMetadataILi2EEENS1_21BinaryOpScalarFunctorIN3c107complexIfEELi2ELi1ELi1EEEJNS1_21reverse_power_functorIS8_EES8_EEEvT_T0_DpT1_: ; @_ZN2at6native12_GLOBAL__N_125multi_tensor_apply_kernelINS1_18TensorListMetadataILi2EEENS1_21BinaryOpScalarFunctorIN3c107complexIfEELi2ELi1ELi1EEEJNS1_21reverse_power_functorIS8_EES8_EEEvT_T0_DpT1_
; %bb.0:
	v_mov_b32_e32 v1, s10
	global_load_ubyte v1, v1, s[6:7] offset:1536
	s_load_dwordx2 s[4:5], s[4:5], 0x4
	s_add_u32 flat_scratch_lo, s8, s11
	s_addc_u32 flat_scratch_hi, s9, 0
	s_add_u32 s0, s0, s11
	s_addc_u32 s1, s1, 0
	s_mov_b64 s[26:27], s[6:7]
	s_waitcnt lgkmcnt(0)
	s_lshr_b32 s4, s4, 16
	s_add_u32 s8, s26, s10
	v_and_b32_e32 v28, 0x3ff, v0
	s_mul_hi_u32 s6, s10, 3
	s_mul_i32 s7, s10, 3
	s_mul_i32 s4, s4, s5
	s_addc_u32 s10, s27, 0
	v_bfe_u32 v2, v0, 10, 10
	v_mul_lo_u32 v3, s4, v28
	s_add_u32 s4, s8, s7
	v_mad_u32_u24 v2, v2, s5, v3
	s_addc_u32 s5, s10, s6
	s_load_dword s14, s[4:5], 0x740
	s_mov_b32 s9, 0
	s_mov_b32 s11, s9
	;; [unrolled: 1-line block ×3, first 2 shown]
	v_bfe_u32 v0, v0, 20, 10
	s_waitcnt lgkmcnt(0)
	s_ashr_i32 s15, s14, 31
	s_lshl_b64 s[44:45], s[14:15], 19
	v_add_lshl_u32 v30, v2, v0, 3
	s_mov_b32 s32, 0
	s_waitcnt vmcnt(0)
	v_readfirstlane_b32 s4, v1
	s_lshl_b32 s8, s4, 3
	s_load_dwordx2 s[6:7], s[26:27], s8 offset:0x0
	s_load_dwordx2 s[40:41], s[26:27], 0xc50
	s_load_dwordx2 s[16:17], s[26:27], s8 offset:0x400
	s_load_dwordx2 s[4:5], s[26:27], s8 offset:0x200
	s_waitcnt lgkmcnt(0)
	s_add_u32 s33, s6, s44
	s_addc_u32 s56, s7, s45
	s_add_u32 s57, s4, s44
	s_addc_u32 s58, s5, s45
	s_and_b32 s10, s33, 31
	s_and_b32 s12, s16, 3
	;; [unrolled: 1-line block ×3, first 2 shown]
	s_or_b64 s[10:11], s[10:11], s[12:13]
	s_or_b64 s[8:9], s[8:9], s[10:11]
	s_lshl_b64 s[10:11], s[14:15], 16
	s_sub_u32 s42, s16, s10
	s_subb_u32 s43, s17, s11
	s_cmp_eq_u64 s[8:9], 0
	s_mov_b64 s[8:9], -1
	s_cbranch_scc1 .LBB80_19
; %bb.1:
	v_cmp_lt_i64_e64 s[8:9], s[42:43], 1
	s_and_b64 vcc, exec, s[8:9]
	s_cbranch_vccnz .LBB80_18
; %bb.2:
	s_load_dword s8, s[26:27], 0xc64
	v_mov_b32_e32 v0, 0x10000
	v_mov_b32_e32 v1, 0
	v_cmp_lt_u64_e32 vcc, s[42:43], v[0:1]
	v_lshlrev_b32_e32 v0, 3, v28
	s_waitcnt lgkmcnt(0)
	s_and_b32 s60, s8, 0xffff
	s_and_b64 s[8:9], vcc, exec
	v_mov_b32_e32 v4, s7
	v_add_co_u32_e32 v34, vcc, s6, v0
	v_addc_co_u32_e32 v35, vcc, 0, v4, vcc
	v_mov_b32_e32 v5, s5
	v_add_co_u32_e32 v2, vcc, s4, v0
	v_mov_b32_e32 v32, 0
	v_addc_co_u32_e32 v3, vcc, 0, v5, vcc
	s_mov_b64 s[8:9], src_shared_base
	v_mov_b32_e32 v1, v32
	v_add_co_u32_e32 v36, vcc, 4, v2
	v_mov_b32_e32 v31, s9
	v_addc_co_u32_e32 v37, vcc, 0, v3, vcc
	v_mad_u64_u32 v[2:3], s[8:9], s60, 24, v[0:1]
	v_add_co_u32_e32 v38, vcc, s6, v2
	v_addc_co_u32_e32 v39, vcc, v4, v3, vcc
	v_mov_b32_e32 v1, s5
	v_add_co_u32_e32 v40, vcc, s4, v2
	s_cselect_b32 s47, s43, 0
	s_cselect_b32 s46, s42, 0x10000
	v_addc_co_u32_e32 v41, vcc, v1, v3, vcc
	s_lshl_b32 s5, s60, 4
	v_add_co_u32_e32 v0, vcc, s5, v0
	v_addc_co_u32_e64 v1, s[8:9], 0, 0, vcc
	v_add_co_u32_e32 v42, vcc, s6, v0
	v_addc_co_u32_e32 v43, vcc, v4, v1, vcc
	v_add_co_u32_e32 v0, vcc, s4, v0
	v_addc_co_u32_e32 v1, vcc, v1, v5, vcc
	;; [unrolled: 2-line block ×3, first 2 shown]
	v_add_lshl_u32 v0, v28, s60, 3
	v_add_co_u32_e32 v46, vcc, s6, v0
	v_addc_co_u32_e32 v47, vcc, 0, v4, vcc
	v_add_co_u32_e32 v0, vcc, s4, v0
	s_mov_b32 s59, 0
	v_addc_co_u32_e32 v1, vcc, 0, v5, vcc
	v_mov_b32_e32 v29, v32
	s_lshl_b32 s48, s60, 2
	s_mov_b32 s49, s59
	v_add_co_u32_e32 v48, vcc, 4, v0
	s_lshl_b32 s61, s60, 1
	s_mov_b32 s62, s59
	s_mul_i32 s63, s60, 3
	s_mov_b32 s64, s59
	s_lshl_b32 s65, s60, 5
	s_mov_b32 s66, s59
	v_addc_co_u32_e32 v49, vcc, 0, v1, vcc
	v_pk_mov_b32 v[50:51], v[28:29], v[28:29] op_sel:[0,1]
	s_mov_b64 s[50:51], s[48:49]
	s_branch .LBB80_4
.LBB80_3:                               ;   in Loop: Header=BB80_4 Depth=1
	s_or_b64 exec, exec, s[4:5]
	v_pk_mov_b32 v[0:1], s[42:43], s[42:43] op_sel:[0,1]
	v_cmp_lt_i64_e32 vcc, s[50:51], v[0:1]
	v_mov_b32_e32 v0, 0x10000
	v_mov_b32_e32 v1, 0
	v_cmp_lt_u64_e64 s[4:5], s[50:51], v[0:1]
	s_and_b64 s[4:5], vcc, s[4:5]
	v_mov_b32_e32 v0, s66
	v_add_co_u32_e32 v34, vcc, s65, v34
	v_addc_co_u32_e32 v35, vcc, v35, v0, vcc
	v_mov_b32_e32 v1, s49
	v_add_co_u32_e32 v50, vcc, s48, v50
	v_addc_co_u32_e32 v51, vcc, v51, v1, vcc
	v_add_co_u32_e32 v36, vcc, s65, v36
	v_addc_co_u32_e32 v37, vcc, v37, v0, vcc
	;; [unrolled: 2-line block ×7, first 2 shown]
	v_add_co_u32_e32 v48, vcc, s65, v48
	s_add_u32 s50, s50, s48
	v_addc_co_u32_e32 v49, vcc, v49, v0, vcc
	s_addc_u32 s51, s51, 0
	s_and_b64 vcc, exec, s[4:5]
	s_cbranch_vccz .LBB80_18
.LBB80_4:                               ; =>This Inner Loop Header: Depth=1
	v_cmp_gt_u64_e64 s[28:29], s[46:47], v[50:51]
	v_mov_b32_e32 v24, 0
	v_mov_b32_e32 v25, 0
	s_and_saveexec_b64 s[4:5], s[28:29]
	s_cbranch_execz .LBB80_6
; %bb.5:                                ;   in Loop: Header=BB80_4 Depth=1
	v_mov_b32_e32 v1, s45
	v_add_co_u32_e32 v0, vcc, s44, v34
	v_addc_co_u32_e32 v1, vcc, v35, v1, vcc
	global_load_dwordx2 v[24:25], v[0:1], off
.LBB80_6:                               ;   in Loop: Header=BB80_4 Depth=1
	s_or_b64 exec, exec, s[4:5]
	v_mov_b32_e32 v1, s59
	v_add_co_u32_e32 v0, vcc, s60, v50
	v_addc_co_u32_e32 v1, vcc, v1, v51, vcc
	v_cmp_gt_u64_e64 s[34:35], s[46:47], v[0:1]
	v_mov_b32_e32 v22, 0
	v_mov_b32_e32 v26, 0
	;; [unrolled: 1-line block ×3, first 2 shown]
	s_and_saveexec_b64 s[4:5], s[34:35]
	s_cbranch_execz .LBB80_8
; %bb.7:                                ;   in Loop: Header=BB80_4 Depth=1
	v_mov_b32_e32 v1, s45
	v_add_co_u32_e32 v0, vcc, s44, v46
	v_addc_co_u32_e32 v1, vcc, v47, v1, vcc
	global_load_dwordx2 v[26:27], v[0:1], off
.LBB80_8:                               ;   in Loop: Header=BB80_4 Depth=1
	s_or_b64 exec, exec, s[4:5]
	v_mov_b32_e32 v1, s62
	v_add_co_u32_e32 v0, vcc, s61, v50
	v_addc_co_u32_e32 v1, vcc, v1, v51, vcc
	v_cmp_gt_u64_e64 s[36:37], s[46:47], v[0:1]
	v_mov_b32_e32 v23, 0
	s_and_saveexec_b64 s[4:5], s[36:37]
	s_cbranch_execz .LBB80_10
; %bb.9:                                ;   in Loop: Header=BB80_4 Depth=1
	v_mov_b32_e32 v1, s45
	v_add_co_u32_e32 v0, vcc, s44, v42
	v_addc_co_u32_e32 v1, vcc, v43, v1, vcc
	global_load_dwordx2 v[22:23], v[0:1], off
.LBB80_10:                              ;   in Loop: Header=BB80_4 Depth=1
	s_or_b64 exec, exec, s[4:5]
	v_mov_b32_e32 v1, s64
	v_add_co_u32_e32 v0, vcc, s63, v50
	v_addc_co_u32_e32 v1, vcc, v1, v51, vcc
	v_mov_b32_e32 v2, s45
	v_add_co_u32_e32 v3, vcc, s44, v38
	v_mov_b32_e32 v33, v32
	v_addc_co_u32_e32 v2, vcc, v39, v2, vcc
	v_cmp_gt_u64_e64 s[38:39], s[46:47], v[0:1]
	ds_write_b64 v30, v[32:33]
	v_cndmask_b32_e64 v1, v31, v2, s[38:39]
	v_cndmask_b32_e64 v0, v30, v3, s[38:39]
	flat_load_dwordx2 v[2:3], v[0:1]
	v_mov_b32_e32 v0, s40
	v_mov_b32_e32 v1, s41
	s_getpc_b64 s[54:55]
	s_add_u32 s54, s54, _ZN2at6native12_GLOBAL__N_14pow_IfEEN3c107complexIT_EES6_S6_@rel32@lo+4
	s_addc_u32 s55, s55, _ZN2at6native12_GLOBAL__N_14pow_IfEEN3c107complexIT_EES6_S6_@rel32@hi+12
	s_swappc_b64 s[30:31], s[54:55]
	ds_write_b64 v30, v[0:1]
	s_and_saveexec_b64 s[52:53], s[28:29]
	s_cbranch_execnz .LBB80_14
; %bb.11:                               ;   in Loop: Header=BB80_4 Depth=1
	s_or_b64 exec, exec, s[52:53]
	s_and_saveexec_b64 s[28:29], s[34:35]
	s_cbranch_execnz .LBB80_15
.LBB80_12:                              ;   in Loop: Header=BB80_4 Depth=1
	s_or_b64 exec, exec, s[28:29]
	s_and_saveexec_b64 s[28:29], s[36:37]
	s_cbranch_execnz .LBB80_16
.LBB80_13:                              ;   in Loop: Header=BB80_4 Depth=1
	s_or_b64 exec, exec, s[28:29]
	s_and_saveexec_b64 s[4:5], s[38:39]
	s_cbranch_execz .LBB80_3
	s_branch .LBB80_17
.LBB80_14:                              ;   in Loop: Header=BB80_4 Depth=1
	v_mov_b32_e32 v0, s40
	v_mov_b32_e32 v1, s41
	;; [unrolled: 1-line block ×4, first 2 shown]
	s_swappc_b64 s[30:31], s[54:55]
	v_mov_b32_e32 v3, s45
	v_add_co_u32_e32 v2, vcc, s44, v36
	v_addc_co_u32_e32 v3, vcc, v37, v3, vcc
	global_store_dwordx2 v[2:3], v[0:1], off offset:-4
	s_or_b64 exec, exec, s[52:53]
	s_and_saveexec_b64 s[28:29], s[34:35]
	s_cbranch_execz .LBB80_12
.LBB80_15:                              ;   in Loop: Header=BB80_4 Depth=1
	v_mov_b32_e32 v0, s40
	v_mov_b32_e32 v1, s41
	;; [unrolled: 1-line block ×4, first 2 shown]
	s_getpc_b64 s[4:5]
	s_add_u32 s4, s4, _ZN2at6native12_GLOBAL__N_14pow_IfEEN3c107complexIT_EES6_S6_@rel32@lo+4
	s_addc_u32 s5, s5, _ZN2at6native12_GLOBAL__N_14pow_IfEEN3c107complexIT_EES6_S6_@rel32@hi+12
	s_swappc_b64 s[30:31], s[4:5]
	v_mov_b32_e32 v3, s45
	v_add_co_u32_e32 v2, vcc, s44, v48
	v_addc_co_u32_e32 v3, vcc, v49, v3, vcc
	global_store_dwordx2 v[2:3], v[0:1], off offset:-4
	s_or_b64 exec, exec, s[28:29]
	s_and_saveexec_b64 s[28:29], s[36:37]
	s_cbranch_execz .LBB80_13
.LBB80_16:                              ;   in Loop: Header=BB80_4 Depth=1
	v_mov_b32_e32 v0, s40
	v_mov_b32_e32 v1, s41
	;; [unrolled: 1-line block ×4, first 2 shown]
	s_getpc_b64 s[4:5]
	s_add_u32 s4, s4, _ZN2at6native12_GLOBAL__N_14pow_IfEEN3c107complexIT_EES6_S6_@rel32@lo+4
	s_addc_u32 s5, s5, _ZN2at6native12_GLOBAL__N_14pow_IfEEN3c107complexIT_EES6_S6_@rel32@hi+12
	s_swappc_b64 s[30:31], s[4:5]
	v_mov_b32_e32 v3, s45
	v_add_co_u32_e32 v2, vcc, s44, v44
	v_addc_co_u32_e32 v3, vcc, v45, v3, vcc
	global_store_dwordx2 v[2:3], v[0:1], off offset:-4
	s_or_b64 exec, exec, s[28:29]
	s_and_saveexec_b64 s[4:5], s[38:39]
	s_cbranch_execz .LBB80_3
.LBB80_17:                              ;   in Loop: Header=BB80_4 Depth=1
	ds_read_b64 v[0:1], v30
	v_mov_b32_e32 v3, s45
	v_add_co_u32_e32 v2, vcc, s44, v40
	v_addc_co_u32_e32 v3, vcc, v41, v3, vcc
	s_waitcnt lgkmcnt(0)
	global_store_dwordx2 v[2:3], v[0:1], off
	s_branch .LBB80_3
.LBB80_18:
	s_mov_b64 s[8:9], 0
.LBB80_19:
	s_andn2_b64 vcc, exec, s[8:9]
	s_cbranch_vccnz .LBB80_23
; %bb.20:
	v_mov_b32_e32 v33, 0
	v_lshlrev_b32_e32 v32, 2, v28
	s_mov_b32 s4, 0
	v_cmp_gt_i64_e32 vcc, s[42:43], v[32:33]
	s_and_saveexec_b64 s[6:7], vcc
	s_cbranch_execz .LBB80_23
; %bb.21:
	s_load_dword s5, s[26:27], 0xc64
	v_lshlrev_b32_e32 v34, 5, v28
	s_mov_b64 s[26:27], 0
	s_mov_b64 s[28:29], 0xffff
	v_mov_b32_e32 v31, s4
	s_waitcnt lgkmcnt(0)
	s_and_b32 s5, s5, 0xffff
	v_add_lshl_u32 v32, v28, s5, 2
	s_lshl_b32 s34, s5, 2
	s_lshl_b32 s35, s5, 5
.LBB80_22:                              ; =>This Inner Loop Header: Depth=1
	v_mov_b32_e32 v1, s56
	v_add_co_u32_e32 v0, vcc, s33, v34
	v_addc_co_u32_e32 v1, vcc, 0, v1, vcc
	global_load_dwordx4 v[22:25], v[0:1], off
	global_load_dwordx4 v[26:29], v[0:1], off offset:16
	v_mov_b32_e32 v0, s40
	v_mov_b32_e32 v1, s41
	s_getpc_b64 s[36:37]
	s_add_u32 s36, s36, _ZN2at6native12_GLOBAL__N_14pow_IfEEN3c107complexIT_EES6_S6_@rel32@lo+4
	s_addc_u32 s37, s37, _ZN2at6native12_GLOBAL__N_14pow_IfEEN3c107complexIT_EES6_S6_@rel32@hi+12
	s_waitcnt vmcnt(1)
	v_mov_b32_e32 v2, v22
	v_mov_b32_e32 v3, v23
	s_swappc_b64 s[30:31], s[36:37]
	v_mov_b32_e32 v22, v0
	v_mov_b32_e32 v23, v1
	v_mov_b32_e32 v0, s40
	v_mov_b32_e32 v1, s41
	v_mov_b32_e32 v2, v24
	v_mov_b32_e32 v3, v25
	s_swappc_b64 s[30:31], s[36:37]
	v_mov_b32_e32 v24, v0
	v_mov_b32_e32 v25, v1
	v_mov_b32_e32 v0, s40
	v_mov_b32_e32 v1, s41
	;; [unrolled: 7-line block ×3, first 2 shown]
	v_mov_b32_e32 v2, v28
	v_mov_b32_e32 v3, v29
	s_swappc_b64 s[30:31], s[36:37]
	v_cmp_le_i64_e32 vcc, s[42:43], v[32:33]
	v_cmp_lt_u64_e64 s[4:5], s[28:29], v[32:33]
	s_or_b64 s[4:5], vcc, s[4:5]
	v_add_co_u32_e64 v32, s[6:7], s34, v32
	s_add_u32 s33, s33, s35
	v_addc_co_u32_e64 v33, s[6:7], v33, v31, s[6:7]
	s_addc_u32 s56, s56, 0
	v_mov_b32_e32 v28, v0
	v_add_co_u32_e64 v0, s[6:7], s57, v34
	s_add_u32 s57, s57, s35
	v_mov_b32_e32 v29, v1
	v_mov_b32_e32 v1, s58
	s_addc_u32 s58, s58, 0
	s_and_b64 s[4:5], exec, s[4:5]
	v_addc_co_u32_e64 v1, s[6:7], 0, v1, s[6:7]
	s_or_b64 s[26:27], s[4:5], s[26:27]
	ds_write_b64 v30, v[28:29]
	global_store_dwordx4 v[0:1], v[22:25], off
	global_store_dwordx4 v[0:1], v[26:29], off offset:16
	s_andn2_b64 exec, exec, s[26:27]
	s_cbranch_execnz .LBB80_22
.LBB80_23:
	s_endpgm
	.section	.rodata,"a",@progbits
	.p2align	6, 0x0
	.amdhsa_kernel _ZN2at6native12_GLOBAL__N_125multi_tensor_apply_kernelINS1_18TensorListMetadataILi2EEENS1_21BinaryOpScalarFunctorIN3c107complexIfEELi2ELi1ELi1EEEJNS1_21reverse_power_functorIS8_EES8_EEEvT_T0_DpT1_
		.amdhsa_group_segment_fixed_size 4096
		.amdhsa_private_segment_fixed_size 0
		.amdhsa_kernarg_size 3416
		.amdhsa_user_sgpr_count 10
		.amdhsa_user_sgpr_private_segment_buffer 1
		.amdhsa_user_sgpr_dispatch_ptr 1
		.amdhsa_user_sgpr_queue_ptr 0
		.amdhsa_user_sgpr_kernarg_segment_ptr 1
		.amdhsa_user_sgpr_dispatch_id 0
		.amdhsa_user_sgpr_flat_scratch_init 1
		.amdhsa_user_sgpr_kernarg_preload_length 0
		.amdhsa_user_sgpr_kernarg_preload_offset 0
		.amdhsa_user_sgpr_private_segment_size 0
		.amdhsa_uses_dynamic_stack 0
		.amdhsa_system_sgpr_private_segment_wavefront_offset 0
		.amdhsa_system_sgpr_workgroup_id_x 1
		.amdhsa_system_sgpr_workgroup_id_y 0
		.amdhsa_system_sgpr_workgroup_id_z 0
		.amdhsa_system_sgpr_workgroup_info 0
		.amdhsa_system_vgpr_workitem_id 2
		.amdhsa_next_free_vgpr 52
		.amdhsa_next_free_sgpr 67
		.amdhsa_accum_offset 52
		.amdhsa_reserve_vcc 1
		.amdhsa_reserve_flat_scratch 1
		.amdhsa_float_round_mode_32 0
		.amdhsa_float_round_mode_16_64 0
		.amdhsa_float_denorm_mode_32 3
		.amdhsa_float_denorm_mode_16_64 3
		.amdhsa_dx10_clamp 1
		.amdhsa_ieee_mode 1
		.amdhsa_fp16_overflow 0
		.amdhsa_tg_split 0
		.amdhsa_exception_fp_ieee_invalid_op 0
		.amdhsa_exception_fp_denorm_src 0
		.amdhsa_exception_fp_ieee_div_zero 0
		.amdhsa_exception_fp_ieee_overflow 0
		.amdhsa_exception_fp_ieee_underflow 0
		.amdhsa_exception_fp_ieee_inexact 0
		.amdhsa_exception_int_div_zero 0
	.end_amdhsa_kernel
	.section	.text._ZN2at6native12_GLOBAL__N_125multi_tensor_apply_kernelINS1_18TensorListMetadataILi2EEENS1_21BinaryOpScalarFunctorIN3c107complexIfEELi2ELi1ELi1EEEJNS1_21reverse_power_functorIS8_EES8_EEEvT_T0_DpT1_,"axG",@progbits,_ZN2at6native12_GLOBAL__N_125multi_tensor_apply_kernelINS1_18TensorListMetadataILi2EEENS1_21BinaryOpScalarFunctorIN3c107complexIfEELi2ELi1ELi1EEEJNS1_21reverse_power_functorIS8_EES8_EEEvT_T0_DpT1_,comdat
.Lfunc_end80:
	.size	_ZN2at6native12_GLOBAL__N_125multi_tensor_apply_kernelINS1_18TensorListMetadataILi2EEENS1_21BinaryOpScalarFunctorIN3c107complexIfEELi2ELi1ELi1EEEJNS1_21reverse_power_functorIS8_EES8_EEEvT_T0_DpT1_, .Lfunc_end80-_ZN2at6native12_GLOBAL__N_125multi_tensor_apply_kernelINS1_18TensorListMetadataILi2EEENS1_21BinaryOpScalarFunctorIN3c107complexIfEELi2ELi1ELi1EEEJNS1_21reverse_power_functorIS8_EES8_EEEvT_T0_DpT1_
                                        ; -- End function
	.section	.AMDGPU.csdata,"",@progbits
; Kernel info:
; codeLenInByte = 1604
; NumSgprs: 73
; NumVgprs: 52
; NumAgprs: 0
; TotalNumVgprs: 52
; ScratchSize: 0
; MemoryBound: 0
; FloatMode: 240
; IeeeMode: 1
; LDSByteSize: 4096 bytes/workgroup (compile time only)
; SGPRBlocks: 9
; VGPRBlocks: 6
; NumSGPRsForWavesPerEU: 73
; NumVGPRsForWavesPerEU: 52
; AccumOffset: 52
; Occupancy: 8
; WaveLimiterHint : 0
; COMPUTE_PGM_RSRC2:SCRATCH_EN: 0
; COMPUTE_PGM_RSRC2:USER_SGPR: 10
; COMPUTE_PGM_RSRC2:TRAP_HANDLER: 0
; COMPUTE_PGM_RSRC2:TGID_X_EN: 1
; COMPUTE_PGM_RSRC2:TGID_Y_EN: 0
; COMPUTE_PGM_RSRC2:TGID_Z_EN: 0
; COMPUTE_PGM_RSRC2:TIDIG_COMP_CNT: 2
; COMPUTE_PGM_RSRC3_GFX90A:ACCUM_OFFSET: 12
; COMPUTE_PGM_RSRC3_GFX90A:TG_SPLIT: 0
	.section	.text._ZN2at6native12_GLOBAL__N_125multi_tensor_apply_kernelINS1_18TensorListMetadataILi2EEENS1_21BinaryOpScalarFunctorIN3c104HalfELi2ELi1ELi1EEEJNS1_21reverse_power_functorIfEEfEEEvT_T0_DpT1_,"axG",@progbits,_ZN2at6native12_GLOBAL__N_125multi_tensor_apply_kernelINS1_18TensorListMetadataILi2EEENS1_21BinaryOpScalarFunctorIN3c104HalfELi2ELi1ELi1EEEJNS1_21reverse_power_functorIfEEfEEEvT_T0_DpT1_,comdat
	.globl	_ZN2at6native12_GLOBAL__N_125multi_tensor_apply_kernelINS1_18TensorListMetadataILi2EEENS1_21BinaryOpScalarFunctorIN3c104HalfELi2ELi1ELi1EEEJNS1_21reverse_power_functorIfEEfEEEvT_T0_DpT1_ ; -- Begin function _ZN2at6native12_GLOBAL__N_125multi_tensor_apply_kernelINS1_18TensorListMetadataILi2EEENS1_21BinaryOpScalarFunctorIN3c104HalfELi2ELi1ELi1EEEJNS1_21reverse_power_functorIfEEfEEEvT_T0_DpT1_
	.p2align	8
	.type	_ZN2at6native12_GLOBAL__N_125multi_tensor_apply_kernelINS1_18TensorListMetadataILi2EEENS1_21BinaryOpScalarFunctorIN3c104HalfELi2ELi1ELi1EEEJNS1_21reverse_power_functorIfEEfEEEvT_T0_DpT1_,@function
_ZN2at6native12_GLOBAL__N_125multi_tensor_apply_kernelINS1_18TensorListMetadataILi2EEENS1_21BinaryOpScalarFunctorIN3c104HalfELi2ELi1ELi1EEEJNS1_21reverse_power_functorIfEEfEEEvT_T0_DpT1_: ; @_ZN2at6native12_GLOBAL__N_125multi_tensor_apply_kernelINS1_18TensorListMetadataILi2EEENS1_21BinaryOpScalarFunctorIN3c104HalfELi2ELi1ELi1EEEJNS1_21reverse_power_functorIfEEfEEEvT_T0_DpT1_
; %bb.0:
	v_mov_b32_e32 v1, s6
	global_load_ubyte v1, v1, s[4:5] offset:1536
	s_add_u32 s0, s4, s6
	s_mul_hi_u32 s1, s6, 3
	s_mul_i32 s6, s6, 3
	s_addc_u32 s2, s5, 0
	s_add_u32 s0, s0, s6
	s_addc_u32 s1, s2, s1
	s_load_dword s6, s[0:1], 0x740
	s_mov_b32 s9, 0
	s_mov_b32 s13, s9
	;; [unrolled: 1-line block ×3, first 2 shown]
	s_waitcnt lgkmcnt(0)
	s_ashr_i32 s7, s6, 31
	s_lshl_b64 s[20:21], s[6:7], 17
	s_waitcnt vmcnt(0)
	v_readfirstlane_b32 s0, v1
	s_lshl_b32 s8, s0, 3
	s_load_dwordx2 s[2:3], s[4:5], s8 offset:0x0
	s_load_dword s30, s[4:5], 0xc4c
	s_load_dwordx2 s[14:15], s[4:5], s8 offset:0x400
	s_load_dwordx2 s[0:1], s[4:5], s8 offset:0x200
	s_waitcnt lgkmcnt(0)
	s_add_u32 s33, s2, s20
	s_addc_u32 s56, s3, s21
	s_and_b32 s8, s33, 7
	s_add_u32 s57, s0, s20
	s_addc_u32 s58, s1, s21
	s_and_b32 s12, s14, 3
	s_and_b32 s10, s57, 7
	s_or_b64 s[8:9], s[8:9], s[12:13]
	s_or_b64 s[8:9], s[10:11], s[8:9]
	s_lshl_b64 s[6:7], s[6:7], 16
	s_sub_u32 s48, s14, s6
	s_subb_u32 s49, s15, s7
	s_cmp_eq_u64 s[8:9], 0
	s_mov_b64 s[6:7], -1
	s_cbranch_scc1 .LBB81_21
; %bb.1:
	v_cmp_lt_i64_e64 s[6:7], s[48:49], 1
	s_and_b64 vcc, exec, s[6:7]
	s_cbranch_vccnz .LBB81_20
; %bb.2:
	s_load_dword s6, s[4:5], 0xc5c
	v_mov_b32_e32 v2, 0x10000
	v_mov_b32_e32 v3, 0
	v_cmp_lt_u64_e32 vcc, s[48:49], v[2:3]
	v_lshlrev_b32_e32 v10, 1, v0
	s_waitcnt lgkmcnt(0)
	s_and_b32 s8, s6, 0xffff
	s_and_b64 s[6:7], vcc, exec
	v_mov_b32_e32 v13, s3
	v_add_co_u32_e32 v2, vcc, s2, v10
	v_addc_co_u32_e32 v1, vcc, 0, v13, vcc
	v_mov_b32_e32 v11, 0
	v_mov_b32_e32 v15, s1
	v_add_co_u32_e32 v4, vcc, s0, v10
	v_addc_co_u32_e32 v3, vcc, 0, v15, vcc
	v_mad_u64_u32 v[8:9], s[6:7], s8, 6, v[10:11]
	v_add_co_u32_e32 v6, vcc, s2, v8
	v_addc_co_u32_e32 v5, vcc, v13, v9, vcc
	v_add_co_u32_e32 v8, vcc, s0, v8
	s_mul_i32 s10, s8, 3
	v_addc_co_u32_e32 v7, vcc, v15, v9, vcc
	s_cselect_b32 s23, s49, 0
	s_cselect_b32 s22, s48, 0x10000
	s_lshl_b32 s34, s8, 2
	v_add_co_u32_e32 v17, vcc, s10, v0
	v_addc_co_u32_e64 v18, s[6:7], 0, 0, vcc
	v_add_co_u32_e32 v11, vcc, s34, v10
	v_addc_co_u32_e64 v14, s[6:7], 0, 0, vcc
	v_add_co_u32_e32 v10, vcc, s2, v11
	v_addc_co_u32_e32 v9, vcc, v13, v14, vcc
	v_add_co_u32_e32 v12, vcc, s0, v11
	s_lshl_b32 s9, s8, 1
	v_addc_co_u32_e32 v11, vcc, v15, v14, vcc
	v_add_co_u32_e32 v19, vcc, s9, v0
	v_addc_co_u32_e64 v20, s[6:7], 0, 0, vcc
	v_add_co_u32_e32 v21, vcc, s8, v0
	v_lshlrev_b32_e32 v16, 1, v21
	v_addc_co_u32_e64 v22, s[6:7], 0, 0, vcc
	v_add_co_u32_e32 v14, vcc, s2, v16
	v_addc_co_u32_e32 v13, vcc, 0, v13, vcc
	v_add_co_u32_e32 v16, vcc, s0, v16
	s_mov_b32 s31, 0
	v_cmp_eq_f32_e64 s[24:25], s30, 1.0
	s_lshl_b32 s35, s8, 3
	v_addc_co_u32_e32 v15, vcc, 0, v15, vcc
	s_mov_b64 s[26:27], 0
	s_mov_b32 s36, 0x7f800000
	s_brev_b32 s37, -2
	s_mov_b32 s38, 0x3f2aaaab
	s_mov_b32 s39, 0x3f317218
	v_mov_b32_e32 v23, 0x3ecccdef
	s_movk_i32 s40, 0x204
	s_mov_b32 s41, 0x42b17218
	s_mov_b32 s42, 0x3fb8aa3b
	;; [unrolled: 1-line block ×3, first 2 shown]
	v_mov_b32_e32 v24, 0x7f800000
	v_mov_b32_e32 v25, 0x37000000
	;; [unrolled: 1-line block ×3, first 2 shown]
	s_branch .LBB81_4
.LBB81_3:                               ;   in Loop: Header=BB81_4 Depth=1
	s_or_b64 exec, exec, s[8:9]
	s_add_u32 s26, s26, s34
	s_addc_u32 s27, s27, 0
	s_waitcnt vmcnt(0)
	v_pk_mov_b32 v[28:29], s[48:49], s[48:49] op_sel:[0,1]
	v_cmp_lt_i64_e32 vcc, s[26:27], v[28:29]
	v_mov_b32_e32 v28, 0x10000
	v_mov_b32_e32 v29, 0
	v_cmp_lt_u64_e64 s[0:1], s[26:27], v[28:29]
	s_and_b64 s[0:1], vcc, s[0:1]
	v_mov_b32_e32 v27, s31
	v_add_co_u32_e32 v2, vcc, s35, v2
	v_addc_co_u32_e32 v1, vcc, v1, v27, vcc
	v_add_co_u32_e32 v4, vcc, s35, v4
	v_addc_co_u32_e32 v3, vcc, v3, v27, vcc
	;; [unrolled: 2-line block ×8, first 2 shown]
	s_and_b64 vcc, exec, s[0:1]
	s_cbranch_vccz .LBB81_20
.LBB81_4:                               ; =>This Inner Loop Header: Depth=1
	v_mov_b32_e32 v27, s27
	v_add_co_u32_e32 v28, vcc, s26, v0
	v_addc_co_u32_e32 v29, vcc, 0, v27, vcc
	v_cmp_gt_u64_e64 s[6:7], s[22:23], v[28:29]
	v_mov_b32_e32 v30, 0
	s_and_saveexec_b64 s[0:1], s[6:7]
	s_cbranch_execz .LBB81_6
; %bb.5:                                ;   in Loop: Header=BB81_4 Depth=1
	v_mov_b32_e32 v27, s21
	v_add_co_u32_e32 v28, vcc, s20, v2
	v_addc_co_u32_e32 v29, vcc, v1, v27, vcc
	global_load_ushort v30, v[28:29], off
.LBB81_6:                               ;   in Loop: Header=BB81_4 Depth=1
	s_or_b64 exec, exec, s[0:1]
	v_mov_b32_e32 v27, s27
	v_add_co_u32_e32 v28, vcc, s26, v21
	v_addc_co_u32_e32 v29, vcc, v22, v27, vcc
	v_cmp_gt_u64_e64 s[2:3], s[22:23], v[28:29]
	v_mov_b32_e32 v29, 0
	s_and_saveexec_b64 s[0:1], s[2:3]
	s_cbranch_execz .LBB81_8
; %bb.7:                                ;   in Loop: Header=BB81_4 Depth=1
	v_mov_b32_e32 v27, s21
	v_add_co_u32_e32 v28, vcc, s20, v14
	v_addc_co_u32_e32 v29, vcc, v13, v27, vcc
	global_load_ushort v29, v[28:29], off
.LBB81_8:                               ;   in Loop: Header=BB81_4 Depth=1
	s_or_b64 exec, exec, s[0:1]
	v_mov_b32_e32 v27, s27
	v_add_co_u32_e32 v32, vcc, s26, v19
	v_addc_co_u32_e32 v33, vcc, v20, v27, vcc
	v_cmp_gt_u64_e64 s[0:1], s[22:23], v[32:33]
	v_mov_b32_e32 v27, 0
	v_mov_b32_e32 v28, 0
	s_and_saveexec_b64 s[8:9], s[0:1]
	s_cbranch_execz .LBB81_10
; %bb.9:                                ;   in Loop: Header=BB81_4 Depth=1
	v_mov_b32_e32 v28, s21
	v_add_co_u32_e32 v32, vcc, s20, v10
	v_addc_co_u32_e32 v33, vcc, v9, v28, vcc
	global_load_ushort v28, v[32:33], off
.LBB81_10:                              ;   in Loop: Header=BB81_4 Depth=1
	s_or_b64 exec, exec, s[8:9]
	v_mov_b32_e32 v31, s27
	v_add_co_u32_e32 v32, vcc, s26, v17
	v_addc_co_u32_e32 v33, vcc, v18, v31, vcc
	v_cmp_gt_u64_e32 vcc, s[22:23], v[32:33]
	s_and_saveexec_b64 s[10:11], vcc
	s_cbranch_execnz .LBB81_15
; %bb.11:                               ;   in Loop: Header=BB81_4 Depth=1
	s_or_b64 exec, exec, s[10:11]
	s_and_saveexec_b64 s[28:29], s[6:7]
	s_cbranch_execnz .LBB81_16
.LBB81_12:                              ;   in Loop: Header=BB81_4 Depth=1
	s_or_b64 exec, exec, s[28:29]
	s_and_saveexec_b64 s[12:13], s[2:3]
	s_cbranch_execnz .LBB81_17
.LBB81_13:                              ;   in Loop: Header=BB81_4 Depth=1
	s_or_b64 exec, exec, s[12:13]
	s_and_saveexec_b64 s[10:11], s[0:1]
	s_cbranch_execnz .LBB81_18
.LBB81_14:                              ;   in Loop: Header=BB81_4 Depth=1
	s_or_b64 exec, exec, s[10:11]
	s_and_saveexec_b64 s[8:9], vcc
	s_cbranch_execz .LBB81_3
	s_branch .LBB81_19
.LBB81_15:                              ;   in Loop: Header=BB81_4 Depth=1
	v_mov_b32_e32 v27, s21
	v_add_co_u32_e64 v32, s[8:9], s20, v6
	v_addc_co_u32_e64 v33, s[8:9], v5, v27, s[8:9]
	global_load_ushort v27, v[32:33], off
	s_or_b64 exec, exec, s[10:11]
	s_and_saveexec_b64 s[28:29], s[6:7]
	s_cbranch_execz .LBB81_12
.LBB81_16:                              ;   in Loop: Header=BB81_4 Depth=1
	s_waitcnt vmcnt(0)
	v_cvt_f32_f16_e32 v32, v30
	v_mov_b32_e32 v30, s30
	v_mov_b32_e32 v46, s21
	v_cndmask_b32_e64 v47, v32, 1.0, s[24:25]
	v_cmp_eq_f32_e64 s[6:7], 0, v47
	v_cndmask_b32_e64 v48, v30, 1.0, s[6:7]
	v_cmp_eq_f32_e64 s[8:9], 0, v48
	v_cmp_gt_f32_e64 s[10:11], 0, v47
	s_xor_b64 s[10:11], s[10:11], s[8:9]
	v_trunc_f32_e32 v31, v47
	v_cndmask_b32_e64 v49, |v30|, 1.0, s[6:7]
	v_cndmask_b32_e64 v30, v24, 0, s[10:11]
	v_cmp_eq_f32_e64 s[10:11], v31, v47
	v_mul_f32_e32 v31, 0.5, v47
	v_trunc_f32_e32 v33, v31
	v_cmp_neq_f32_e64 s[12:13], v33, v31
	s_and_b64 s[12:13], s[10:11], s[12:13]
	v_cndmask_b32_e64 v31, 0, v48, s[12:13]
	v_bfi_b32 v50, s37, v30, v31
	v_cvt_f64_f32_e32 v[30:31], v49
	v_frexp_exp_i32_f64_e32 v30, v[30:31]
	v_frexp_mant_f32_e32 v31, v49
	v_cmp_gt_f32_e64 s[18:19], s38, v31
	v_subbrev_co_u32_e64 v30, s[14:15], 0, v30, s[18:19]
	v_cvt_f32_i32_e32 v33, v30
	v_cndmask_b32_e64 v51, |v32|, 1.0, s[24:25]
	v_cmp_neq_f32_e64 s[14:15], v47, v51
	v_cmp_gt_f32_e64 s[16:17], 1.0, v49
	v_mul_f32_e32 v30, 0x3f317218, v33
	v_fma_f32 v32, v33, s39, -v30
	v_fmac_f32_e32 v32, 0xb102e308, v33
	v_cndmask_b32_e64 v33, 1.0, 2.0, s[18:19]
	v_mul_f32_e32 v31, v31, v33
	v_add_f32_e32 v33, 1.0, v31
	v_rcp_f32_e32 v42, v33
	v_add_f32_e32 v34, -1.0, v33
	v_add_f32_e32 v35, -1.0, v31
	v_sub_f32_e32 v34, v31, v34
	v_mul_f32_e32 v31, v35, v42
	v_mul_f32_e32 v36, v33, v31
	v_fma_f32 v38, v31, v33, -v36
	v_fmac_f32_e32 v38, v31, v34
	v_add_f32_e32 v34, v36, v38
	v_sub_f32_e32 v37, v35, v34
	v_pk_add_f32 v[40:41], v[34:35], v[36:37] neg_lo:[0,1] neg_hi:[0,1]
	v_mov_b32_e32 v39, v34
	v_pk_add_f32 v[34:35], v[40:41], v[38:39] neg_lo:[0,1] neg_hi:[0,1]
	v_add_f32_e32 v33, v34, v35
	v_add_f32_e32 v33, v37, v33
	v_mul_f32_e32 v35, v42, v33
	v_add_f32_e32 v34, v31, v35
	v_sub_f32_e32 v31, v34, v31
	v_mul_f32_e32 v37, v34, v34
	v_sub_f32_e32 v44, v35, v31
	v_add_f32_e32 v31, v44, v44
	v_fma_f32 v35, v34, v34, -v37
	v_fmac_f32_e32 v35, v34, v31
	v_add_f32_e32 v36, v37, v35
	v_sub_f32_e32 v31, v36, v37
	v_sub_f32_e32 v31, v35, v31
	v_mov_b32_e32 v35, 0x3e91f4c4
	v_fmac_f32_e32 v35, 0x3e76c4e1, v36
	v_fma_f32 v35, v36, v35, v23
	v_mul_f32_e32 v37, v36, v35
	v_fma_f32 v38, v36, v35, -v37
	v_fmac_f32_e32 v38, v31, v35
	v_add_f32_e32 v40, v37, v38
	v_add_f32_e32 v39, 0x3f2aaaaa, v40
	v_sub_f32_e32 v35, v40, v37
	v_sub_f32_e32 v35, v38, v35
	v_add_f32_e32 v37, 0xbf2aaaaa, v39
	v_add_f32_e32 v35, 0x31739010, v35
	v_sub_f32_e32 v37, v40, v37
	v_pk_mul_f32 v[40:41], v[34:35], v[36:37]
	v_fma_f32 v38, v36, v34, -v40
	v_pk_add_f32 v[42:43], v[34:35], v[36:37]
	v_fmac_f32_e32 v38, v36, v44
	v_mov_b32_e32 v41, v43
	v_fmac_f32_e32 v38, v31, v34
	v_ldexp_f32 v33, v34, 1
	v_pk_add_f32 v[34:35], v[40:41], v[38:39]
	v_mov_b32_e32 v36, v35
	v_pk_mul_f32 v[36:37], v[34:35], v[36:37]
	v_sub_f32_e32 v31, v34, v40
	v_sub_f32_e32 v37, v39, v35
	;; [unrolled: 1-line block ×3, first 2 shown]
	v_add_f32_e32 v37, v43, v37
	v_fma_f32 v38, v34, v35, -v36
	v_fmac_f32_e32 v38, v34, v37
	v_fmac_f32_e32 v38, v31, v35
	v_add_f32_e32 v31, v36, v38
	v_pk_add_f32 v[34:35], v[30:31], v[32:33]
	v_mov_b32_e32 v40, v31
	v_mov_b32_e32 v41, v35
	;; [unrolled: 1-line block ×3, first 2 shown]
	v_pk_add_f32 v[36:37], v[40:41], v[36:37] neg_lo:[0,1] neg_hi:[0,1]
	v_mov_b32_e32 v39, v31
	v_ldexp_f32 v42, v44, 1
	v_pk_add_f32 v[36:37], v[38:39], v[36:37] neg_lo:[0,1] neg_hi:[0,1]
	v_add_f32_e32 v31, v42, v36
	v_add_f32_e32 v31, v31, v37
	v_pk_add_f32 v[36:37], v[34:35], v[30:31] neg_lo:[0,1] neg_hi:[0,1]
	v_pk_add_f32 v[38:39], v[34:35], v[30:31]
	v_mov_b32_e32 v40, v36
	v_mov_b32_e32 v41, v39
	v_mov_b32_e32 v33, v34
	v_pk_add_f32 v[40:41], v[32:33], v[40:41]
	v_mov_b32_e32 v30, v41
	v_pk_add_f32 v[42:43], v[30:31], v[34:35] neg_lo:[0,1] neg_hi:[0,1]
	v_mov_b32_e32 v43, v42
	v_mov_b32_e32 v40, v39
	v_mov_b32_e32 v34, v35
	v_mov_b32_e32 v35, v42
	v_pk_add_f32 v[36:37], v[32:33], v[36:37] neg_lo:[0,1] neg_hi:[0,1]
	v_pk_add_f32 v[44:45], v[38:39], v[42:43] neg_lo:[0,1] neg_hi:[0,1]
	;; [unrolled: 1-line block ×3, first 2 shown]
	v_mov_b32_e32 v32, v31
	v_pk_add_f32 v[32:33], v[32:33], v[34:35] neg_lo:[0,1] neg_hi:[0,1]
	v_mov_b32_e32 v44, v36
	v_pk_add_f32 v[34:35], v[44:45], v[32:33]
	v_mov_b32_e32 v38, v35
	v_pk_add_f32 v[38:39], v[34:35], v[38:39]
	v_pk_add_f32 v[30:31], v[30:31], v[38:39]
	v_mov_b32_e32 v37, v41
	v_mov_b32_e32 v35, v30
	v_pk_add_f32 v[40:41], v[34:35], v[36:37] neg_lo:[0,1] neg_hi:[0,1]
	v_mov_b32_e32 v33, v38
	v_sub_f32_e32 v31, v34, v40
	v_pk_add_f32 v[32:33], v[32:33], v[40:41] neg_lo:[0,1] neg_hi:[0,1]
	v_sub_f32_e32 v31, v36, v31
	v_add_f32_e32 v31, v32, v31
	v_add_f32_e32 v31, v31, v33
	;; [unrolled: 1-line block ×3, first 2 shown]
	v_mul_f32_e32 v33, v47, v32
	v_sub_f32_e32 v30, v32, v30
	v_sub_f32_e32 v30, v31, v30
	v_fma_f32 v31, v47, v32, -v33
	v_fmac_f32_e32 v31, v47, v30
	v_add_f32_e32 v30, v33, v31
	v_cmp_class_f32_e64 s[18:19], v33, s40
	v_cndmask_b32_e64 v32, v30, v33, s[18:19]
	v_cmp_eq_f32_e64 s[18:19], s41, v32
	v_cndmask_b32_e64 v34, 0, v25, s[18:19]
	v_sub_f32_e32 v35, v32, v34
	v_mul_f32_e32 v36, 0x3fb8aa3b, v35
	v_fma_f32 v37, v35, s42, -v36
	v_rndne_f32_e32 v38, v36
	v_fmac_f32_e32 v37, 0x32a5705f, v35
	v_sub_f32_e32 v36, v36, v38
	v_add_f32_e32 v36, v36, v37
	v_exp_f32_e32 v36, v36
	v_cvt_i32_f32_e32 v37, v38
	s_xor_b64 s[14:15], s[14:15], s[16:17]
	v_cndmask_b32_e64 v38, v51, 0, s[14:15]
	v_cmp_eq_f32_e64 s[14:15], 1.0, v49
	v_cndmask_b32_e64 v38, v38, v49, s[14:15]
	v_ldexp_f32 v36, v36, v37
	v_cmp_ngt_f32_e64 s[14:15], s43, v35
	v_cndmask_b32_e64 v36, 0, v36, s[14:15]
	v_cmp_nlt_f32_e64 s[14:15], s41, v35
	v_sub_f32_e32 v30, v30, v33
	v_cndmask_b32_e64 v35, v24, v36, s[14:15]
	v_sub_f32_e32 v30, v31, v30
	v_cmp_neq_f32_e64 s[14:15], |v32|, s36
	v_cndmask_b32_e64 v30, 0, v30, s[14:15]
	v_add_f32_e32 v30, v34, v30
	v_fma_f32 v30, v35, v30, v35
	v_cmp_class_f32_e64 s[14:15], v35, s40
	v_cndmask_b32_e64 v30, v30, v35, s[14:15]
	v_cndmask_b32_e64 v31, 1.0, v48, s[12:13]
	v_bfi_b32 v30, s37, v30, v31
	v_cndmask_b32_e64 v31, v26, v30, s[10:11]
	v_cmp_gt_f32_e64 s[10:11], 0, v48
	v_cmp_eq_f32_e64 s[6:7], s36, v49
	v_cndmask_b32_e64 v30, v30, v31, s[10:11]
	v_cmp_eq_f32_e64 s[10:11], s36, v51
	v_cndmask_b32_e64 v30, v30, v38, s[10:11]
	s_or_b64 s[6:7], s[6:7], s[8:9]
	v_cndmask_b32_e64 v30, v30, v50, s[6:7]
	v_cmp_o_f32_e64 s[6:7], v48, v47
	v_cndmask_b32_e64 v30, v26, v30, s[6:7]
	v_cvt_f16_f32_e32 v32, v30
	v_add_co_u32_e64 v30, s[6:7], s20, v4
	v_addc_co_u32_e64 v31, s[6:7], v3, v46, s[6:7]
	global_store_short v[30:31], v32, off
	s_or_b64 exec, exec, s[28:29]
	s_and_saveexec_b64 s[12:13], s[2:3]
	s_cbranch_execz .LBB81_13
.LBB81_17:                              ;   in Loop: Header=BB81_4 Depth=1
	s_waitcnt vmcnt(0)
	v_cvt_f32_f16_e32 v46, v29
	v_mov_b32_e32 v47, s30
	v_cndmask_b32_e64 v48, v46, 1.0, s[24:25]
	v_cmp_eq_f32_e64 s[2:3], 0, v48
	v_cndmask_b32_e64 v49, |v47|, 1.0, s[2:3]
	v_frexp_mant_f32_e32 v29, v49
	v_cmp_gt_f32_e64 s[6:7], s38, v29
	v_cndmask_b32_e64 v30, 1.0, 2.0, s[6:7]
	v_mul_f32_e32 v29, v29, v30
	v_add_f32_e32 v30, 1.0, v29
	v_rcp_f32_e32 v38, v30
	v_add_f32_e32 v31, -1.0, v29
	v_add_f32_e32 v32, -1.0, v30
	v_sub_f32_e32 v29, v29, v32
	v_mul_f32_e32 v39, v31, v38
	v_mul_f32_e32 v32, v30, v39
	v_fma_f32 v34, v39, v30, -v32
	v_fmac_f32_e32 v34, v39, v29
	v_add_f32_e32 v30, v32, v34
	v_sub_f32_e32 v33, v31, v30
	v_pk_add_f32 v[36:37], v[30:31], v[32:33] neg_lo:[0,1] neg_hi:[0,1]
	v_mov_b32_e32 v35, v30
	v_pk_add_f32 v[30:31], v[36:37], v[34:35] neg_lo:[0,1] neg_hi:[0,1]
	v_add_f32_e32 v29, v30, v31
	v_add_f32_e32 v29, v33, v29
	v_mul_f32_e32 v29, v38, v29
	v_add_f32_e32 v30, v39, v29
	v_sub_f32_e32 v31, v30, v39
	v_sub_f32_e32 v29, v29, v31
	v_mul_f32_e32 v31, v30, v30
	v_fma_f32 v33, v30, v30, -v31
	v_add_f32_e32 v32, v29, v29
	v_fmac_f32_e32 v33, v30, v32
	v_add_f32_e32 v32, v31, v33
	v_mov_b32_e32 v34, 0x3e91f4c4
	v_fmac_f32_e32 v34, 0x3e76c4e1, v32
	v_fma_f32 v34, v32, v34, v23
	v_sub_f32_e32 v31, v32, v31
	v_sub_f32_e32 v40, v33, v31
	v_mul_f32_e32 v31, v32, v34
	v_fma_f32 v33, v32, v34, -v31
	v_fmac_f32_e32 v33, v40, v34
	v_add_f32_e32 v34, v31, v33
	v_add_f32_e32 v35, 0x3f2aaaaa, v34
	v_sub_f32_e32 v31, v34, v31
	v_sub_f32_e32 v31, v33, v31
	v_add_f32_e32 v33, 0xbf2aaaaa, v35
	v_add_f32_e32 v31, 0x31739010, v31
	v_sub_f32_e32 v33, v34, v33
	v_pk_mul_f32 v[36:37], v[30:31], v[32:33]
	v_fma_f32 v34, v32, v30, -v36
	v_pk_add_f32 v[38:39], v[30:31], v[32:33]
	v_fmac_f32_e32 v34, v32, v29
	v_mov_b32_e32 v37, v39
	v_fmac_f32_e32 v34, v40, v30
	v_pk_add_f32 v[32:33], v[36:37], v[34:35]
	v_sub_f32_e32 v31, v32, v36
	v_sub_f32_e32 v31, v34, v31
	;; [unrolled: 1-line block ×3, first 2 shown]
	v_add_f32_e32 v38, v39, v34
	v_mov_b32_e32 v34, v33
	v_pk_mul_f32 v[34:35], v[32:33], v[34:35]
	v_cvt_f64_f32_e32 v[36:37], v49
	v_frexp_exp_i32_f64_e32 v35, v[36:37]
	v_subbrev_co_u32_e64 v35, s[6:7], 0, v35, s[6:7]
	v_cvt_f32_i32_e32 v35, v35
	v_fma_f32 v36, v32, v33, -v34
	v_fmac_f32_e32 v36, v32, v38
	v_fmac_f32_e32 v36, v31, v33
	v_mul_f32_e32 v32, 0x3f317218, v35
	v_fma_f32 v38, v35, s39, -v32
	v_fmac_f32_e32 v38, 0xb102e308, v35
	v_ldexp_f32 v39, v30, 1
	v_add_f32_e32 v33, v34, v36
	v_pk_add_f32 v[30:31], v[32:33], v[38:39]
	v_mov_b32_e32 v40, v33
	v_mov_b32_e32 v41, v31
	v_mov_b32_e32 v35, v39
	v_pk_add_f32 v[34:35], v[40:41], v[34:35] neg_lo:[0,1] neg_hi:[0,1]
	v_mov_b32_e32 v37, v33
	v_ldexp_f32 v29, v29, 1
	v_pk_add_f32 v[34:35], v[36:37], v[34:35] neg_lo:[0,1] neg_hi:[0,1]
	v_add_f32_e32 v29, v29, v34
	v_add_f32_e32 v33, v29, v35
	v_pk_add_f32 v[34:35], v[30:31], v[32:33] neg_lo:[0,1] neg_hi:[0,1]
	v_pk_add_f32 v[36:37], v[30:31], v[32:33]
	v_mov_b32_e32 v40, v34
	v_mov_b32_e32 v41, v37
	;; [unrolled: 1-line block ×3, first 2 shown]
	v_pk_add_f32 v[40:41], v[38:39], v[40:41]
	v_mov_b32_e32 v32, v41
	v_pk_add_f32 v[42:43], v[32:33], v[30:31] neg_lo:[0,1] neg_hi:[0,1]
	v_mov_b32_e32 v29, v42
	v_mov_b32_e32 v40, v37
	;; [unrolled: 1-line block ×4, first 2 shown]
	v_pk_add_f32 v[34:35], v[38:39], v[34:35] neg_lo:[0,1] neg_hi:[0,1]
	v_pk_add_f32 v[44:45], v[36:37], v[28:29] neg_lo:[0,1] neg_hi:[0,1]
	;; [unrolled: 1-line block ×3, first 2 shown]
	v_mov_b32_e32 v38, v33
	v_pk_add_f32 v[30:31], v[38:39], v[30:31] neg_lo:[0,1] neg_hi:[0,1]
	v_mov_b32_e32 v44, v34
	v_pk_add_f32 v[36:37], v[44:45], v[30:31]
	v_mov_b32_e32 v38, v37
	v_pk_add_f32 v[38:39], v[36:37], v[38:39]
	v_pk_add_f32 v[32:33], v[32:33], v[38:39]
	v_mov_b32_e32 v35, v41
	v_mov_b32_e32 v37, v32
	v_pk_add_f32 v[40:41], v[36:37], v[34:35] neg_lo:[0,1] neg_hi:[0,1]
	v_mov_b32_e32 v31, v38
	v_sub_f32_e32 v29, v36, v40
	v_pk_add_f32 v[30:31], v[30:31], v[40:41] neg_lo:[0,1] neg_hi:[0,1]
	v_sub_f32_e32 v29, v34, v29
	v_add_f32_e32 v29, v30, v29
	v_add_f32_e32 v29, v29, v31
	;; [unrolled: 1-line block ×3, first 2 shown]
	v_sub_f32_e32 v31, v30, v32
	v_sub_f32_e32 v29, v29, v31
	v_mul_f32_e32 v31, v48, v30
	v_fma_f32 v30, v48, v30, -v31
	v_fmac_f32_e32 v30, v48, v29
	v_add_f32_e32 v29, v31, v30
	v_cmp_class_f32_e64 s[6:7], v31, s40
	v_sub_f32_e32 v32, v29, v31
	v_cndmask_b32_e64 v29, v29, v31, s[6:7]
	v_cmp_eq_f32_e64 s[6:7], s41, v29
	v_cndmask_b32_e64 v31, 0, v25, s[6:7]
	v_sub_f32_e32 v30, v30, v32
	v_sub_f32_e32 v32, v29, v31
	v_mul_f32_e32 v33, 0x3fb8aa3b, v32
	v_fma_f32 v34, v32, s42, -v33
	v_rndne_f32_e32 v35, v33
	v_fmac_f32_e32 v34, 0x32a5705f, v32
	v_sub_f32_e32 v33, v33, v35
	v_add_f32_e32 v33, v33, v34
	v_exp_f32_e32 v33, v33
	v_cvt_i32_f32_e32 v34, v35
	v_cmp_neq_f32_e64 s[6:7], |v29|, s36
	v_cndmask_b32_e64 v29, 0, v30, s[6:7]
	v_cmp_ngt_f32_e64 s[6:7], s43, v32
	v_ldexp_f32 v30, v33, v34
	v_cndmask_b32_e64 v30, 0, v30, s[6:7]
	v_cmp_nlt_f32_e64 s[6:7], s41, v32
	v_add_f32_e32 v29, v31, v29
	v_cndmask_b32_e64 v30, v24, v30, s[6:7]
	v_fma_f32 v29, v30, v29, v30
	v_cmp_class_f32_e64 s[6:7], v30, s40
	v_trunc_f32_e32 v31, v48
	v_cndmask_b32_e64 v29, v29, v30, s[6:7]
	v_cndmask_b32_e64 v30, v47, 1.0, s[2:3]
	v_cmp_eq_f32_e64 s[2:3], v31, v48
	v_mul_f32_e32 v31, 0.5, v48
	v_trunc_f32_e32 v32, v31
	v_cmp_neq_f32_e64 s[6:7], v32, v31
	s_and_b64 s[6:7], s[2:3], s[6:7]
	v_cndmask_b32_e64 v31, 1.0, v30, s[6:7]
	v_bfi_b32 v29, s37, v29, v31
	v_cndmask_b32_e64 v31, v26, v29, s[2:3]
	v_cmp_gt_f32_e64 s[2:3], 0, v30
	v_cndmask_b32_e64 v29, v29, v31, s[2:3]
	v_cndmask_b32_e64 v31, |v46|, 1.0, s[24:25]
	v_cmp_neq_f32_e64 s[2:3], v48, v31
	v_cmp_gt_f32_e64 s[8:9], 1.0, v49
	s_xor_b64 s[2:3], s[2:3], s[8:9]
	v_cndmask_b32_e64 v32, v31, 0, s[2:3]
	v_cmp_eq_f32_e64 s[2:3], 1.0, v49
	v_cmp_eq_f32_e64 s[8:9], 0, v30
	v_cmp_gt_f32_e64 s[10:11], 0, v48
	v_cndmask_b32_e64 v32, v32, v49, s[2:3]
	v_cmp_eq_f32_e64 s[2:3], s36, v31
	s_xor_b64 s[10:11], s[10:11], s[8:9]
	v_cndmask_b32_e64 v29, v29, v32, s[2:3]
	v_cmp_eq_f32_e64 s[2:3], s36, v49
	v_cndmask_b32_e64 v31, v24, 0, s[10:11]
	v_cndmask_b32_e64 v32, 0, v30, s[6:7]
	v_bfi_b32 v31, s37, v31, v32
	s_or_b64 s[2:3], s[2:3], s[8:9]
	v_cndmask_b32_e64 v29, v29, v31, s[2:3]
	v_cmp_o_f32_e64 s[2:3], v30, v48
	v_cndmask_b32_e64 v29, v26, v29, s[2:3]
	v_cvt_f16_f32_e32 v29, v29
	v_mov_b32_e32 v31, s21
	v_add_co_u32_e64 v30, s[2:3], s20, v16
	v_addc_co_u32_e64 v31, s[2:3], v15, v31, s[2:3]
	global_store_short v[30:31], v29, off
	s_or_b64 exec, exec, s[12:13]
	s_and_saveexec_b64 s[10:11], s[0:1]
	s_cbranch_execz .LBB81_14
.LBB81_18:                              ;   in Loop: Header=BB81_4 Depth=1
	s_waitcnt vmcnt(0)
	v_cvt_f32_f16_e32 v44, v28
	v_mov_b32_e32 v45, s30
	v_cndmask_b32_e64 v46, v44, 1.0, s[24:25]
	v_cmp_eq_f32_e64 s[0:1], 0, v46
	v_cndmask_b32_e64 v47, |v45|, 1.0, s[0:1]
	v_frexp_mant_f32_e32 v28, v47
	v_cmp_gt_f32_e64 s[2:3], s38, v28
	v_cndmask_b32_e64 v29, 1.0, 2.0, s[2:3]
	v_mul_f32_e32 v28, v28, v29
	v_add_f32_e32 v31, 1.0, v28
	v_rcp_f32_e32 v36, v31
	v_add_f32_e32 v29, -1.0, v28
	v_add_f32_e32 v30, -1.0, v31
	v_sub_f32_e32 v28, v28, v30
	v_mul_f32_e32 v37, v29, v36
	v_mul_f32_e32 v30, v31, v37
	v_fma_f32 v32, v37, v31, -v30
	v_fmac_f32_e32 v32, v37, v28
	v_add_f32_e32 v28, v30, v32
	v_sub_f32_e32 v31, v29, v28
	v_pk_add_f32 v[34:35], v[28:29], v[30:31] neg_lo:[0,1] neg_hi:[0,1]
	v_mov_b32_e32 v33, v28
	v_pk_add_f32 v[28:29], v[34:35], v[32:33] neg_lo:[0,1] neg_hi:[0,1]
	v_add_f32_e32 v28, v28, v29
	v_add_f32_e32 v28, v31, v28
	v_mul_f32_e32 v29, v36, v28
	v_add_f32_e32 v28, v37, v29
	v_sub_f32_e32 v30, v28, v37
	v_sub_f32_e32 v38, v29, v30
	v_mul_f32_e32 v29, v28, v28
	v_fma_f32 v31, v28, v28, -v29
	v_add_f32_e32 v30, v38, v38
	v_fmac_f32_e32 v31, v28, v30
	v_add_f32_e32 v30, v29, v31
	v_mov_b32_e32 v32, 0x3e91f4c4
	v_fmac_f32_e32 v32, 0x3e76c4e1, v30
	v_fma_f32 v32, v30, v32, v23
	v_sub_f32_e32 v29, v30, v29
	v_sub_f32_e32 v39, v31, v29
	v_mul_f32_e32 v29, v30, v32
	v_fma_f32 v31, v30, v32, -v29
	v_fmac_f32_e32 v31, v39, v32
	v_add_f32_e32 v32, v29, v31
	v_add_f32_e32 v33, 0x3f2aaaaa, v32
	v_sub_f32_e32 v29, v32, v29
	v_sub_f32_e32 v29, v31, v29
	v_add_f32_e32 v31, 0xbf2aaaaa, v33
	v_add_f32_e32 v29, 0x31739010, v29
	v_sub_f32_e32 v31, v32, v31
	v_pk_mul_f32 v[34:35], v[28:29], v[30:31]
	v_fma_f32 v32, v30, v28, -v34
	v_pk_add_f32 v[36:37], v[28:29], v[30:31]
	v_fmac_f32_e32 v32, v30, v38
	v_mov_b32_e32 v35, v37
	v_fmac_f32_e32 v32, v39, v28
	v_pk_add_f32 v[30:31], v[34:35], v[32:33]
	v_sub_f32_e32 v29, v30, v34
	v_sub_f32_e32 v29, v32, v29
	;; [unrolled: 1-line block ×3, first 2 shown]
	v_add_f32_e32 v36, v37, v32
	v_mov_b32_e32 v32, v31
	v_pk_mul_f32 v[32:33], v[30:31], v[32:33]
	v_cvt_f64_f32_e32 v[34:35], v47
	v_frexp_exp_i32_f64_e32 v33, v[34:35]
	v_subbrev_co_u32_e64 v33, s[2:3], 0, v33, s[2:3]
	v_cvt_f32_i32_e32 v33, v33
	v_fma_f32 v34, v30, v31, -v32
	v_fmac_f32_e32 v34, v30, v36
	v_fmac_f32_e32 v34, v29, v31
	v_mul_f32_e32 v30, 0x3f317218, v33
	v_fma_f32 v36, v33, s39, -v30
	v_fmac_f32_e32 v36, 0xb102e308, v33
	v_ldexp_f32 v37, v28, 1
	v_add_f32_e32 v31, v32, v34
	v_pk_add_f32 v[28:29], v[30:31], v[36:37]
	v_ldexp_f32 v40, v38, 1
	v_mov_b32_e32 v38, v31
	v_mov_b32_e32 v39, v29
	;; [unrolled: 1-line block ×3, first 2 shown]
	v_pk_add_f32 v[32:33], v[38:39], v[32:33] neg_lo:[0,1] neg_hi:[0,1]
	v_mov_b32_e32 v35, v31
	v_pk_add_f32 v[32:33], v[34:35], v[32:33] neg_lo:[0,1] neg_hi:[0,1]
	v_add_f32_e32 v31, v40, v32
	v_add_f32_e32 v31, v31, v33
	v_pk_add_f32 v[32:33], v[28:29], v[30:31] neg_lo:[0,1] neg_hi:[0,1]
	v_pk_add_f32 v[34:35], v[28:29], v[30:31]
	v_mov_b32_e32 v38, v32
	v_mov_b32_e32 v39, v35
	;; [unrolled: 1-line block ×3, first 2 shown]
	v_pk_add_f32 v[38:39], v[36:37], v[38:39]
	v_mov_b32_e32 v30, v39
	v_pk_add_f32 v[40:41], v[30:31], v[28:29] neg_lo:[0,1] neg_hi:[0,1]
	v_mov_b32_e32 v41, v40
	v_mov_b32_e32 v38, v35
	;; [unrolled: 1-line block ×4, first 2 shown]
	v_pk_add_f32 v[32:33], v[36:37], v[32:33] neg_lo:[0,1] neg_hi:[0,1]
	v_pk_add_f32 v[42:43], v[34:35], v[40:41] neg_lo:[0,1] neg_hi:[0,1]
	;; [unrolled: 1-line block ×3, first 2 shown]
	v_mov_b32_e32 v36, v31
	v_pk_add_f32 v[28:29], v[36:37], v[28:29] neg_lo:[0,1] neg_hi:[0,1]
	v_mov_b32_e32 v42, v32
	v_pk_add_f32 v[34:35], v[42:43], v[28:29]
	v_mov_b32_e32 v36, v35
	v_pk_add_f32 v[36:37], v[34:35], v[36:37]
	v_pk_add_f32 v[30:31], v[30:31], v[36:37]
	v_mov_b32_e32 v33, v39
	v_mov_b32_e32 v35, v30
	v_pk_add_f32 v[38:39], v[34:35], v[32:33] neg_lo:[0,1] neg_hi:[0,1]
	v_mov_b32_e32 v29, v36
	v_sub_f32_e32 v31, v34, v38
	v_pk_add_f32 v[28:29], v[28:29], v[38:39] neg_lo:[0,1] neg_hi:[0,1]
	v_sub_f32_e32 v31, v32, v31
	v_add_f32_e32 v28, v28, v31
	v_add_f32_e32 v28, v28, v29
	;; [unrolled: 1-line block ×3, first 2 shown]
	v_sub_f32_e32 v30, v29, v30
	v_sub_f32_e32 v28, v28, v30
	v_mul_f32_e32 v30, v46, v29
	v_fma_f32 v29, v46, v29, -v30
	v_fmac_f32_e32 v29, v46, v28
	v_add_f32_e32 v28, v30, v29
	v_cmp_class_f32_e64 s[2:3], v30, s40
	v_sub_f32_e32 v31, v28, v30
	v_cndmask_b32_e64 v28, v28, v30, s[2:3]
	v_cmp_eq_f32_e64 s[2:3], s41, v28
	v_cndmask_b32_e64 v30, 0, v25, s[2:3]
	v_sub_f32_e32 v29, v29, v31
	v_sub_f32_e32 v31, v28, v30
	v_mul_f32_e32 v32, 0x3fb8aa3b, v31
	v_fma_f32 v33, v31, s42, -v32
	v_rndne_f32_e32 v34, v32
	v_fmac_f32_e32 v33, 0x32a5705f, v31
	v_sub_f32_e32 v32, v32, v34
	v_add_f32_e32 v32, v32, v33
	v_exp_f32_e32 v32, v32
	v_cvt_i32_f32_e32 v33, v34
	v_cmp_neq_f32_e64 s[2:3], |v28|, s36
	v_cndmask_b32_e64 v28, 0, v29, s[2:3]
	v_cmp_ngt_f32_e64 s[2:3], s43, v31
	v_ldexp_f32 v29, v32, v33
	v_cndmask_b32_e64 v29, 0, v29, s[2:3]
	v_cmp_nlt_f32_e64 s[2:3], s41, v31
	v_add_f32_e32 v28, v30, v28
	v_cndmask_b32_e64 v29, v24, v29, s[2:3]
	v_fma_f32 v28, v29, v28, v29
	v_cmp_class_f32_e64 s[2:3], v29, s40
	v_trunc_f32_e32 v30, v46
	v_cndmask_b32_e64 v28, v28, v29, s[2:3]
	v_cndmask_b32_e64 v29, v45, 1.0, s[0:1]
	v_cmp_eq_f32_e64 s[0:1], v30, v46
	v_mul_f32_e32 v30, 0.5, v46
	v_trunc_f32_e32 v31, v30
	v_cmp_neq_f32_e64 s[2:3], v31, v30
	s_and_b64 s[2:3], s[0:1], s[2:3]
	v_cndmask_b32_e64 v30, 1.0, v29, s[2:3]
	v_bfi_b32 v28, s37, v28, v30
	v_cndmask_b32_e64 v30, v26, v28, s[0:1]
	v_cmp_gt_f32_e64 s[0:1], 0, v29
	v_cndmask_b32_e64 v28, v28, v30, s[0:1]
	v_cndmask_b32_e64 v30, |v44|, 1.0, s[24:25]
	v_cmp_neq_f32_e64 s[0:1], v46, v30
	v_cmp_gt_f32_e64 s[6:7], 1.0, v47
	s_xor_b64 s[0:1], s[0:1], s[6:7]
	v_cndmask_b32_e64 v31, v30, 0, s[0:1]
	v_cmp_eq_f32_e64 s[0:1], 1.0, v47
	v_cmp_eq_f32_e64 s[6:7], 0, v29
	v_cmp_gt_f32_e64 s[8:9], 0, v46
	v_cndmask_b32_e64 v31, v31, v47, s[0:1]
	v_cmp_eq_f32_e64 s[0:1], s36, v30
	s_xor_b64 s[8:9], s[8:9], s[6:7]
	v_cndmask_b32_e64 v28, v28, v31, s[0:1]
	v_cmp_eq_f32_e64 s[0:1], s36, v47
	v_cndmask_b32_e64 v30, v24, 0, s[8:9]
	v_cndmask_b32_e64 v31, 0, v29, s[2:3]
	v_bfi_b32 v30, s37, v30, v31
	s_or_b64 s[0:1], s[0:1], s[6:7]
	v_cndmask_b32_e64 v28, v28, v30, s[0:1]
	v_cmp_o_f32_e64 s[0:1], v29, v46
	v_cndmask_b32_e64 v28, v26, v28, s[0:1]
	v_cvt_f16_f32_e32 v30, v28
	v_mov_b32_e32 v29, s21
	v_add_co_u32_e64 v28, s[0:1], s20, v12
	v_addc_co_u32_e64 v29, s[0:1], v11, v29, s[0:1]
	global_store_short v[28:29], v30, off
	s_or_b64 exec, exec, s[10:11]
	s_and_saveexec_b64 s[8:9], vcc
	s_cbranch_execz .LBB81_3
.LBB81_19:                              ;   in Loop: Header=BB81_4 Depth=1
	s_waitcnt vmcnt(0)
	v_cvt_f32_f16_e32 v44, v27
	v_mov_b32_e32 v45, s30
	v_cndmask_b32_e64 v46, v44, 1.0, s[24:25]
	v_cmp_eq_f32_e32 vcc, 0, v46
	v_cndmask_b32_e64 v47, |v45|, 1.0, vcc
	v_frexp_mant_f32_e32 v27, v47
	v_cmp_gt_f32_e64 s[0:1], s38, v27
	v_cndmask_b32_e64 v28, 1.0, 2.0, s[0:1]
	v_mul_f32_e32 v27, v27, v28
	v_add_f32_e32 v28, 1.0, v27
	v_rcp_f32_e32 v36, v28
	v_add_f32_e32 v29, -1.0, v27
	v_add_f32_e32 v30, -1.0, v28
	v_sub_f32_e32 v27, v27, v30
	v_mul_f32_e32 v37, v29, v36
	v_mul_f32_e32 v30, v28, v37
	v_fma_f32 v32, v37, v28, -v30
	v_fmac_f32_e32 v32, v37, v27
	v_add_f32_e32 v28, v30, v32
	v_sub_f32_e32 v31, v29, v28
	v_pk_add_f32 v[34:35], v[28:29], v[30:31] neg_lo:[0,1] neg_hi:[0,1]
	v_mov_b32_e32 v33, v28
	v_pk_add_f32 v[28:29], v[34:35], v[32:33] neg_lo:[0,1] neg_hi:[0,1]
	v_add_f32_e32 v27, v28, v29
	v_add_f32_e32 v27, v31, v27
	v_mul_f32_e32 v27, v36, v27
	v_add_f32_e32 v28, v37, v27
	v_sub_f32_e32 v29, v28, v37
	v_sub_f32_e32 v27, v27, v29
	v_mul_f32_e32 v29, v28, v28
	v_fma_f32 v31, v28, v28, -v29
	v_add_f32_e32 v30, v27, v27
	v_fmac_f32_e32 v31, v28, v30
	v_add_f32_e32 v30, v29, v31
	v_mov_b32_e32 v32, 0x3e91f4c4
	v_fmac_f32_e32 v32, 0x3e76c4e1, v30
	v_fma_f32 v32, v30, v32, v23
	v_sub_f32_e32 v29, v30, v29
	v_sub_f32_e32 v38, v31, v29
	v_mul_f32_e32 v29, v30, v32
	v_fma_f32 v31, v30, v32, -v29
	v_fmac_f32_e32 v31, v38, v32
	v_add_f32_e32 v32, v29, v31
	v_add_f32_e32 v33, 0x3f2aaaaa, v32
	v_sub_f32_e32 v29, v32, v29
	v_sub_f32_e32 v29, v31, v29
	v_add_f32_e32 v31, 0xbf2aaaaa, v33
	v_add_f32_e32 v29, 0x31739010, v29
	v_sub_f32_e32 v31, v32, v31
	v_pk_mul_f32 v[34:35], v[28:29], v[30:31]
	v_fma_f32 v32, v30, v28, -v34
	v_pk_add_f32 v[36:37], v[28:29], v[30:31]
	v_fmac_f32_e32 v32, v30, v27
	v_mov_b32_e32 v35, v37
	v_fmac_f32_e32 v32, v38, v28
	v_pk_add_f32 v[30:31], v[34:35], v[32:33]
	v_sub_f32_e32 v29, v30, v34
	v_sub_f32_e32 v29, v32, v29
	;; [unrolled: 1-line block ×3, first 2 shown]
	v_add_f32_e32 v36, v37, v32
	v_mov_b32_e32 v32, v31
	v_pk_mul_f32 v[32:33], v[30:31], v[32:33]
	v_cvt_f64_f32_e32 v[34:35], v47
	v_frexp_exp_i32_f64_e32 v33, v[34:35]
	v_subbrev_co_u32_e64 v33, s[0:1], 0, v33, s[0:1]
	v_cvt_f32_i32_e32 v33, v33
	v_fma_f32 v34, v30, v31, -v32
	v_fmac_f32_e32 v34, v30, v36
	v_fmac_f32_e32 v34, v29, v31
	v_mul_f32_e32 v30, 0x3f317218, v33
	v_fma_f32 v36, v33, s39, -v30
	v_fmac_f32_e32 v36, 0xb102e308, v33
	v_ldexp_f32 v37, v28, 1
	v_add_f32_e32 v31, v32, v34
	v_pk_add_f32 v[28:29], v[30:31], v[36:37]
	v_mov_b32_e32 v38, v31
	v_mov_b32_e32 v39, v29
	;; [unrolled: 1-line block ×3, first 2 shown]
	v_pk_add_f32 v[32:33], v[38:39], v[32:33] neg_lo:[0,1] neg_hi:[0,1]
	v_mov_b32_e32 v35, v31
	v_ldexp_f32 v27, v27, 1
	v_pk_add_f32 v[32:33], v[34:35], v[32:33] neg_lo:[0,1] neg_hi:[0,1]
	v_add_f32_e32 v27, v27, v32
	v_add_f32_e32 v31, v27, v33
	v_pk_add_f32 v[32:33], v[28:29], v[30:31] neg_lo:[0,1] neg_hi:[0,1]
	v_pk_add_f32 v[34:35], v[28:29], v[30:31]
	v_mov_b32_e32 v38, v32
	v_mov_b32_e32 v39, v35
	;; [unrolled: 1-line block ×3, first 2 shown]
	v_pk_add_f32 v[38:39], v[36:37], v[38:39]
	v_mov_b32_e32 v30, v39
	v_pk_add_f32 v[40:41], v[30:31], v[28:29] neg_lo:[0,1] neg_hi:[0,1]
	v_mov_b32_e32 v27, v40
	v_mov_b32_e32 v38, v35
	;; [unrolled: 1-line block ×4, first 2 shown]
	v_pk_add_f32 v[32:33], v[36:37], v[32:33] neg_lo:[0,1] neg_hi:[0,1]
	v_pk_add_f32 v[42:43], v[34:35], v[26:27] neg_lo:[0,1] neg_hi:[0,1]
	;; [unrolled: 1-line block ×3, first 2 shown]
	v_mov_b32_e32 v36, v31
	v_pk_add_f32 v[28:29], v[36:37], v[28:29] neg_lo:[0,1] neg_hi:[0,1]
	v_mov_b32_e32 v42, v32
	v_pk_add_f32 v[34:35], v[42:43], v[28:29]
	v_mov_b32_e32 v36, v35
	v_pk_add_f32 v[36:37], v[34:35], v[36:37]
	v_pk_add_f32 v[30:31], v[30:31], v[36:37]
	v_mov_b32_e32 v33, v39
	v_mov_b32_e32 v35, v30
	v_pk_add_f32 v[38:39], v[34:35], v[32:33] neg_lo:[0,1] neg_hi:[0,1]
	v_mov_b32_e32 v29, v36
	v_sub_f32_e32 v27, v34, v38
	v_pk_add_f32 v[28:29], v[28:29], v[38:39] neg_lo:[0,1] neg_hi:[0,1]
	v_sub_f32_e32 v27, v32, v27
	v_add_f32_e32 v27, v28, v27
	v_add_f32_e32 v27, v27, v29
	;; [unrolled: 1-line block ×3, first 2 shown]
	v_sub_f32_e32 v29, v28, v30
	v_sub_f32_e32 v27, v27, v29
	v_mul_f32_e32 v29, v46, v28
	v_fma_f32 v28, v46, v28, -v29
	v_fmac_f32_e32 v28, v46, v27
	v_add_f32_e32 v27, v29, v28
	v_cmp_class_f32_e64 s[0:1], v29, s40
	v_sub_f32_e32 v30, v27, v29
	v_cndmask_b32_e64 v27, v27, v29, s[0:1]
	v_cmp_eq_f32_e64 s[0:1], s41, v27
	v_cndmask_b32_e64 v29, 0, v25, s[0:1]
	v_sub_f32_e32 v28, v28, v30
	v_sub_f32_e32 v30, v27, v29
	v_mul_f32_e32 v31, 0x3fb8aa3b, v30
	v_fma_f32 v32, v30, s42, -v31
	v_rndne_f32_e32 v33, v31
	v_fmac_f32_e32 v32, 0x32a5705f, v30
	v_sub_f32_e32 v31, v31, v33
	v_add_f32_e32 v31, v31, v32
	v_exp_f32_e32 v31, v31
	v_cvt_i32_f32_e32 v32, v33
	v_cmp_neq_f32_e64 s[0:1], |v27|, s36
	v_cndmask_b32_e64 v27, 0, v28, s[0:1]
	v_cmp_ngt_f32_e64 s[0:1], s43, v30
	v_ldexp_f32 v28, v31, v32
	v_cndmask_b32_e64 v28, 0, v28, s[0:1]
	v_cmp_nlt_f32_e64 s[0:1], s41, v30
	v_add_f32_e32 v27, v29, v27
	v_cndmask_b32_e64 v28, v24, v28, s[0:1]
	v_fma_f32 v27, v28, v27, v28
	v_cmp_class_f32_e64 s[0:1], v28, s40
	v_trunc_f32_e32 v29, v46
	v_cndmask_b32_e64 v27, v27, v28, s[0:1]
	v_cndmask_b32_e64 v28, v45, 1.0, vcc
	v_cmp_eq_f32_e32 vcc, v29, v46
	v_mul_f32_e32 v29, 0.5, v46
	v_trunc_f32_e32 v30, v29
	v_cmp_neq_f32_e64 s[0:1], v30, v29
	s_and_b64 s[0:1], vcc, s[0:1]
	v_cndmask_b32_e64 v29, 1.0, v28, s[0:1]
	v_bfi_b32 v27, s37, v27, v29
	v_cndmask_b32_e32 v29, v26, v27, vcc
	v_cmp_gt_f32_e32 vcc, 0, v28
	v_cndmask_b32_e32 v27, v27, v29, vcc
	v_cndmask_b32_e64 v29, |v44|, 1.0, s[24:25]
	v_cmp_neq_f32_e32 vcc, v46, v29
	v_cmp_gt_f32_e64 s[2:3], 1.0, v47
	s_xor_b64 s[2:3], vcc, s[2:3]
	v_cndmask_b32_e64 v30, v29, 0, s[2:3]
	v_cmp_eq_f32_e32 vcc, 1.0, v47
	v_cmp_eq_f32_e64 s[2:3], 0, v28
	v_cmp_gt_f32_e64 s[6:7], 0, v46
	v_cndmask_b32_e32 v30, v30, v47, vcc
	v_cmp_eq_f32_e32 vcc, s36, v29
	s_xor_b64 s[6:7], s[6:7], s[2:3]
	v_cndmask_b32_e32 v27, v27, v30, vcc
	v_cmp_eq_f32_e32 vcc, s36, v47
	v_cndmask_b32_e64 v29, v24, 0, s[6:7]
	v_cndmask_b32_e64 v30, 0, v28, s[0:1]
	v_bfi_b32 v29, s37, v29, v30
	s_or_b64 vcc, vcc, s[2:3]
	v_cndmask_b32_e32 v27, v27, v29, vcc
	v_cmp_o_f32_e32 vcc, v28, v46
	v_cndmask_b32_e32 v27, v26, v27, vcc
	v_cvt_f16_f32_e32 v27, v27
	v_mov_b32_e32 v29, s21
	v_add_co_u32_e32 v28, vcc, s20, v8
	v_addc_co_u32_e32 v29, vcc, v7, v29, vcc
	global_store_short v[28:29], v27, off
	s_branch .LBB81_3
.LBB81_20:
	s_mov_b64 s[6:7], 0
.LBB81_21:
	s_andn2_b64 vcc, exec, s[6:7]
	s_cbranch_vccnz .LBB81_25
; %bb.22:
	v_mov_b32_e32 v3, 0
	v_lshlrev_b32_e32 v2, 2, v0
	s_mov_b32 s0, 0
	v_cmp_gt_i64_e32 vcc, s[48:49], v[2:3]
	s_and_saveexec_b64 s[2:3], vcc
	s_cbranch_execz .LBB81_25
; %bb.23:
	s_load_dword s1, s[4:5], 0xc5c
	v_cmp_eq_f32_e64 s[50:51], s30, 1.0
	v_lshlrev_b32_e32 v4, 3, v0
	s_mov_b64 s[52:53], 0
	v_mov_b32_e32 v5, s30
	s_waitcnt lgkmcnt(0)
	s_and_b32 s1, s1, 0xffff
	s_lshl_b32 s59, s1, 3
	v_add_lshl_u32 v2, v0, s1, 2
	s_lshl_b32 s60, s1, 2
	s_mov_b32 s61, 0x3f2aaaab
	v_mov_b32_e32 v12, 0x3ecccdef
	s_mov_b32 s62, 0x3f317218
	s_movk_i32 s63, 0x204
	s_mov_b32 s64, 0x7f800000
	s_mov_b32 s65, 0x42b17218
	v_mov_b32_e32 v13, 0x37000000
	s_mov_b32 s66, 0x3fb8aa3b
	s_mov_b32 s67, 0xc2ce8ed0
	v_mov_b32_e32 v14, 0x7f800000
	s_brev_b32 s68, -2
	v_mov_b32_e32 v15, 0x7fc00000
	s_mov_b64 s[54:55], 0xffff
	v_mov_b32_e32 v16, s0
.LBB81_24:                              ; =>This Inner Loop Header: Depth=1
	v_mov_b32_e32 v0, s56
	v_add_co_u32_e32 v10, vcc, s33, v4
	v_addc_co_u32_e32 v11, vcc, 0, v0, vcc
	global_load_dwordx2 v[18:19], v[10:11], off
	global_load_dword v0, v[10:11], off offset:2
	global_load_ushort v6, v[10:11], off offset:6
	v_mov_b32_e32 v1, 0x3e91f4c4
	v_mov_b32_e32 v7, 0x3e91f4c4
	;; [unrolled: 1-line block ×3, first 2 shown]
	s_waitcnt vmcnt(2)
	v_cvt_f32_f16_e32 v21, v18
	s_waitcnt vmcnt(1)
	v_cvt_f32_f16_e32 v22, v0
	;; [unrolled: 2-line block ×3, first 2 shown]
	v_cvt_f32_f16_sdwa v23, v0 dst_sel:DWORD dst_unused:UNUSED_PAD src0_sel:WORD_1
	v_cndmask_b32_e64 v17, v21, 1.0, s[50:51]
	v_cmp_eq_f32_e64 s[4:5], 0, v17
	v_cndmask_b32_e64 v27, |v5|, 1.0, s[4:5]
	v_cndmask_b32_e64 v20, v22, 1.0, s[50:51]
	v_cndmask_b32_e64 v18, v28, 1.0, s[50:51]
	v_frexp_mant_f32_e32 v32, v27
	v_cmp_eq_f32_e64 s[2:3], 0, v20
	v_mul_f32_e32 v29, 0.5, v18
	v_cmp_gt_f32_e64 s[18:19], s61, v32
	v_cndmask_b32_e64 v25, |v5|, 1.0, s[2:3]
	v_trunc_f32_e32 v39, v29
	v_cndmask_b32_e64 v40, 1.0, 2.0, s[18:19]
	v_cmp_eq_f32_e32 vcc, 0, v18
	v_cvt_f64_f32_e32 v[10:11], v27
	v_cvt_f64_f32_e32 v[30:31], v25
	v_cmp_neq_f32_e64 s[6:7], v39, v29
	v_mul_f32_e32 v29, v32, v40
	v_cndmask_b32_e64 v19, v23, 1.0, s[50:51]
	v_mul_f32_e32 v0, 0.5, v17
	v_cndmask_b32_e64 v24, |v5|, 1.0, vcc
	v_frexp_mant_f32_e32 v34, v25
	v_frexp_exp_i32_f64_e32 v10, v[10:11]
	v_frexp_exp_i32_f64_e32 v11, v[30:31]
	v_add_f32_e32 v30, 1.0, v29
	v_mul_f32_e32 v8, 0.5, v19
	v_trunc_f32_e32 v33, v0
	v_frexp_mant_f32_e32 v38, v24
	v_cmp_gt_f32_e64 s[20:21], s61, v34
	v_rcp_f32_e32 v48, v30
	v_cmp_eq_f32_e64 s[0:1], 0, v19
	v_trunc_f32_e32 v37, v8
	v_cmp_neq_f32_e64 s[12:13], v33, v0
	v_cndmask_b32_e64 v0, 1.0, 2.0, s[20:21]
	v_cmp_gt_f32_e64 s[16:17], s61, v38
	v_cndmask_b32_e64 v26, |v5|, 1.0, s[0:1]
	v_cmp_neq_f32_e64 s[8:9], v37, v8
	v_cndmask_b32_e64 v8, 1.0, 2.0, s[16:17]
	v_mul_f32_e32 v0, v34, v0
	v_mul_f32_e32 v6, 0.5, v20
	v_frexp_mant_f32_e32 v36, v26
	v_mul_f32_e32 v8, v38, v8
	v_add_f32_e32 v31, -1.0, v29
	v_add_f32_e32 v34, 1.0, v0
	v_trunc_f32_e32 v35, v6
	v_cmp_gt_f32_e64 s[14:15], s61, v36
	v_subbrev_co_u32_e64 v10, s[18:19], 0, v10, s[18:19]
	v_add_f32_e32 v46, 1.0, v8
	v_add_f32_e32 v38, -1.0, v34
	v_mul_f32_e32 v52, v31, v48
	v_cmp_neq_f32_e64 s[10:11], v35, v6
	v_cndmask_b32_e64 v6, 1.0, 2.0, s[14:15]
	v_cvt_f32_i32_e32 v32, v10
	v_add_f32_e32 v10, -1.0, v30
	v_add_f32_e32 v40, -1.0, v46
	v_sub_f32_e32 v43, v0, v38
	v_mul_f32_e32 v38, v30, v52
	v_mul_f32_e32 v6, v36, v6
	v_rcp_f32_e32 v49, v34
	v_sub_f32_e32 v29, v29, v10
	v_sub_f32_e32 v47, v8, v40
	v_fma_f32 v40, v52, v30, -v38
	v_add_f32_e32 v36, 1.0, v6
	v_fmac_f32_e32 v40, v52, v29
	v_add_f32_e32 v39, -1.0, v36
	v_add_f32_e32 v30, v38, v40
	v_add_f32_e32 v33, -1.0, v0
	v_sub_f32_e32 v45, v6, v39
	v_sub_f32_e32 v39, v31, v30
	v_mul_f32_e32 v53, v33, v49
	v_mov_b32_e32 v41, v30
	v_pk_add_f32 v[30:31], v[30:31], v[38:39] neg_lo:[0,1] neg_hi:[0,1]
	v_pk_add_f32 v[30:31], v[30:31], v[40:41] neg_lo:[0,1] neg_hi:[0,1]
	v_mul_f32_e32 v40, v34, v53
	v_add_f32_e32 v35, -1.0, v6
	v_rcp_f32_e32 v50, v36
	v_mul_f32_e32 v6, 0x3f317218, v32
	v_fma_f32 v42, v53, v34, -v40
	v_fma_f32 v10, v32, s62, -v6
	v_fmac_f32_e32 v42, v53, v43
	v_fmac_f32_e32 v10, 0xb102e308, v32
	v_add_f32_e32 v32, v40, v42
	v_sub_f32_e32 v41, v33, v32
	v_mul_f32_e32 v54, v35, v50
	v_mov_b32_e32 v43, v32
	v_pk_add_f32 v[32:33], v[32:33], v[40:41] neg_lo:[0,1] neg_hi:[0,1]
	v_pk_add_f32 v[32:33], v[32:33], v[42:43] neg_lo:[0,1] neg_hi:[0,1]
	v_mul_f32_e32 v42, v36, v54
	v_rcp_f32_e32 v51, v46
	v_fma_f32 v44, v54, v36, -v42
	v_fmac_f32_e32 v44, v54, v45
	v_add_f32_e32 v34, v42, v44
	v_subbrev_co_u32_e64 v11, s[18:19], 0, v11, s[20:21]
	v_add_f32_e32 v37, -1.0, v8
	v_sub_f32_e32 v43, v35, v34
	v_cvt_f32_i32_e32 v11, v11
	v_mul_f32_e32 v29, v37, v51
	v_mov_b32_e32 v45, v34
	v_pk_add_f32 v[34:35], v[34:35], v[42:43] neg_lo:[0,1] neg_hi:[0,1]
	v_pk_add_f32 v[34:35], v[34:35], v[44:45] neg_lo:[0,1] neg_hi:[0,1]
	v_mul_f32_e32 v44, v46, v29
	v_fma_f32 v46, v29, v46, -v44
	v_fmac_f32_e32 v46, v29, v47
	v_mul_f32_e32 v0, 0x3f317218, v11
	v_add_f32_e32 v36, v44, v46
	v_fma_f32 v8, v11, s62, -v0
	v_sub_f32_e32 v45, v37, v36
	v_fmac_f32_e32 v8, 0xb102e308, v11
	v_mov_b32_e32 v47, v36
	v_pk_add_f32 v[36:37], v[36:37], v[44:45] neg_lo:[0,1] neg_hi:[0,1]
	v_add_f32_e32 v11, v30, v31
	v_pk_add_f32 v[36:37], v[36:37], v[46:47] neg_lo:[0,1] neg_hi:[0,1]
	v_add_f32_e32 v30, v32, v33
	v_add_f32_e32 v31, v34, v35
	v_add_f32_e32 v11, v39, v11
	v_add_f32_e32 v32, v36, v37
	v_add_f32_e32 v30, v41, v30
	v_add_f32_e32 v31, v43, v31
	v_mul_f32_e32 v11, v48, v11
	v_add_f32_e32 v32, v45, v32
	v_mul_f32_e32 v33, v49, v30
	v_mul_f32_e32 v31, v50, v31
	v_add_f32_e32 v30, v52, v11
	v_mul_f32_e32 v35, v51, v32
	v_add_f32_e32 v32, v53, v33
	v_add_f32_e32 v34, v54, v31
	v_sub_f32_e32 v37, v30, v52
	v_add_f32_e32 v36, v29, v35
	v_mul_f32_e32 v39, v30, v30
	v_sub_f32_e32 v38, v32, v53
	v_sub_f32_e32 v40, v34, v54
	v_sub_f32_e32 v56, v11, v37
	v_mul_f32_e32 v41, v32, v32
	v_mul_f32_e32 v43, v34, v34
	v_sub_f32_e32 v29, v36, v29
	v_fma_f32 v11, v30, v30, -v39
	v_sub_f32_e32 v57, v33, v38
	v_sub_f32_e32 v58, v31, v40
	v_add_f32_e32 v37, v56, v56
	v_mul_f32_e32 v45, v36, v36
	v_fma_f32 v33, v32, v32, -v41
	v_fma_f32 v31, v34, v34, -v43
	v_sub_f32_e32 v29, v35, v29
	v_add_f32_e32 v38, v57, v57
	v_add_f32_e32 v40, v58, v58
	v_fmac_f32_e32 v11, v30, v37
	v_fma_f32 v35, v36, v36, -v45
	v_add_f32_e32 v42, v29, v29
	v_fmac_f32_e32 v33, v32, v38
	v_fmac_f32_e32 v31, v34, v40
	v_add_f32_e32 v38, v39, v11
	v_fmac_f32_e32 v35, v36, v42
	v_add_f32_e32 v42, v43, v31
	;; [unrolled: 2-line block ×3, first 2 shown]
	v_sub_f32_e32 v37, v38, v39
	v_sub_f32_e32 v39, v42, v43
	v_fma_f32 v1, v38, v1, v12
	v_sub_f32_e32 v11, v11, v37
	v_sub_f32_e32 v37, v40, v41
	v_sub_f32_e32 v54, v31, v39
	v_mul_f32_e32 v31, v38, v1
	v_sub_f32_e32 v50, v33, v37
	v_fma_f32 v33, v38, v1, -v31
	v_fmac_f32_e32 v33, v11, v1
	v_add_f32_e32 v1, v31, v33
	v_sub_f32_e32 v31, v1, v31
	v_add_f32_e32 v47, 0x3f2aaaaa, v1
	v_sub_f32_e32 v31, v33, v31
	v_add_f32_e32 v33, 0xbf2aaaaa, v47
	v_add_f32_e32 v31, 0x31739010, v31
	v_sub_f32_e32 v39, v1, v33
	v_pk_mul_f32 v[48:49], v[30:31], v[38:39]
	v_fma_f32 v46, v38, v30, -v48
	v_fmac_f32_e32 v46, v38, v56
	v_fmac_f32_e32 v46, v11, v30
	v_ldexp_f32 v11, v30, 1
	v_pk_add_f32 v[30:31], v[30:31], v[38:39]
	v_mov_b32_e32 v49, v31
	v_add_f32_e32 v44, v45, v35
	v_pk_add_f32 v[38:39], v[48:49], v[46:47]
	v_sub_f32_e32 v41, v44, v45
	v_sub_f32_e32 v30, v38, v48
	;; [unrolled: 1-line block ×3, first 2 shown]
	v_fmac_f32_e32 v7, 0x3e76c4e1, v40
	v_sub_f32_e32 v33, v47, v39
	v_sub_f32_e32 v35, v46, v30
	v_mov_b32_e32 v30, v39
	v_mov_b32_e32 v1, 0x3e91f4c4
	v_fmac_f32_e32 v9, 0x3e76c4e1, v42
	v_fma_f32 v7, v40, v7, v12
	v_add_f32_e32 v33, v31, v33
	v_pk_mul_f32 v[30:31], v[38:39], v[30:31]
	v_fmac_f32_e32 v1, 0x3e76c4e1, v44
	v_fma_f32 v9, v42, v9, v12
	v_fma_f32 v46, v38, v39, -v30
	v_mul_f32_e32 v31, v40, v7
	v_fma_f32 v1, v44, v1, v12
	v_fmac_f32_e32 v46, v38, v33
	v_mul_f32_e32 v33, v42, v9
	v_fma_f32 v37, v40, v7, -v31
	v_fmac_f32_e32 v46, v35, v39
	v_mul_f32_e32 v35, v44, v1
	v_fmac_f32_e32 v37, v50, v7
	v_fma_f32 v7, v42, v9, -v33
	v_fmac_f32_e32 v7, v54, v9
	v_fma_f32 v9, v44, v1, -v35
	v_fmac_f32_e32 v9, v55, v1
	v_add_f32_e32 v1, v31, v37
	v_add_f32_e32 v39, 0x3f2aaaaa, v1
	v_add_f32_e32 v38, 0xbf2aaaaa, v39
	v_sub_f32_e32 v41, v1, v38
	v_sub_f32_e32 v1, v1, v31
	v_add_f32_e32 v31, v33, v7
	v_add_f32_e32 v49, 0x3f2aaaaa, v31
	v_add_f32_e32 v38, 0xbf2aaaaa, v49
	v_sub_f32_e32 v43, v31, v38
	v_sub_f32_e32 v31, v31, v33
	;; [unrolled: 5-line block ×3, first 2 shown]
	v_sub_f32_e32 v1, v37, v1
	v_sub_f32_e32 v9, v9, v33
	v_add_f32_e32 v33, 0x31739010, v1
	v_pk_mul_f32 v[52:53], v[32:33], v[40:41]
	v_fma_f32 v38, v40, v32, -v52
	v_fmac_f32_e32 v38, v40, v57
	v_add_f32_e32 v37, 0x31739010, v9
	v_fmac_f32_e32 v38, v50, v32
	v_ldexp_f32 v9, v32, 1
	v_pk_add_f32 v[32:33], v[32:33], v[40:41]
	v_mov_b32_e32 v53, v33
	v_sub_f32_e32 v7, v7, v31
	v_pk_add_f32 v[40:41], v[52:53], v[38:39]
	v_add_f32_e32 v35, 0x31739010, v7
	v_sub_f32_e32 v7, v39, v41
	v_mov_b32_e32 v32, v41
	v_sub_f32_e32 v1, v40, v52
	v_add_f32_e32 v7, v33, v7
	v_pk_mul_f32 v[32:33], v[40:41], v[32:33]
	v_sub_f32_e32 v1, v38, v1
	v_fma_f32 v38, v40, v41, -v32
	v_fmac_f32_e32 v38, v40, v7
	v_fmac_f32_e32 v38, v1, v41
	v_pk_mul_f32 v[40:41], v[34:35], v[42:43]
	v_fma_f32 v48, v42, v34, -v40
	v_pk_add_f32 v[52:53], v[34:35], v[42:43]
	v_fmac_f32_e32 v48, v42, v58
	v_pk_mul_f32 v[42:43], v[36:37], v[44:45]
	v_fma_f32 v50, v44, v36, -v42
	v_fmac_f32_e32 v50, v44, v29
	v_pk_add_f32 v[44:45], v[36:37], v[44:45]
	v_mov_b32_e32 v41, v53
	v_fmac_f32_e32 v48, v54, v34
	v_mov_b32_e32 v43, v45
	v_fmac_f32_e32 v50, v55, v36
	v_pk_add_f32 v[54:55], v[40:41], v[48:49]
	v_sub_f32_e32 v1, v54, v40
	v_pk_add_f32 v[40:41], v[42:43], v[50:51]
	v_mov_b32_e32 v44, v55
	v_sub_f32_e32 v31, v40, v42
	v_mov_b32_e32 v42, v41
	v_sub_f32_e32 v7, v49, v55
	v_sub_f32_e32 v1, v48, v1
	v_sub_f32_e32 v33, v51, v41
	v_pk_mul_f32 v[48:49], v[54:55], v[44:45]
	v_pk_mul_f32 v[42:43], v[40:41], v[42:43]
	v_add_f32_e32 v7, v53, v7
	v_sub_f32_e32 v35, v50, v31
	v_add_f32_e32 v31, v45, v33
	v_fma_f32 v44, v54, v55, -v48
	v_fma_f32 v50, v40, v41, -v42
	v_fmac_f32_e32 v44, v54, v7
	v_fmac_f32_e32 v50, v40, v31
	v_add_f32_e32 v7, v30, v46
	v_fmac_f32_e32 v44, v1, v55
	v_fmac_f32_e32 v50, v35, v41
	v_add_f32_e32 v1, v32, v38
	v_pk_add_f32 v[40:41], v[6:7], v[10:11]
	v_mov_b32_e32 v31, v11
	v_mov_b32_e32 v52, v7
	v_pk_add_f32 v[54:55], v[0:1], v[8:9]
	v_mov_b32_e32 v53, v41
	v_mov_b32_e32 v33, v9
	v_pk_add_f32 v[30:31], v[52:53], v[30:31] neg_lo:[0,1] neg_hi:[0,1]
	v_mov_b32_e32 v52, v1
	v_mov_b32_e32 v53, v55
	v_pk_add_f32 v[32:33], v[52:53], v[32:33] neg_lo:[0,1] neg_hi:[0,1]
	v_cvt_f64_f32_e32 v[52:53], v26
	v_frexp_exp_i32_f64_e32 v9, v[52:53]
	v_cvt_f64_f32_e32 v[52:53], v24
	v_frexp_exp_i32_f64_e32 v11, v[52:53]
	v_subbrev_co_u32_e64 v9, s[14:15], 0, v9, s[14:15]
	v_subbrev_co_u32_e64 v11, s[14:15], 0, v11, s[16:17]
	v_cvt_f32_i32_e32 v9, v9
	v_cvt_f32_i32_e32 v11, v11
	v_mov_b32_e32 v47, v7
	v_pk_add_f32 v[30:31], v[46:47], v[30:31] neg_lo:[0,1] neg_hi:[0,1]
	v_mul_f32_e32 v46, 0x3f317218, v9
	v_ldexp_f32 v35, v34, 1
	v_fma_f32 v34, v9, s62, -v46
	v_mul_f32_e32 v52, 0x3f317218, v11
	v_ldexp_f32 v7, v56, 1
	v_mov_b32_e32 v39, v1
	v_fmac_f32_e32 v34, 0xb102e308, v9
	v_ldexp_f32 v37, v36, 1
	v_fma_f32 v36, v11, s62, -v52
	v_ldexp_f32 v9, v57, 1
	v_pk_add_f32 v[32:33], v[38:39], v[32:33] neg_lo:[0,1] neg_hi:[0,1]
	v_add_f32_e32 v1, v7, v30
	v_fmac_f32_e32 v36, 0xb102e308, v11
	v_add_f32_e32 v47, v48, v44
	v_add_f32_e32 v53, v42, v50
	v_add_f32_e32 v7, v1, v31
	v_add_f32_e32 v1, v9, v32
	v_pk_add_f32 v[38:39], v[46:47], v[34:35]
	v_add_f32_e32 v1, v1, v33
	v_pk_add_f32 v[32:33], v[52:53], v[36:37]
	v_mov_b32_e32 v49, v35
	v_mov_b32_e32 v43, v37
	;; [unrolled: 1-line block ×8, first 2 shown]
	v_pk_add_f32 v[30:31], v[30:31], v[48:49] neg_lo:[0,1] neg_hi:[0,1]
	v_pk_add_f32 v[42:43], v[56:57], v[42:43] neg_lo:[0,1] neg_hi:[0,1]
	v_ldexp_f32 v58, v58, 1
	v_ldexp_f32 v29, v29, 1
	v_pk_add_f32 v[30:31], v[44:45], v[30:31] neg_lo:[0,1] neg_hi:[0,1]
	v_pk_add_f32 v[42:43], v[50:51], v[42:43] neg_lo:[0,1] neg_hi:[0,1]
	v_add_f32_e32 v30, v58, v30
	v_add_f32_e32 v29, v29, v42
	v_mov_b32_e32 v11, v40
	v_mov_b32_e32 v9, v54
	v_add_f32_e32 v47, v30, v31
	v_add_f32_e32 v53, v29, v43
	v_pk_add_f32 v[30:31], v[40:41], v[6:7] neg_lo:[0,1] neg_hi:[0,1]
	v_pk_add_f32 v[42:43], v[40:41], v[6:7]
	v_pk_add_f32 v[44:45], v[54:55], v[0:1] neg_lo:[0,1] neg_hi:[0,1]
	v_pk_add_f32 v[48:49], v[54:55], v[0:1]
	v_pk_add_f32 v[50:51], v[10:11], v[30:31] neg_lo:[0,1] neg_hi:[0,1]
	v_mov_b32_e32 v31, v43
	v_pk_add_f32 v[56:57], v[8:9], v[44:45] neg_lo:[0,1] neg_hi:[0,1]
	v_mov_b32_e32 v45, v49
	v_mov_b32_e32 v35, v38
	v_pk_add_f32 v[30:31], v[10:11], v[30:31]
	v_mov_b32_e32 v10, v7
	v_pk_add_f32 v[6:7], v[38:39], v[46:47] neg_lo:[0,1] neg_hi:[0,1]
	v_pk_add_f32 v[44:45], v[8:9], v[44:45]
	v_mov_b32_e32 v8, v1
	v_pk_add_f32 v[0:1], v[38:39], v[46:47]
	v_pk_add_f32 v[58:59], v[34:35], v[6:7] neg_lo:[0,1] neg_hi:[0,1]
	v_mov_b32_e32 v7, v1
	v_pk_add_f32 v[6:7], v[34:35], v[6:7]
	v_mov_b32_e32 v34, v47
	v_pk_add_f32 v[46:47], v[32:33], v[52:53] neg_lo:[0,1] neg_hi:[0,1]
	v_pk_add_f32 v[60:61], v[32:33], v[52:53]
	v_mov_b32_e32 v64, v31
	v_pk_add_f32 v[36:37], v[36:37], v[46:47] neg_lo:[0,1] neg_hi:[0,1]
	v_mov_b32_e32 v47, v61
	v_mov_b32_e32 v63, v32
	;; [unrolled: 1-line block ×3, first 2 shown]
	v_pk_add_f32 v[40:41], v[64:65], v[40:41] neg_lo:[0,1] neg_hi:[0,1]
	v_pk_add_f32 v[46:47], v[62:63], v[46:47]
	v_mov_b32_e32 v62, v53
	v_mov_b32_e32 v30, v43
	;; [unrolled: 1-line block ×5, first 2 shown]
	v_pk_add_f32 v[30:31], v[30:31], v[52:53] neg_lo:[0,1] neg_hi:[0,1]
	v_mov_b32_e32 v52, v45
	v_pk_add_f32 v[40:41], v[42:43], v[28:29] neg_lo:[0,1] neg_hi:[0,1]
	v_mov_b32_e32 v42, v55
	;; [unrolled: 2-line block ×3, first 2 shown]
	v_mov_b32_e32 v43, v54
	v_mov_b32_e32 v29, v54
	;; [unrolled: 1-line block ×3, first 2 shown]
	v_pk_add_f32 v[42:43], v[44:45], v[42:43] neg_lo:[0,1] neg_hi:[0,1]
	v_mov_b32_e32 v44, v39
	v_pk_add_f32 v[38:39], v[54:55], v[38:39] neg_lo:[0,1] neg_hi:[0,1]
	v_mov_b32_e32 v57, v45
	v_mov_b32_e32 v6, v1
	;; [unrolled: 1-line block ×3, first 2 shown]
	v_pk_add_f32 v[48:49], v[48:49], v[28:29] neg_lo:[0,1] neg_hi:[0,1]
	v_mov_b32_e32 v29, v38
	v_mov_b32_e32 v59, v7
	v_pk_add_f32 v[6:7], v[6:7], v[44:45] neg_lo:[0,1] neg_hi:[0,1]
	v_mov_b32_e32 v44, v47
	v_pk_add_f32 v[38:39], v[0:1], v[28:29] neg_lo:[0,1] neg_hi:[0,1]
	;; [unrolled: 2-line block ×4, first 2 shown]
	v_mov_b32_e32 v40, v50
	v_mov_b32_e32 v1, v32
	v_pk_add_f32 v[32:33], v[60:61], v[28:29] neg_lo:[0,1] neg_hi:[0,1]
	v_cndmask_b32_e64 v60, |v28|, 1.0, s[50:51]
	v_pk_add_f32 v[6:7], v[34:35], v[6:7] neg_lo:[0,1] neg_hi:[0,1]
	v_mov_b32_e32 v38, v58
	v_pk_add_f32 v[28:29], v[40:41], v[10:11]
	v_mov_b32_e32 v46, v61
	v_pk_add_f32 v[8:9], v[8:9], v[42:43] neg_lo:[0,1] neg_hi:[0,1]
	v_mov_b32_e32 v48, v56
	v_pk_add_f32 v[34:35], v[38:39], v[6:7]
	v_mov_b32_e32 v38, v29
	v_mov_b32_e32 v37, v47
	v_pk_add_f32 v[46:47], v[46:47], v[0:1] neg_lo:[0,1] neg_hi:[0,1]
	v_mov_b32_e32 v1, s58
	v_add_co_u32_e64 v0, s[14:15], s57, v4
	v_cndmask_b32_e64 v65, v5, 1.0, s[2:3]
	v_pk_add_f32 v[30:31], v[48:49], v[8:9]
	v_pk_add_f32 v[38:39], v[28:29], v[38:39]
	v_addc_co_u32_e64 v1, s[14:15], 0, v1, s[14:15]
	v_cndmask_b32_e64 v53, |v22|, 1.0, s[50:51]
	v_cndmask_b32_e64 v55, |v23|, 1.0, s[50:51]
	v_trunc_f32_e32 v22, v17
	v_trunc_f32_e32 v23, v20
	v_pk_add_f32 v[40:41], v[64:65], v[38:39]
	v_mov_b32_e32 v11, v38
	v_mov_b32_e32 v38, v31
	v_cmp_eq_f32_e64 s[14:15], v22, v17
	v_trunc_f32_e32 v22, v19
	v_cmp_eq_f32_e64 s[16:17], v23, v20
	v_trunc_f32_e32 v23, v18
	v_pk_add_f32 v[38:39], v[30:31], v[38:39]
	v_cmp_eq_f32_e64 s[18:19], v22, v19
	v_cmp_eq_f32_e64 s[20:21], v23, v18
	v_pk_add_f32 v[22:23], v[62:63], v[46:47] neg_lo:[0,1] neg_hi:[0,1]
	v_mov_b32_e32 v32, v36
	v_pk_add_f32 v[42:43], v[52:53], v[38:39]
	v_mov_b32_e32 v9, v38
	v_mov_b32_e32 v38, v35
	v_pk_add_f32 v[32:33], v[32:33], v[22:23]
	v_pk_add_f32 v[38:39], v[34:35], v[38:39]
	;; [unrolled: 1-line block ×3, first 2 shown]
	v_mov_b32_e32 v7, v38
	v_mov_b32_e32 v38, v33
	v_pk_add_f32 v[38:39], v[32:33], v[38:39]
	v_mov_b32_e32 v29, v40
	v_pk_add_f32 v[44:45], v[44:45], v[38:39]
	v_mov_b32_e32 v23, v38
	v_pk_add_f32 v[38:39], v[28:29], v[50:51] neg_lo:[0,1] neg_hi:[0,1]
	v_mov_b32_e32 v31, v42
	v_sub_f32_e32 v41, v28, v38
	v_pk_add_f32 v[28:29], v[30:31], v[56:57] neg_lo:[0,1] neg_hi:[0,1]
	v_mov_b32_e32 v35, v46
	v_sub_f32_e32 v30, v30, v28
	v_pk_add_f32 v[8:9], v[8:9], v[28:29] neg_lo:[0,1] neg_hi:[0,1]
	v_pk_add_f32 v[28:29], v[34:35], v[58:59] neg_lo:[0,1] neg_hi:[0,1]
	v_mov_b32_e32 v33, v44
	v_cndmask_b32_e64 v21, |v21|, 1.0, s[50:51]
	v_sub_f32_e32 v34, v34, v28
	v_pk_add_f32 v[6:7], v[6:7], v[28:29] neg_lo:[0,1] neg_hi:[0,1]
	v_pk_add_f32 v[28:29], v[32:33], v[36:37] neg_lo:[0,1] neg_hi:[0,1]
	v_cmp_neq_f32_e64 s[22:23], v17, v21
	v_cmp_gt_f32_e64 s[40:41], 1.0, v27
	v_sub_f32_e32 v32, v32, v28
	v_cmp_neq_f32_e64 s[24:25], v20, v53
	v_cmp_neq_f32_e64 s[28:29], v18, v60
	v_cndmask_b32_e64 v61, v5, 1.0, s[4:5]
	v_cmp_gt_f32_e64 s[42:43], 1.0, v25
	v_pk_add_f32 v[10:11], v[10:11], v[38:39] neg_lo:[0,1] neg_hi:[0,1]
	v_cmp_gt_f32_e64 s[46:47], 1.0, v24
	s_xor_b64 s[22:23], s[22:23], s[40:41]
	v_pk_add_f32 v[22:23], v[22:23], v[28:29] neg_lo:[0,1] neg_hi:[0,1]
	v_sub_f32_e32 v37, v50, v41
	v_sub_f32_e32 v30, v56, v30
	v_sub_f32_e32 v34, v58, v34
	v_sub_f32_e32 v32, v36, v32
	v_cmp_gt_f32_e64 s[30:31], 0, v17
	v_cmp_neq_f32_e64 s[26:27], v19, v55
	v_cmp_gt_f32_e64 s[44:45], 1.0, v26
	v_cndmask_b32_e64 v35, v21, 0, s[22:23]
	v_cmp_eq_f32_e64 s[22:23], 0, v61
	s_xor_b64 s[24:25], s[24:25], s[42:43]
	s_xor_b64 s[28:29], s[28:29], s[46:47]
	v_add_f32_e32 v10, v10, v37
	v_add_f32_e32 v8, v8, v30
	;; [unrolled: 1-line block ×4, first 2 shown]
	v_cmp_gt_f32_e64 s[34:35], 0, v20
	v_cndmask_b32_e64 v33, v53, 0, s[24:25]
	v_cmp_eq_f32_e64 s[24:25], 0, v65
	s_xor_b64 s[26:27], s[26:27], s[44:45]
	v_cndmask_b32_e64 v29, v60, 0, s[28:29]
	v_cmp_eq_f32_e64 s[44:45], 1.0, v24
	s_and_b64 s[12:13], s[14:15], s[12:13]
	s_xor_b64 s[30:31], s[30:31], s[22:23]
	v_add_f32_e32 v10, v10, v11
	v_add_f32_e32 v8, v8, v9
	;; [unrolled: 1-line block ×4, first 2 shown]
	v_cndmask_b32_e64 v43, v5, 1.0, s[0:1]
	v_cndmask_b32_e64 v31, v5, 1.0, vcc
	v_cmp_eq_f32_e32 vcc, s64, v24
	v_cmp_eq_f32_e64 s[40:41], 1.0, v25
	v_cndmask_b32_e64 v38, v14, 0, s[30:31]
	s_and_b64 s[10:11], s[16:17], s[10:11]
	s_xor_b64 s[30:31], s[34:35], s[24:25]
	v_cndmask_b32_e64 v24, v29, v24, s[44:45]
	v_cndmask_b32_e64 v29, 0, v61, s[12:13]
	v_add_f32_e32 v9, v40, v10
	v_add_f32_e32 v11, v42, v8
	;; [unrolled: 1-line block ×4, first 2 shown]
	v_cmp_gt_f32_e64 s[36:37], 0, v19
	v_cmp_eq_f32_e64 s[2:3], s64, v25
	v_cndmask_b32_e64 v28, v55, 0, s[26:27]
	v_cmp_eq_f32_e64 s[42:43], 1.0, v26
	v_cmp_eq_f32_e64 s[26:27], 0, v43
	v_cndmask_b32_e64 v25, v33, v25, s[40:41]
	v_cndmask_b32_e64 v33, v14, 0, s[30:31]
	s_and_b64 s[8:9], s[18:19], s[8:9]
	s_and_b64 s[6:7], s[20:21], s[6:7]
	v_bfi_b32 v29, s68, v38, v29
	v_cndmask_b32_e64 v38, 0, v65, s[10:11]
	v_sub_f32_e32 v30, v9, v40
	v_mul_f32_e32 v32, v17, v9
	v_sub_f32_e32 v34, v11, v42
	v_mul_f32_e32 v36, v20, v11
	;; [unrolled: 2-line block ×4, first 2 shown]
	v_cmp_gt_f32_e64 s[38:39], 0, v18
	v_cmp_eq_f32_e64 s[0:1], s64, v26
	v_cmp_eq_f32_e64 s[28:29], 0, v31
	v_cndmask_b32_e64 v39, 1.0, v65, s[10:11]
	v_cndmask_b32_e64 v26, v28, v26, s[42:43]
	v_cndmask_b32_e64 v28, 1.0, v43, s[8:9]
	s_xor_b64 s[30:31], s[36:37], s[26:27]
	v_cndmask_b32_e64 v45, 1.0, v31, s[6:7]
	v_bfi_b32 v33, s68, v33, v38
	v_cndmask_b32_e64 v38, 0, v43, s[8:9]
	v_cndmask_b32_e64 v47, 0, v31, s[6:7]
	v_cmp_le_i64_e64 s[6:7], s[48:49], v[2:3]
	v_cmp_lt_u64_e64 s[8:9], s[54:55], v[2:3]
	v_add_co_u32_e64 v2, s[10:11], s60, v2
	v_sub_f32_e32 v10, v10, v30
	v_fma_f32 v9, v17, v9, -v32
	v_sub_f32_e32 v8, v8, v34
	v_fma_f32 v11, v20, v11, -v36
	;; [unrolled: 2-line block ×4, first 2 shown]
	v_cmp_eq_f32_e64 s[46:47], 1.0, v27
	v_cndmask_b32_e64 v41, v14, 0, s[30:31]
	s_xor_b64 s[30:31], s[38:39], s[28:29]
	v_addc_co_u32_e64 v3, s[10:11], v3, v16, s[10:11]
	v_fmac_f32_e32 v9, v17, v10
	v_fmac_f32_e32 v11, v20, v8
	;; [unrolled: 1-line block ×4, first 2 shown]
	v_cmp_eq_f32_e64 s[4:5], s64, v27
	v_cndmask_b32_e64 v27, v35, v27, s[46:47]
	v_cndmask_b32_e64 v35, 1.0, v61, s[12:13]
	v_bfi_b32 v38, s68, v41, v38
	v_cndmask_b32_e64 v41, v14, 0, s[30:31]
	s_or_b64 s[30:31], s[6:7], s[8:9]
	v_add_f32_e32 v6, v32, v9
	v_add_f32_e32 v7, v36, v11
	v_cmp_class_f32_e64 s[6:7], v36, s63
	v_add_f32_e32 v8, v40, v22
	v_cmp_class_f32_e64 s[8:9], v40, s63
	;; [unrolled: 2-line block ×3, first 2 shown]
	v_cmp_class_f32_e64 s[12:13], v32, s63
	v_sub_f32_e32 v30, v6, v32
	v_cndmask_b32_e64 v6, v6, v32, s[12:13]
	v_sub_f32_e32 v32, v7, v36
	v_cndmask_b32_e64 v7, v7, v36, s[6:7]
	;; [unrolled: 2-line block ×4, first 2 shown]
	v_cmp_eq_f32_e64 s[6:7], s65, v6
	v_cmp_eq_f32_e64 s[8:9], s65, v7
	;; [unrolled: 1-line block ×4, first 2 shown]
	v_sub_f32_e32 v9, v9, v30
	v_cndmask_b32_e64 v30, 0, v13, s[6:7]
	v_sub_f32_e32 v11, v11, v32
	v_cmp_neq_f32_e64 s[6:7], |v7|, s64
	v_cndmask_b32_e64 v32, 0, v13, s[8:9]
	v_sub_f32_e32 v22, v22, v34
	v_cmp_neq_f32_e64 s[8:9], |v8|, s64
	v_cndmask_b32_e64 v34, 0, v13, s[10:11]
	v_sub_f32_e32 v23, v23, v36
	v_cmp_neq_f32_e64 s[10:11], |v10|, s64
	v_cndmask_b32_e64 v36, 0, v13, s[12:13]
	v_cmp_neq_f32_e64 s[12:13], |v6|, s64
	v_cndmask_b32_e64 v9, 0, v9, s[12:13]
	v_sub_f32_e32 v6, v6, v30
	v_cndmask_b32_e64 v11, 0, v11, s[6:7]
	v_sub_f32_e32 v7, v7, v32
	;; [unrolled: 2-line block ×4, first 2 shown]
	v_add_f32_e32 v9, v30, v9
	v_mul_f32_e32 v30, 0x3fb8aa3b, v6
	v_add_f32_e32 v11, v32, v11
	v_mul_f32_e32 v32, 0x3fb8aa3b, v7
	;; [unrolled: 2-line block ×4, first 2 shown]
	v_bfi_b32 v41, s68, v41, v47
	v_fma_f32 v37, v6, s66, -v30
	v_rndne_f32_e32 v40, v30
	v_fma_f32 v42, v7, s66, -v32
	v_rndne_f32_e32 v44, v32
	;; [unrolled: 2-line block ×4, first 2 shown]
	v_fmac_f32_e32 v37, 0x32a5705f, v6
	v_sub_f32_e32 v30, v30, v40
	v_fmac_f32_e32 v42, 0x32a5705f, v7
	v_sub_f32_e32 v32, v32, v44
	;; [unrolled: 2-line block ×4, first 2 shown]
	v_add_f32_e32 v30, v30, v37
	v_add_f32_e32 v32, v32, v42
	;; [unrolled: 1-line block ×4, first 2 shown]
	v_cvt_i32_f32_e32 v40, v40
	v_cvt_i32_f32_e32 v44, v44
	;; [unrolled: 1-line block ×4, first 2 shown]
	v_exp_f32_e32 v30, v30
	v_exp_f32_e32 v32, v32
	v_exp_f32_e32 v34, v34
	v_exp_f32_e32 v36, v36
	v_ldexp_f32 v30, v30, v40
	v_ldexp_f32 v32, v32, v44
	v_cmp_ngt_f32_e64 s[6:7], s67, v7
	v_ldexp_f32 v34, v34, v47
	v_cmp_ngt_f32_e64 s[8:9], s67, v8
	v_ldexp_f32 v36, v36, v49
	v_cmp_ngt_f32_e64 s[10:11], s67, v10
	v_cmp_ngt_f32_e64 s[12:13], s67, v6
	v_cndmask_b32_e64 v30, 0, v30, s[12:13]
	v_cndmask_b32_e64 v32, 0, v32, s[6:7]
	v_cmp_nlt_f32_e64 s[6:7], s65, v7
	v_cndmask_b32_e64 v7, 0, v34, s[8:9]
	v_cmp_nlt_f32_e64 s[8:9], s65, v8
	;; [unrolled: 2-line block ×3, first 2 shown]
	v_cmp_nlt_f32_e64 s[12:13], s65, v6
	v_cndmask_b32_e64 v6, v14, v30, s[12:13]
	v_cndmask_b32_e64 v10, v14, v32, s[6:7]
	;; [unrolled: 1-line block ×4, first 2 shown]
	v_fma_f32 v9, v6, v9, v6
	v_fma_f32 v11, v10, v11, v10
	v_cmp_class_f32_e64 s[6:7], v10, s63
	v_fma_f32 v22, v7, v22, v7
	v_cmp_class_f32_e64 s[8:9], v7, s63
	;; [unrolled: 2-line block ×3, first 2 shown]
	v_cmp_class_f32_e64 s[12:13], v6, s63
	v_cndmask_b32_e64 v6, v9, v6, s[12:13]
	v_cndmask_b32_e64 v9, v11, v10, s[6:7]
	;; [unrolled: 1-line block ×4, first 2 shown]
	v_bfi_b32 v6, s68, v6, v35
	v_bfi_b32 v9, s68, v9, v39
	;; [unrolled: 1-line block ×4, first 2 shown]
	v_cndmask_b32_e64 v10, v15, v6, s[14:15]
	v_cndmask_b32_e64 v11, v15, v9, s[16:17]
	v_cmp_gt_f32_e64 s[6:7], 0, v65
	v_cndmask_b32_e64 v22, v15, v7, s[18:19]
	v_cmp_gt_f32_e64 s[8:9], 0, v43
	;; [unrolled: 2-line block ×3, first 2 shown]
	v_cmp_gt_f32_e64 s[12:13], 0, v61
	v_cndmask_b32_e64 v6, v6, v10, s[12:13]
	v_cndmask_b32_e64 v9, v9, v11, s[6:7]
	v_cmp_eq_f32_e64 s[6:7], s64, v53
	v_cndmask_b32_e64 v7, v7, v22, s[8:9]
	v_cmp_eq_f32_e64 s[8:9], s64, v55
	;; [unrolled: 2-line block ×3, first 2 shown]
	v_cmp_eq_f32_e64 s[12:13], s64, v21
	v_cndmask_b32_e64 v6, v6, v27, s[12:13]
	v_cndmask_b32_e64 v9, v9, v25, s[6:7]
	s_or_b64 s[2:3], s[2:3], s[24:25]
	v_cndmask_b32_e64 v7, v7, v26, s[8:9]
	s_or_b64 s[0:1], s[0:1], s[26:27]
	v_cndmask_b32_e64 v8, v8, v24, s[10:11]
	s_or_b64 vcc, vcc, s[28:29]
	s_or_b64 s[4:5], s[4:5], s[22:23]
	v_cndmask_b32_e64 v6, v6, v29, s[4:5]
	v_cndmask_b32_e64 v9, v9, v33, s[2:3]
	v_cmp_o_f32_e64 s[2:3], v65, v20
	v_cndmask_b32_e64 v7, v7, v38, s[0:1]
	v_cmp_o_f32_e64 s[0:1], v43, v19
	v_cndmask_b32_e32 v8, v8, v41, vcc
	v_cmp_o_f32_e32 vcc, v31, v18
	v_cmp_o_f32_e64 s[4:5], v61, v17
	s_add_u32 s33, s33, s59
	v_cndmask_b32_e64 v6, v15, v6, s[4:5]
	v_cndmask_b32_e64 v9, v15, v9, s[2:3]
	;; [unrolled: 1-line block ×3, first 2 shown]
	v_cndmask_b32_e32 v8, v15, v8, vcc
	s_addc_u32 s56, s56, 0
	v_cvt_f16_f32_e32 v6, v6
	v_cvt_f16_f32_e32 v9, v9
	;; [unrolled: 1-line block ×4, first 2 shown]
	s_add_u32 s57, s57, s59
	s_addc_u32 s58, s58, 0
	s_and_b64 s[0:1], exec, s[30:31]
	s_or_b64 s[52:53], s[0:1], s[52:53]
	v_pack_b32_f16 v6, v6, v9
	v_pack_b32_f16 v7, v7, v8
	global_store_dwordx2 v[0:1], v[6:7], off
	s_andn2_b64 exec, exec, s[52:53]
	s_cbranch_execnz .LBB81_24
.LBB81_25:
	s_endpgm
	.section	.rodata,"a",@progbits
	.p2align	6, 0x0
	.amdhsa_kernel _ZN2at6native12_GLOBAL__N_125multi_tensor_apply_kernelINS1_18TensorListMetadataILi2EEENS1_21BinaryOpScalarFunctorIN3c104HalfELi2ELi1ELi1EEEJNS1_21reverse_power_functorIfEEfEEEvT_T0_DpT1_
		.amdhsa_group_segment_fixed_size 0
		.amdhsa_private_segment_fixed_size 0
		.amdhsa_kernarg_size 3408
		.amdhsa_user_sgpr_count 6
		.amdhsa_user_sgpr_private_segment_buffer 1
		.amdhsa_user_sgpr_dispatch_ptr 0
		.amdhsa_user_sgpr_queue_ptr 0
		.amdhsa_user_sgpr_kernarg_segment_ptr 1
		.amdhsa_user_sgpr_dispatch_id 0
		.amdhsa_user_sgpr_flat_scratch_init 0
		.amdhsa_user_sgpr_kernarg_preload_length 0
		.amdhsa_user_sgpr_kernarg_preload_offset 0
		.amdhsa_user_sgpr_private_segment_size 0
		.amdhsa_uses_dynamic_stack 0
		.amdhsa_system_sgpr_private_segment_wavefront_offset 0
		.amdhsa_system_sgpr_workgroup_id_x 1
		.amdhsa_system_sgpr_workgroup_id_y 0
		.amdhsa_system_sgpr_workgroup_id_z 0
		.amdhsa_system_sgpr_workgroup_info 0
		.amdhsa_system_vgpr_workitem_id 0
		.amdhsa_next_free_vgpr 66
		.amdhsa_next_free_sgpr 69
		.amdhsa_accum_offset 68
		.amdhsa_reserve_vcc 1
		.amdhsa_reserve_flat_scratch 0
		.amdhsa_float_round_mode_32 0
		.amdhsa_float_round_mode_16_64 0
		.amdhsa_float_denorm_mode_32 3
		.amdhsa_float_denorm_mode_16_64 3
		.amdhsa_dx10_clamp 1
		.amdhsa_ieee_mode 1
		.amdhsa_fp16_overflow 0
		.amdhsa_tg_split 0
		.amdhsa_exception_fp_ieee_invalid_op 0
		.amdhsa_exception_fp_denorm_src 0
		.amdhsa_exception_fp_ieee_div_zero 0
		.amdhsa_exception_fp_ieee_overflow 0
		.amdhsa_exception_fp_ieee_underflow 0
		.amdhsa_exception_fp_ieee_inexact 0
		.amdhsa_exception_int_div_zero 0
	.end_amdhsa_kernel
	.section	.text._ZN2at6native12_GLOBAL__N_125multi_tensor_apply_kernelINS1_18TensorListMetadataILi2EEENS1_21BinaryOpScalarFunctorIN3c104HalfELi2ELi1ELi1EEEJNS1_21reverse_power_functorIfEEfEEEvT_T0_DpT1_,"axG",@progbits,_ZN2at6native12_GLOBAL__N_125multi_tensor_apply_kernelINS1_18TensorListMetadataILi2EEENS1_21BinaryOpScalarFunctorIN3c104HalfELi2ELi1ELi1EEEJNS1_21reverse_power_functorIfEEfEEEvT_T0_DpT1_,comdat
.Lfunc_end81:
	.size	_ZN2at6native12_GLOBAL__N_125multi_tensor_apply_kernelINS1_18TensorListMetadataILi2EEENS1_21BinaryOpScalarFunctorIN3c104HalfELi2ELi1ELi1EEEJNS1_21reverse_power_functorIfEEfEEEvT_T0_DpT1_, .Lfunc_end81-_ZN2at6native12_GLOBAL__N_125multi_tensor_apply_kernelINS1_18TensorListMetadataILi2EEENS1_21BinaryOpScalarFunctorIN3c104HalfELi2ELi1ELi1EEEJNS1_21reverse_power_functorIfEEfEEEvT_T0_DpT1_
                                        ; -- End function
	.section	.AMDGPU.csdata,"",@progbits
; Kernel info:
; codeLenInByte = 9912
; NumSgprs: 73
; NumVgprs: 66
; NumAgprs: 0
; TotalNumVgprs: 66
; ScratchSize: 0
; MemoryBound: 0
; FloatMode: 240
; IeeeMode: 1
; LDSByteSize: 0 bytes/workgroup (compile time only)
; SGPRBlocks: 9
; VGPRBlocks: 8
; NumSGPRsForWavesPerEU: 73
; NumVGPRsForWavesPerEU: 66
; AccumOffset: 68
; Occupancy: 7
; WaveLimiterHint : 0
; COMPUTE_PGM_RSRC2:SCRATCH_EN: 0
; COMPUTE_PGM_RSRC2:USER_SGPR: 6
; COMPUTE_PGM_RSRC2:TRAP_HANDLER: 0
; COMPUTE_PGM_RSRC2:TGID_X_EN: 1
; COMPUTE_PGM_RSRC2:TGID_Y_EN: 0
; COMPUTE_PGM_RSRC2:TGID_Z_EN: 0
; COMPUTE_PGM_RSRC2:TIDIG_COMP_CNT: 0
; COMPUTE_PGM_RSRC3_GFX90A:ACCUM_OFFSET: 16
; COMPUTE_PGM_RSRC3_GFX90A:TG_SPLIT: 0
	.section	.text._ZN2at6native12_GLOBAL__N_125multi_tensor_apply_kernelINS1_18TensorListMetadataILi2EEENS1_21BinaryOpScalarFunctorIN3c108BFloat16ELi2ELi1ELi1EEEJNS1_21reverse_power_functorIfEEfEEEvT_T0_DpT1_,"axG",@progbits,_ZN2at6native12_GLOBAL__N_125multi_tensor_apply_kernelINS1_18TensorListMetadataILi2EEENS1_21BinaryOpScalarFunctorIN3c108BFloat16ELi2ELi1ELi1EEEJNS1_21reverse_power_functorIfEEfEEEvT_T0_DpT1_,comdat
	.globl	_ZN2at6native12_GLOBAL__N_125multi_tensor_apply_kernelINS1_18TensorListMetadataILi2EEENS1_21BinaryOpScalarFunctorIN3c108BFloat16ELi2ELi1ELi1EEEJNS1_21reverse_power_functorIfEEfEEEvT_T0_DpT1_ ; -- Begin function _ZN2at6native12_GLOBAL__N_125multi_tensor_apply_kernelINS1_18TensorListMetadataILi2EEENS1_21BinaryOpScalarFunctorIN3c108BFloat16ELi2ELi1ELi1EEEJNS1_21reverse_power_functorIfEEfEEEvT_T0_DpT1_
	.p2align	8
	.type	_ZN2at6native12_GLOBAL__N_125multi_tensor_apply_kernelINS1_18TensorListMetadataILi2EEENS1_21BinaryOpScalarFunctorIN3c108BFloat16ELi2ELi1ELi1EEEJNS1_21reverse_power_functorIfEEfEEEvT_T0_DpT1_,@function
_ZN2at6native12_GLOBAL__N_125multi_tensor_apply_kernelINS1_18TensorListMetadataILi2EEENS1_21BinaryOpScalarFunctorIN3c108BFloat16ELi2ELi1ELi1EEEJNS1_21reverse_power_functorIfEEfEEEvT_T0_DpT1_: ; @_ZN2at6native12_GLOBAL__N_125multi_tensor_apply_kernelINS1_18TensorListMetadataILi2EEENS1_21BinaryOpScalarFunctorIN3c108BFloat16ELi2ELi1ELi1EEEJNS1_21reverse_power_functorIfEEfEEEvT_T0_DpT1_
; %bb.0:
	v_mov_b32_e32 v1, s6
	global_load_ubyte v1, v1, s[4:5] offset:1536
	s_add_u32 s0, s4, s6
	s_mul_hi_u32 s2, s6, 3
	s_mul_i32 s6, s6, 3
	s_addc_u32 s7, s5, 0
	s_add_u32 s6, s0, s6
	s_addc_u32 s7, s7, s2
	s_load_dword s6, s[6:7], 0x740
	s_mov_b32 s1, 0
	s_mov_b32 s11, s1
	;; [unrolled: 1-line block ×3, first 2 shown]
	s_waitcnt lgkmcnt(0)
	s_ashr_i32 s7, s6, 31
	s_lshl_b64 s[20:21], s[6:7], 17
	s_waitcnt vmcnt(0)
	v_readfirstlane_b32 s0, v1
	s_lshl_b32 s0, s0, 3
	s_load_dwordx2 s[48:49], s[4:5], s0 offset:0x0
	s_load_dword s28, s[4:5], 0xc4c
	s_load_dwordx2 s[8:9], s[4:5], s0 offset:0x400
	s_load_dwordx2 s[50:51], s[4:5], s0 offset:0x200
	s_waitcnt lgkmcnt(0)
	s_and_b32 s0, s48, 7
	s_and_b32 s10, s8, 3
	;; [unrolled: 1-line block ×3, first 2 shown]
	s_or_b64 s[0:1], s[0:1], s[10:11]
	s_or_b64 s[0:1], s[2:3], s[0:1]
	s_lshl_b64 s[2:3], s[6:7], 16
	s_sub_u32 s52, s8, s2
	s_subb_u32 s53, s9, s3
	s_cmp_eq_u64 s[0:1], 0
	s_mov_b64 s[0:1], -1
	s_cbranch_scc1 .LBB82_21
; %bb.1:
	v_cmp_lt_i64_e64 s[0:1], s[52:53], 1
	s_and_b64 vcc, exec, s[0:1]
	s_cbranch_vccnz .LBB82_20
; %bb.2:
	s_load_dword s0, s[4:5], 0xc5c
	v_mov_b32_e32 v2, 0x10000
	v_mov_b32_e32 v3, 0
	v_cmp_lt_u64_e32 vcc, s[52:53], v[2:3]
	v_lshlrev_b32_e32 v10, 1, v0
	s_waitcnt lgkmcnt(0)
	s_and_b32 s2, s0, 0xffff
	s_and_b64 s[0:1], vcc, exec
	v_mov_b32_e32 v13, s49
	v_add_co_u32_e32 v2, vcc, s48, v10
	v_addc_co_u32_e32 v1, vcc, 0, v13, vcc
	v_mov_b32_e32 v11, 0
	v_mov_b32_e32 v15, s51
	v_add_co_u32_e32 v4, vcc, s50, v10
	v_addc_co_u32_e32 v3, vcc, 0, v15, vcc
	v_mad_u64_u32 v[8:9], s[0:1], s2, 6, v[10:11]
	v_add_co_u32_e32 v6, vcc, s48, v8
	v_addc_co_u32_e32 v5, vcc, v13, v9, vcc
	v_add_co_u32_e32 v8, vcc, s50, v8
	s_mul_i32 s6, s2, 3
	v_addc_co_u32_e32 v7, vcc, v15, v9, vcc
	s_cselect_b32 s23, s53, 0
	s_cselect_b32 s22, s52, 0x10000
	s_lshl_b32 s36, s2, 2
	v_add_co_u32_e32 v17, vcc, s6, v0
	v_addc_co_u32_e64 v20, s[0:1], 0, 0, vcc
	v_add_co_u32_e32 v11, vcc, s36, v10
	v_addc_co_u32_e64 v14, s[0:1], 0, 0, vcc
	v_add_co_u32_e32 v10, vcc, s48, v11
	v_addc_co_u32_e32 v9, vcc, v13, v14, vcc
	v_add_co_u32_e32 v12, vcc, s50, v11
	s_lshl_b32 s3, s2, 1
	v_addc_co_u32_e32 v11, vcc, v15, v14, vcc
	v_add_co_u32_e32 v21, vcc, s3, v0
	v_addc_co_u32_e64 v22, s[0:1], 0, 0, vcc
	v_add_co_u32_e32 v23, vcc, s2, v0
	v_lshlrev_b32_e32 v16, 1, v23
	v_addc_co_u32_e64 v24, s[0:1], 0, 0, vcc
	v_add_co_u32_e32 v14, vcc, s48, v16
	v_addc_co_u32_e32 v13, vcc, 0, v13, vcc
	v_add_co_u32_e32 v16, vcc, s50, v16
	s_mov_b32 s30, 0x31739010
	s_mov_b32 s33, 0
	v_cmp_eq_f32_e64 s[24:25], s28, 1.0
	s_lshl_b32 s37, s2, 3
	v_addc_co_u32_e32 v15, vcc, 0, v15, vcc
	s_mov_b64 s[26:27], 0
	s_mov_b32 s38, 0x7f800000
	s_brev_b32 s39, -2
	s_mov_b32 s40, 0x3f2aaaab
	s_mov_b32 s41, 0x3f317218
	v_mov_b32_e32 v25, 0x3ecccdef
	s_mov_b32 s29, 0x3f2aaaaa
	s_mov_b32 s31, 0xbf2aaaaa
	s_movk_i32 s42, 0x204
	s_mov_b32 s43, 0x42b17218
	s_mov_b32 s44, 0x3fb8aa3b
	;; [unrolled: 1-line block ×3, first 2 shown]
	s_movk_i32 s46, 0x7fff
	v_mov_b32_e32 v26, 0x7f800000
	v_mov_b32_e32 v27, 0x37000000
	;; [unrolled: 1-line block ×5, first 2 shown]
	s_branch .LBB82_4
.LBB82_3:                               ;   in Loop: Header=BB82_4 Depth=1
	s_or_b64 exec, exec, s[8:9]
	s_add_u32 s26, s26, s36
	s_addc_u32 s27, s27, 0
	s_waitcnt vmcnt(0)
	v_pk_mov_b32 v[30:31], s[52:53], s[52:53] op_sel:[0,1]
	v_cmp_lt_i64_e32 vcc, s[26:27], v[30:31]
	v_mov_b32_e32 v30, 0x10000
	v_mov_b32_e32 v31, 0
	v_cmp_lt_u64_e64 s[0:1], s[26:27], v[30:31]
	s_and_b64 s[0:1], vcc, s[0:1]
	v_mov_b32_e32 v18, s33
	v_add_co_u32_e32 v2, vcc, s37, v2
	v_addc_co_u32_e32 v1, vcc, v1, v18, vcc
	v_add_co_u32_e32 v4, vcc, s37, v4
	v_addc_co_u32_e32 v3, vcc, v3, v18, vcc
	;; [unrolled: 2-line block ×8, first 2 shown]
	s_and_b64 vcc, exec, s[0:1]
	s_cbranch_vccz .LBB82_20
.LBB82_4:                               ; =>This Inner Loop Header: Depth=1
	v_mov_b32_e32 v18, s27
	v_add_co_u32_e32 v30, vcc, s26, v0
	v_addc_co_u32_e32 v31, vcc, 0, v18, vcc
	v_cmp_gt_u64_e64 s[6:7], s[22:23], v[30:31]
	v_mov_b32_e32 v32, 0
	s_and_saveexec_b64 s[0:1], s[6:7]
	s_cbranch_execz .LBB82_6
; %bb.5:                                ;   in Loop: Header=BB82_4 Depth=1
	v_mov_b32_e32 v18, s21
	v_add_co_u32_e32 v30, vcc, s20, v2
	v_addc_co_u32_e32 v31, vcc, v1, v18, vcc
	global_load_ushort v32, v[30:31], off
.LBB82_6:                               ;   in Loop: Header=BB82_4 Depth=1
	s_or_b64 exec, exec, s[0:1]
	v_mov_b32_e32 v18, s27
	v_add_co_u32_e32 v30, vcc, s26, v23
	v_addc_co_u32_e32 v31, vcc, v24, v18, vcc
	v_cmp_gt_u64_e64 s[2:3], s[22:23], v[30:31]
	v_mov_b32_e32 v18, 0
	s_and_saveexec_b64 s[0:1], s[2:3]
	s_cbranch_execz .LBB82_8
; %bb.7:                                ;   in Loop: Header=BB82_4 Depth=1
	v_mov_b32_e32 v18, s21
	v_add_co_u32_e32 v30, vcc, s20, v14
	v_addc_co_u32_e32 v31, vcc, v13, v18, vcc
	global_load_ushort v18, v[30:31], off
.LBB82_8:                               ;   in Loop: Header=BB82_4 Depth=1
	s_or_b64 exec, exec, s[0:1]
	v_mov_b32_e32 v31, s27
	v_add_co_u32_e32 v30, vcc, s26, v21
	v_addc_co_u32_e32 v31, vcc, v22, v31, vcc
	v_cmp_gt_u64_e64 s[0:1], s[22:23], v[30:31]
	v_mov_b32_e32 v30, 0
	v_mov_b32_e32 v31, 0
	s_and_saveexec_b64 s[8:9], s[0:1]
	s_cbranch_execz .LBB82_10
; %bb.9:                                ;   in Loop: Header=BB82_4 Depth=1
	v_mov_b32_e32 v31, s21
	v_add_co_u32_e32 v34, vcc, s20, v10
	v_addc_co_u32_e32 v35, vcc, v9, v31, vcc
	global_load_ushort v31, v[34:35], off
.LBB82_10:                              ;   in Loop: Header=BB82_4 Depth=1
	s_or_b64 exec, exec, s[8:9]
	v_mov_b32_e32 v33, s27
	v_add_co_u32_e32 v34, vcc, s26, v17
	v_addc_co_u32_e32 v35, vcc, v20, v33, vcc
	v_cmp_gt_u64_e32 vcc, s[22:23], v[34:35]
	s_and_saveexec_b64 s[10:11], vcc
	s_cbranch_execnz .LBB82_15
; %bb.11:                               ;   in Loop: Header=BB82_4 Depth=1
	s_or_b64 exec, exec, s[10:11]
	s_and_saveexec_b64 s[34:35], s[6:7]
	s_cbranch_execnz .LBB82_16
.LBB82_12:                              ;   in Loop: Header=BB82_4 Depth=1
	s_or_b64 exec, exec, s[34:35]
	s_and_saveexec_b64 s[12:13], s[2:3]
	s_cbranch_execnz .LBB82_17
.LBB82_13:                              ;   in Loop: Header=BB82_4 Depth=1
	s_or_b64 exec, exec, s[12:13]
	s_and_saveexec_b64 s[10:11], s[0:1]
	s_cbranch_execnz .LBB82_18
.LBB82_14:                              ;   in Loop: Header=BB82_4 Depth=1
	s_or_b64 exec, exec, s[10:11]
	s_and_saveexec_b64 s[8:9], vcc
	s_cbranch_execz .LBB82_3
	s_branch .LBB82_19
.LBB82_15:                              ;   in Loop: Header=BB82_4 Depth=1
	v_mov_b32_e32 v30, s21
	v_add_co_u32_e64 v34, s[8:9], s20, v6
	v_addc_co_u32_e64 v35, s[8:9], v5, v30, s[8:9]
	global_load_ushort v30, v[34:35], off
	s_or_b64 exec, exec, s[10:11]
	s_and_saveexec_b64 s[34:35], s[6:7]
	s_cbranch_execz .LBB82_12
.LBB82_16:                              ;   in Loop: Header=BB82_4 Depth=1
	v_mov_b32_e32 v33, s21
	v_add_co_u32_e64 v34, s[6:7], s20, v4
	s_waitcnt vmcnt(0)
	v_lshlrev_b32_e32 v36, 16, v32
	v_addc_co_u32_e64 v35, s[6:7], v3, v33, s[6:7]
	v_cndmask_b32_e64 v50, v36, 1.0, s[24:25]
	v_mov_b32_e32 v32, s28
	v_cmp_eq_f32_e64 s[6:7], 0, v50
	v_cndmask_b32_e64 v51, v32, 1.0, s[6:7]
	v_cmp_eq_f32_e64 s[8:9], 0, v51
	v_cmp_gt_f32_e64 s[10:11], 0, v50
	s_xor_b64 s[10:11], s[10:11], s[8:9]
	v_trunc_f32_e32 v33, v50
	v_cndmask_b32_e64 v52, |v32|, 1.0, s[6:7]
	v_cndmask_b32_e64 v32, v26, 0, s[10:11]
	v_cmp_eq_f32_e64 s[10:11], v33, v50
	v_mul_f32_e32 v33, 0.5, v50
	v_trunc_f32_e32 v37, v33
	v_cmp_neq_f32_e64 s[12:13], v37, v33
	s_and_b64 s[12:13], s[10:11], s[12:13]
	v_cndmask_b32_e64 v33, 0, v51, s[12:13]
	v_bfi_b32 v53, s39, v32, v33
	v_cvt_f64_f32_e32 v[32:33], v52
	v_frexp_exp_i32_f64_e32 v32, v[32:33]
	v_frexp_mant_f32_e32 v33, v52
	v_cmp_gt_f32_e64 s[18:19], s40, v33
	v_subbrev_co_u32_e64 v32, s[14:15], 0, v32, s[18:19]
	v_cvt_f32_i32_e32 v37, v32
	v_cndmask_b32_e64 v54, |v36|, 1.0, s[24:25]
	v_cmp_neq_f32_e64 s[14:15], v50, v54
	v_cmp_gt_f32_e64 s[16:17], 1.0, v52
	v_mul_f32_e32 v32, 0x3f317218, v37
	v_fma_f32 v36, v37, s41, -v32
	v_fmac_f32_e32 v36, 0xb102e308, v37
	v_cndmask_b32_e64 v37, 1.0, 2.0, s[18:19]
	v_mul_f32_e32 v33, v33, v37
	v_add_f32_e32 v37, 1.0, v33
	v_rcp_f32_e32 v46, v37
	v_add_f32_e32 v38, -1.0, v37
	v_add_f32_e32 v39, -1.0, v33
	v_sub_f32_e32 v38, v33, v38
	v_mul_f32_e32 v33, v39, v46
	v_mul_f32_e32 v40, v37, v33
	v_fma_f32 v42, v33, v37, -v40
	v_fmac_f32_e32 v42, v33, v38
	v_add_f32_e32 v38, v40, v42
	v_sub_f32_e32 v41, v39, v38
	v_pk_add_f32 v[44:45], v[38:39], v[40:41] neg_lo:[0,1] neg_hi:[0,1]
	v_mov_b32_e32 v43, v38
	v_pk_add_f32 v[38:39], v[44:45], v[42:43] neg_lo:[0,1] neg_hi:[0,1]
	v_add_f32_e32 v37, v38, v39
	v_add_f32_e32 v37, v41, v37
	v_mul_f32_e32 v39, v46, v37
	v_add_f32_e32 v38, v33, v39
	v_sub_f32_e32 v33, v38, v33
	v_mul_f32_e32 v41, v38, v38
	v_sub_f32_e32 v48, v39, v33
	v_add_f32_e32 v33, v48, v48
	v_fma_f32 v39, v38, v38, -v41
	v_fmac_f32_e32 v39, v38, v33
	v_add_f32_e32 v40, v41, v39
	v_sub_f32_e32 v33, v40, v41
	v_sub_f32_e32 v33, v39, v33
	v_mov_b32_e32 v39, 0x3e91f4c4
	v_fmac_f32_e32 v39, 0x3e76c4e1, v40
	v_fma_f32 v39, v40, v39, v25
	v_mul_f32_e32 v41, v40, v39
	v_fma_f32 v42, v40, v39, -v41
	v_fmac_f32_e32 v42, v33, v39
	v_add_f32_e32 v44, v41, v42
	v_add_f32_e32 v43, 0x3f2aaaaa, v44
	v_sub_f32_e32 v39, v44, v41
	v_sub_f32_e32 v39, v42, v39
	v_add_f32_e32 v41, 0xbf2aaaaa, v43
	v_add_f32_e32 v39, 0x31739010, v39
	v_sub_f32_e32 v41, v44, v41
	v_pk_mul_f32 v[44:45], v[38:39], v[40:41]
	v_fma_f32 v42, v40, v38, -v44
	v_pk_add_f32 v[46:47], v[38:39], v[40:41]
	v_fmac_f32_e32 v42, v40, v48
	v_mov_b32_e32 v45, v47
	v_fmac_f32_e32 v42, v33, v38
	v_ldexp_f32 v37, v38, 1
	v_pk_add_f32 v[38:39], v[44:45], v[42:43]
	v_mov_b32_e32 v40, v39
	v_pk_mul_f32 v[40:41], v[38:39], v[40:41]
	v_sub_f32_e32 v33, v38, v44
	v_sub_f32_e32 v41, v43, v39
	;; [unrolled: 1-line block ×3, first 2 shown]
	v_add_f32_e32 v41, v47, v41
	v_fma_f32 v42, v38, v39, -v40
	v_fmac_f32_e32 v42, v38, v41
	v_fmac_f32_e32 v42, v33, v39
	v_add_f32_e32 v33, v40, v42
	v_pk_add_f32 v[38:39], v[32:33], v[36:37]
	v_mov_b32_e32 v44, v33
	v_mov_b32_e32 v45, v39
	v_mov_b32_e32 v41, v37
	v_pk_add_f32 v[40:41], v[44:45], v[40:41] neg_lo:[0,1] neg_hi:[0,1]
	v_mov_b32_e32 v43, v33
	v_ldexp_f32 v46, v48, 1
	v_pk_add_f32 v[40:41], v[42:43], v[40:41] neg_lo:[0,1] neg_hi:[0,1]
	v_add_f32_e32 v33, v46, v40
	v_add_f32_e32 v33, v33, v41
	v_pk_add_f32 v[40:41], v[38:39], v[32:33] neg_lo:[0,1] neg_hi:[0,1]
	v_pk_add_f32 v[42:43], v[38:39], v[32:33]
	v_mov_b32_e32 v44, v40
	v_mov_b32_e32 v45, v43
	;; [unrolled: 1-line block ×3, first 2 shown]
	v_pk_add_f32 v[44:45], v[36:37], v[44:45]
	v_mov_b32_e32 v32, v45
	v_pk_add_f32 v[46:47], v[32:33], v[38:39] neg_lo:[0,1] neg_hi:[0,1]
	v_mov_b32_e32 v47, v46
	v_mov_b32_e32 v44, v43
	;; [unrolled: 1-line block ×4, first 2 shown]
	v_pk_add_f32 v[40:41], v[36:37], v[40:41] neg_lo:[0,1] neg_hi:[0,1]
	v_pk_add_f32 v[48:49], v[42:43], v[46:47] neg_lo:[0,1] neg_hi:[0,1]
	;; [unrolled: 1-line block ×3, first 2 shown]
	v_mov_b32_e32 v36, v33
	v_pk_add_f32 v[36:37], v[36:37], v[38:39] neg_lo:[0,1] neg_hi:[0,1]
	v_mov_b32_e32 v48, v40
	v_pk_add_f32 v[38:39], v[48:49], v[36:37]
	v_mov_b32_e32 v42, v39
	v_pk_add_f32 v[42:43], v[38:39], v[42:43]
	v_pk_add_f32 v[32:33], v[32:33], v[42:43]
	v_mov_b32_e32 v41, v45
	v_mov_b32_e32 v39, v32
	v_pk_add_f32 v[44:45], v[38:39], v[40:41] neg_lo:[0,1] neg_hi:[0,1]
	v_mov_b32_e32 v37, v42
	v_sub_f32_e32 v33, v38, v44
	v_pk_add_f32 v[36:37], v[36:37], v[44:45] neg_lo:[0,1] neg_hi:[0,1]
	v_sub_f32_e32 v33, v40, v33
	v_add_f32_e32 v33, v36, v33
	v_add_f32_e32 v33, v33, v37
	;; [unrolled: 1-line block ×3, first 2 shown]
	v_mul_f32_e32 v37, v50, v36
	v_sub_f32_e32 v32, v36, v32
	v_sub_f32_e32 v32, v33, v32
	v_fma_f32 v33, v50, v36, -v37
	v_fmac_f32_e32 v33, v50, v32
	v_add_f32_e32 v32, v37, v33
	v_cmp_class_f32_e64 s[18:19], v37, s42
	v_cndmask_b32_e64 v36, v32, v37, s[18:19]
	v_cmp_eq_f32_e64 s[18:19], s43, v36
	v_cndmask_b32_e64 v38, 0, v27, s[18:19]
	v_sub_f32_e32 v39, v36, v38
	v_mul_f32_e32 v40, 0x3fb8aa3b, v39
	v_fma_f32 v41, v39, s44, -v40
	v_rndne_f32_e32 v42, v40
	v_fmac_f32_e32 v41, 0x32a5705f, v39
	v_sub_f32_e32 v40, v40, v42
	v_add_f32_e32 v40, v40, v41
	v_exp_f32_e32 v40, v40
	v_cvt_i32_f32_e32 v41, v42
	s_xor_b64 s[14:15], s[14:15], s[16:17]
	v_cndmask_b32_e64 v42, v54, 0, s[14:15]
	v_cmp_eq_f32_e64 s[14:15], 1.0, v52
	v_cndmask_b32_e64 v42, v42, v52, s[14:15]
	v_ldexp_f32 v40, v40, v41
	v_cmp_ngt_f32_e64 s[14:15], s45, v39
	v_cndmask_b32_e64 v40, 0, v40, s[14:15]
	v_cmp_nlt_f32_e64 s[14:15], s43, v39
	v_sub_f32_e32 v32, v32, v37
	v_cndmask_b32_e64 v39, v26, v40, s[14:15]
	v_sub_f32_e32 v32, v33, v32
	v_cmp_neq_f32_e64 s[14:15], |v36|, s38
	v_cndmask_b32_e64 v32, 0, v32, s[14:15]
	v_add_f32_e32 v32, v38, v32
	v_fma_f32 v32, v39, v32, v39
	v_cmp_class_f32_e64 s[14:15], v39, s42
	v_cndmask_b32_e64 v32, v32, v39, s[14:15]
	v_cndmask_b32_e64 v33, 1.0, v51, s[12:13]
	v_bfi_b32 v32, s39, v32, v33
	v_cndmask_b32_e64 v33, v28, v32, s[10:11]
	v_cmp_gt_f32_e64 s[10:11], 0, v51
	v_cmp_eq_f32_e64 s[6:7], s38, v52
	v_cndmask_b32_e64 v32, v32, v33, s[10:11]
	v_cmp_eq_f32_e64 s[10:11], s38, v54
	v_cndmask_b32_e64 v32, v32, v42, s[10:11]
	s_or_b64 s[6:7], s[6:7], s[8:9]
	v_cndmask_b32_e64 v32, v32, v53, s[6:7]
	v_cmp_o_f32_e64 s[6:7], v51, v50
	v_cndmask_b32_e64 v32, v28, v32, s[6:7]
	v_bfe_u32 v33, v32, 16, 1
	v_add3_u32 v33, v32, v33, s46
	v_lshrrev_b32_e32 v33, 16, v33
	v_cmp_o_f32_e64 s[6:7], v32, v32
	v_cndmask_b32_e64 v32, v29, v33, s[6:7]
	global_store_short v[34:35], v32, off
	s_or_b64 exec, exec, s[34:35]
	s_and_saveexec_b64 s[12:13], s[2:3]
	s_cbranch_execz .LBB82_13
.LBB82_17:                              ;   in Loop: Header=BB82_4 Depth=1
	s_waitcnt vmcnt(0)
	v_lshlrev_b32_e32 v48, 16, v18
	v_cndmask_b32_e64 v49, v48, 1.0, s[24:25]
	v_mov_b32_e32 v50, s28
	v_cmp_eq_f32_e64 s[2:3], 0, v49
	v_cndmask_b32_e64 v51, |v50|, 1.0, s[2:3]
	v_frexp_mant_f32_e32 v18, v51
	v_cmp_gt_f32_e64 s[6:7], s40, v18
	v_cndmask_b32_e64 v32, 1.0, 2.0, s[6:7]
	v_mul_f32_e32 v18, v18, v32
	v_add_f32_e32 v32, 1.0, v18
	v_rcp_f32_e32 v40, v32
	v_add_f32_e32 v33, -1.0, v32
	v_sub_f32_e32 v35, v18, v33
	v_add_f32_e32 v33, -1.0, v18
	v_mul_f32_e32 v18, v33, v40
	v_mul_f32_e32 v34, v32, v18
	v_fma_f32 v36, v18, v32, -v34
	v_fmac_f32_e32 v36, v18, v35
	v_add_f32_e32 v32, v34, v36
	v_sub_f32_e32 v35, v33, v32
	v_pk_add_f32 v[38:39], v[32:33], v[34:35] neg_lo:[0,1] neg_hi:[0,1]
	v_mov_b32_e32 v37, v32
	v_pk_add_f32 v[32:33], v[38:39], v[36:37] neg_lo:[0,1] neg_hi:[0,1]
	v_add_f32_e32 v32, v32, v33
	v_add_f32_e32 v32, v35, v32
	v_mul_f32_e32 v33, v40, v32
	v_add_f32_e32 v32, v18, v33
	v_sub_f32_e32 v18, v32, v18
	v_sub_f32_e32 v44, v33, v18
	v_mul_f32_e32 v18, v32, v32
	v_fma_f32 v33, v32, v32, -v18
	v_add_f32_e32 v34, v44, v44
	v_fmac_f32_e32 v33, v32, v34
	v_add_f32_e32 v34, v18, v33
	v_mov_b32_e32 v35, 0x3e91f4c4
	v_fmac_f32_e32 v35, 0x3e76c4e1, v34
	v_fma_f32 v35, v34, v35, v25
	v_sub_f32_e32 v18, v34, v18
	v_sub_f32_e32 v45, v33, v18
	v_mul_f32_e32 v33, v34, v35
	v_fma_f32 v18, v34, v35, -v33
	v_fmac_f32_e32 v18, v45, v35
	v_add_f32_e32 v37, v33, v18
	v_sub_f32_e32 v36, v37, v33
	v_pk_add_f32 v[38:39], v[18:19], v[36:37] neg_lo:[0,1] neg_hi:[0,1]
	v_pk_add_f32 v[40:41], v[36:37], s[28:29]
	v_mov_b32_e32 v39, v41
	v_pk_add_f32 v[42:43], v[38:39], s[30:31]
	v_sub_f32_e32 v35, v37, v43
	v_mov_b32_e32 v33, v42
	v_pk_mul_f32 v[36:37], v[32:33], v[34:35]
	v_fma_f32 v38, v34, v32, -v36
	v_pk_add_f32 v[42:43], v[32:33], v[34:35]
	v_fmac_f32_e32 v38, v34, v44
	v_mov_b32_e32 v37, v43
	v_fmac_f32_e32 v38, v45, v32
	v_pk_add_f32 v[34:35], v[36:37], v[38:39]
	v_sub_f32_e32 v18, v34, v36
	v_sub_f32_e32 v33, v38, v18
	;; [unrolled: 1-line block ×3, first 2 shown]
	v_add_f32_e32 v40, v43, v18
	v_mov_b32_e32 v18, v35
	v_cvt_f64_f32_e32 v[38:39], v51
	v_pk_mul_f32 v[36:37], v[34:35], v[18:19]
	v_frexp_exp_i32_f64_e32 v18, v[38:39]
	v_subbrev_co_u32_e64 v18, s[6:7], 0, v18, s[6:7]
	v_cvt_f32_i32_e32 v18, v18
	v_fma_f32 v38, v34, v35, -v36
	v_fmac_f32_e32 v38, v34, v40
	v_fmac_f32_e32 v38, v33, v35
	v_mul_f32_e32 v34, 0x3f317218, v18
	v_fma_f32 v40, v18, s41, -v34
	v_fmac_f32_e32 v40, 0xb102e308, v18
	v_ldexp_f32 v41, v32, 1
	v_add_f32_e32 v35, v36, v38
	v_pk_add_f32 v[32:33], v[34:35], v[40:41]
	v_mov_b32_e32 v42, v35
	v_mov_b32_e32 v43, v33
	;; [unrolled: 1-line block ×3, first 2 shown]
	v_pk_add_f32 v[36:37], v[42:43], v[36:37] neg_lo:[0,1] neg_hi:[0,1]
	v_mov_b32_e32 v39, v35
	v_ldexp_f32 v18, v44, 1
	v_pk_add_f32 v[36:37], v[38:39], v[36:37] neg_lo:[0,1] neg_hi:[0,1]
	v_add_f32_e32 v18, v18, v36
	v_add_f32_e32 v35, v18, v37
	v_pk_add_f32 v[36:37], v[32:33], v[34:35] neg_lo:[0,1] neg_hi:[0,1]
	v_pk_add_f32 v[38:39], v[32:33], v[34:35]
	v_mov_b32_e32 v42, v36
	v_mov_b32_e32 v43, v39
	;; [unrolled: 1-line block ×3, first 2 shown]
	v_pk_add_f32 v[42:43], v[40:41], v[42:43]
	v_mov_b32_e32 v18, v43
	v_pk_add_f32 v[44:45], v[18:19], v[32:33] neg_lo:[0,1] neg_hi:[0,1]
	v_mov_b32_e32 v45, v44
	v_mov_b32_e32 v42, v39
	v_mov_b32_e32 v32, v33
	v_mov_b32_e32 v33, v44
	v_pk_add_f32 v[36:37], v[40:41], v[36:37] neg_lo:[0,1] neg_hi:[0,1]
	v_pk_add_f32 v[46:47], v[38:39], v[44:45] neg_lo:[0,1] neg_hi:[0,1]
	;; [unrolled: 1-line block ×3, first 2 shown]
	v_mov_b32_e32 v40, v35
	v_pk_add_f32 v[32:33], v[40:41], v[32:33] neg_lo:[0,1] neg_hi:[0,1]
	v_mov_b32_e32 v46, v36
	v_pk_add_f32 v[34:35], v[46:47], v[32:33]
	v_mov_b32_e32 v38, v35
	v_pk_add_f32 v[38:39], v[34:35], v[38:39]
	v_pk_add_f32 v[40:41], v[18:19], v[38:39]
	v_mov_b32_e32 v37, v43
	v_mov_b32_e32 v35, v40
	v_pk_add_f32 v[42:43], v[34:35], v[36:37] neg_lo:[0,1] neg_hi:[0,1]
	v_mov_b32_e32 v33, v38
	v_sub_f32_e32 v18, v34, v42
	v_pk_add_f32 v[32:33], v[32:33], v[42:43] neg_lo:[0,1] neg_hi:[0,1]
	v_sub_f32_e32 v18, v36, v18
	v_add_f32_e32 v18, v32, v18
	v_add_f32_e32 v18, v18, v33
	;; [unrolled: 1-line block ×3, first 2 shown]
	v_sub_f32_e32 v33, v32, v40
	v_sub_f32_e32 v18, v18, v33
	v_mul_f32_e32 v33, v49, v32
	v_fma_f32 v32, v49, v32, -v33
	v_fmac_f32_e32 v32, v49, v18
	v_add_f32_e32 v18, v33, v32
	v_cmp_class_f32_e64 s[6:7], v33, s42
	v_sub_f32_e32 v34, v18, v33
	v_cndmask_b32_e64 v18, v18, v33, s[6:7]
	v_cmp_eq_f32_e64 s[6:7], s43, v18
	v_cndmask_b32_e64 v33, 0, v27, s[6:7]
	v_sub_f32_e32 v32, v32, v34
	v_sub_f32_e32 v34, v18, v33
	v_mul_f32_e32 v35, 0x3fb8aa3b, v34
	v_fma_f32 v36, v34, s44, -v35
	v_rndne_f32_e32 v37, v35
	v_fmac_f32_e32 v36, 0x32a5705f, v34
	v_sub_f32_e32 v35, v35, v37
	v_add_f32_e32 v35, v35, v36
	v_exp_f32_e32 v35, v35
	v_cvt_i32_f32_e32 v36, v37
	v_cmp_neq_f32_e64 s[6:7], |v18|, s38
	v_cndmask_b32_e64 v18, 0, v32, s[6:7]
	v_cmp_ngt_f32_e64 s[6:7], s45, v34
	v_ldexp_f32 v32, v35, v36
	v_cndmask_b32_e64 v32, 0, v32, s[6:7]
	v_cmp_nlt_f32_e64 s[6:7], s43, v34
	v_add_f32_e32 v18, v33, v18
	v_cndmask_b32_e64 v32, v26, v32, s[6:7]
	v_fma_f32 v18, v32, v18, v32
	v_cmp_class_f32_e64 s[6:7], v32, s42
	v_trunc_f32_e32 v33, v49
	v_cndmask_b32_e64 v18, v18, v32, s[6:7]
	v_cndmask_b32_e64 v32, v50, 1.0, s[2:3]
	v_cmp_eq_f32_e64 s[2:3], v33, v49
	v_mul_f32_e32 v33, 0.5, v49
	v_trunc_f32_e32 v34, v33
	v_cmp_neq_f32_e64 s[6:7], v34, v33
	s_and_b64 s[6:7], s[2:3], s[6:7]
	v_cndmask_b32_e64 v33, 1.0, v32, s[6:7]
	v_bfi_b32 v18, s39, v18, v33
	v_cndmask_b32_e64 v33, v28, v18, s[2:3]
	v_cmp_gt_f32_e64 s[2:3], 0, v32
	v_cndmask_b32_e64 v18, v18, v33, s[2:3]
	v_cndmask_b32_e64 v33, |v48|, 1.0, s[24:25]
	v_cmp_neq_f32_e64 s[2:3], v49, v33
	v_cmp_gt_f32_e64 s[8:9], 1.0, v51
	s_xor_b64 s[2:3], s[2:3], s[8:9]
	v_cndmask_b32_e64 v34, v33, 0, s[2:3]
	v_cmp_eq_f32_e64 s[2:3], 1.0, v51
	v_cmp_eq_f32_e64 s[8:9], 0, v32
	v_cmp_gt_f32_e64 s[10:11], 0, v49
	v_cndmask_b32_e64 v34, v34, v51, s[2:3]
	v_cmp_eq_f32_e64 s[2:3], s38, v33
	s_xor_b64 s[10:11], s[10:11], s[8:9]
	v_cndmask_b32_e64 v18, v18, v34, s[2:3]
	v_cmp_eq_f32_e64 s[2:3], s38, v51
	v_cndmask_b32_e64 v33, v26, 0, s[10:11]
	v_cndmask_b32_e64 v34, 0, v32, s[6:7]
	v_bfi_b32 v33, s39, v33, v34
	s_or_b64 s[2:3], s[2:3], s[8:9]
	v_cndmask_b32_e64 v18, v18, v33, s[2:3]
	v_cmp_o_f32_e64 s[2:3], v32, v49
	v_cndmask_b32_e64 v18, v28, v18, s[2:3]
	v_bfe_u32 v32, v18, 16, 1
	v_add3_u32 v32, v18, v32, s46
	v_lshrrev_b32_e32 v32, 16, v32
	v_cmp_o_f32_e64 s[2:3], v18, v18
	v_cndmask_b32_e64 v18, v29, v32, s[2:3]
	v_mov_b32_e32 v33, s21
	v_add_co_u32_e64 v32, s[2:3], s20, v16
	v_addc_co_u32_e64 v33, s[2:3], v15, v33, s[2:3]
	global_store_short v[32:33], v18, off
	s_or_b64 exec, exec, s[12:13]
	s_and_saveexec_b64 s[10:11], s[0:1]
	s_cbranch_execz .LBB82_14
.LBB82_18:                              ;   in Loop: Header=BB82_4 Depth=1
	s_waitcnt vmcnt(0)
	v_lshlrev_b32_e32 v48, 16, v31
	v_cndmask_b32_e64 v49, v48, 1.0, s[24:25]
	v_mov_b32_e32 v50, s28
	v_cmp_eq_f32_e64 s[0:1], 0, v49
	v_cndmask_b32_e64 v51, |v50|, 1.0, s[0:1]
	v_frexp_mant_f32_e32 v18, v51
	v_cmp_gt_f32_e64 s[2:3], s40, v18
	v_cndmask_b32_e64 v31, 1.0, 2.0, s[2:3]
	v_mul_f32_e32 v18, v18, v31
	v_add_f32_e32 v31, 1.0, v18
	v_rcp_f32_e32 v40, v31
	v_add_f32_e32 v32, -1.0, v31
	v_add_f32_e32 v33, -1.0, v18
	v_sub_f32_e32 v32, v18, v32
	v_mul_f32_e32 v18, v33, v40
	v_mul_f32_e32 v34, v31, v18
	v_fma_f32 v36, v18, v31, -v34
	v_fmac_f32_e32 v36, v18, v32
	v_add_f32_e32 v32, v34, v36
	v_sub_f32_e32 v35, v33, v32
	v_pk_add_f32 v[38:39], v[32:33], v[34:35] neg_lo:[0,1] neg_hi:[0,1]
	v_mov_b32_e32 v37, v32
	v_pk_add_f32 v[32:33], v[38:39], v[36:37] neg_lo:[0,1] neg_hi:[0,1]
	v_add_f32_e32 v31, v32, v33
	v_add_f32_e32 v31, v35, v31
	v_mul_f32_e32 v31, v40, v31
	v_add_f32_e32 v32, v18, v31
	v_sub_f32_e32 v18, v32, v18
	v_sub_f32_e32 v31, v31, v18
	v_mul_f32_e32 v18, v32, v32
	v_fma_f32 v33, v32, v32, -v18
	v_add_f32_e32 v34, v31, v31
	v_fmac_f32_e32 v33, v32, v34
	v_add_f32_e32 v34, v18, v33
	v_mov_b32_e32 v35, 0x3e91f4c4
	v_fmac_f32_e32 v35, 0x3e76c4e1, v34
	v_fma_f32 v35, v34, v35, v25
	v_sub_f32_e32 v18, v34, v18
	v_sub_f32_e32 v44, v33, v18
	v_mul_f32_e32 v33, v34, v35
	v_fma_f32 v18, v34, v35, -v33
	v_fmac_f32_e32 v18, v44, v35
	v_add_f32_e32 v37, v33, v18
	v_sub_f32_e32 v36, v37, v33
	v_pk_add_f32 v[38:39], v[18:19], v[36:37] neg_lo:[0,1] neg_hi:[0,1]
	v_pk_add_f32 v[40:41], v[36:37], s[28:29]
	v_mov_b32_e32 v39, v41
	v_pk_add_f32 v[42:43], v[38:39], s[30:31]
	v_sub_f32_e32 v35, v37, v43
	v_mov_b32_e32 v33, v42
	v_pk_mul_f32 v[36:37], v[32:33], v[34:35]
	v_fma_f32 v38, v34, v32, -v36
	v_pk_add_f32 v[42:43], v[32:33], v[34:35]
	v_fmac_f32_e32 v38, v34, v31
	v_mov_b32_e32 v37, v43
	v_fmac_f32_e32 v38, v44, v32
	v_pk_add_f32 v[34:35], v[36:37], v[38:39]
	v_sub_f32_e32 v18, v34, v36
	v_sub_f32_e32 v33, v38, v18
	;; [unrolled: 1-line block ×3, first 2 shown]
	v_add_f32_e32 v40, v43, v18
	v_mov_b32_e32 v18, v35
	v_cvt_f64_f32_e32 v[38:39], v51
	v_pk_mul_f32 v[36:37], v[34:35], v[18:19]
	v_frexp_exp_i32_f64_e32 v18, v[38:39]
	v_subbrev_co_u32_e64 v18, s[2:3], 0, v18, s[2:3]
	v_cvt_f32_i32_e32 v18, v18
	v_fma_f32 v38, v34, v35, -v36
	v_fmac_f32_e32 v38, v34, v40
	v_fmac_f32_e32 v38, v33, v35
	v_mul_f32_e32 v34, 0x3f317218, v18
	v_fma_f32 v40, v18, s41, -v34
	v_fmac_f32_e32 v40, 0xb102e308, v18
	v_ldexp_f32 v41, v32, 1
	v_add_f32_e32 v35, v36, v38
	v_pk_add_f32 v[32:33], v[34:35], v[40:41]
	v_mov_b32_e32 v42, v35
	v_mov_b32_e32 v43, v33
	;; [unrolled: 1-line block ×3, first 2 shown]
	v_pk_add_f32 v[36:37], v[42:43], v[36:37] neg_lo:[0,1] neg_hi:[0,1]
	v_mov_b32_e32 v39, v35
	v_ldexp_f32 v18, v31, 1
	v_pk_add_f32 v[36:37], v[38:39], v[36:37] neg_lo:[0,1] neg_hi:[0,1]
	v_add_f32_e32 v18, v18, v36
	v_add_f32_e32 v35, v18, v37
	v_pk_add_f32 v[36:37], v[32:33], v[34:35] neg_lo:[0,1] neg_hi:[0,1]
	v_pk_add_f32 v[38:39], v[32:33], v[34:35]
	v_mov_b32_e32 v42, v36
	v_mov_b32_e32 v43, v39
	;; [unrolled: 1-line block ×3, first 2 shown]
	v_pk_add_f32 v[42:43], v[40:41], v[42:43]
	v_mov_b32_e32 v18, v43
	v_pk_add_f32 v[44:45], v[18:19], v[32:33] neg_lo:[0,1] neg_hi:[0,1]
	v_mov_b32_e32 v31, v44
	v_mov_b32_e32 v42, v39
	;; [unrolled: 1-line block ×4, first 2 shown]
	v_pk_add_f32 v[36:37], v[40:41], v[36:37] neg_lo:[0,1] neg_hi:[0,1]
	v_pk_add_f32 v[46:47], v[38:39], v[30:31] neg_lo:[0,1] neg_hi:[0,1]
	;; [unrolled: 1-line block ×3, first 2 shown]
	v_mov_b32_e32 v40, v35
	v_pk_add_f32 v[32:33], v[40:41], v[32:33] neg_lo:[0,1] neg_hi:[0,1]
	v_mov_b32_e32 v46, v36
	v_pk_add_f32 v[34:35], v[46:47], v[32:33]
	v_mov_b32_e32 v38, v35
	v_pk_add_f32 v[38:39], v[34:35], v[38:39]
	v_pk_add_f32 v[40:41], v[18:19], v[38:39]
	v_mov_b32_e32 v37, v43
	v_mov_b32_e32 v35, v40
	v_pk_add_f32 v[42:43], v[34:35], v[36:37] neg_lo:[0,1] neg_hi:[0,1]
	v_mov_b32_e32 v33, v38
	v_sub_f32_e32 v18, v34, v42
	v_pk_add_f32 v[32:33], v[32:33], v[42:43] neg_lo:[0,1] neg_hi:[0,1]
	v_sub_f32_e32 v18, v36, v18
	v_add_f32_e32 v18, v32, v18
	v_add_f32_e32 v18, v18, v33
	;; [unrolled: 1-line block ×3, first 2 shown]
	v_sub_f32_e32 v32, v31, v40
	v_sub_f32_e32 v18, v18, v32
	v_mul_f32_e32 v32, v49, v31
	v_fma_f32 v31, v49, v31, -v32
	v_fmac_f32_e32 v31, v49, v18
	v_add_f32_e32 v18, v32, v31
	v_cmp_class_f32_e64 s[2:3], v32, s42
	v_sub_f32_e32 v33, v18, v32
	v_cndmask_b32_e64 v18, v18, v32, s[2:3]
	v_cmp_eq_f32_e64 s[2:3], s43, v18
	v_cndmask_b32_e64 v32, 0, v27, s[2:3]
	v_sub_f32_e32 v31, v31, v33
	v_sub_f32_e32 v33, v18, v32
	v_mul_f32_e32 v34, 0x3fb8aa3b, v33
	v_fma_f32 v35, v33, s44, -v34
	v_rndne_f32_e32 v36, v34
	v_fmac_f32_e32 v35, 0x32a5705f, v33
	v_sub_f32_e32 v34, v34, v36
	v_add_f32_e32 v34, v34, v35
	v_exp_f32_e32 v34, v34
	v_cvt_i32_f32_e32 v35, v36
	v_cmp_neq_f32_e64 s[2:3], |v18|, s38
	v_cndmask_b32_e64 v18, 0, v31, s[2:3]
	v_cmp_ngt_f32_e64 s[2:3], s45, v33
	v_ldexp_f32 v31, v34, v35
	v_cndmask_b32_e64 v31, 0, v31, s[2:3]
	v_cmp_nlt_f32_e64 s[2:3], s43, v33
	v_add_f32_e32 v18, v32, v18
	v_cndmask_b32_e64 v31, v26, v31, s[2:3]
	v_fma_f32 v18, v31, v18, v31
	v_cmp_class_f32_e64 s[2:3], v31, s42
	v_trunc_f32_e32 v32, v49
	v_cndmask_b32_e64 v18, v18, v31, s[2:3]
	v_cndmask_b32_e64 v31, v50, 1.0, s[0:1]
	v_cmp_eq_f32_e64 s[0:1], v32, v49
	v_mul_f32_e32 v32, 0.5, v49
	v_trunc_f32_e32 v33, v32
	v_cmp_neq_f32_e64 s[2:3], v33, v32
	s_and_b64 s[2:3], s[0:1], s[2:3]
	v_cndmask_b32_e64 v32, 1.0, v31, s[2:3]
	v_bfi_b32 v18, s39, v18, v32
	v_cndmask_b32_e64 v32, v28, v18, s[0:1]
	v_cmp_gt_f32_e64 s[0:1], 0, v31
	v_cndmask_b32_e64 v18, v18, v32, s[0:1]
	v_cndmask_b32_e64 v32, |v48|, 1.0, s[24:25]
	v_cmp_neq_f32_e64 s[0:1], v49, v32
	v_cmp_gt_f32_e64 s[6:7], 1.0, v51
	s_xor_b64 s[0:1], s[0:1], s[6:7]
	v_cndmask_b32_e64 v33, v32, 0, s[0:1]
	v_cmp_eq_f32_e64 s[0:1], 1.0, v51
	v_cmp_eq_f32_e64 s[6:7], 0, v31
	v_cmp_gt_f32_e64 s[8:9], 0, v49
	v_cndmask_b32_e64 v33, v33, v51, s[0:1]
	v_cmp_eq_f32_e64 s[0:1], s38, v32
	s_xor_b64 s[8:9], s[8:9], s[6:7]
	v_cndmask_b32_e64 v18, v18, v33, s[0:1]
	v_cmp_eq_f32_e64 s[0:1], s38, v51
	v_cndmask_b32_e64 v32, v26, 0, s[8:9]
	v_cndmask_b32_e64 v33, 0, v31, s[2:3]
	v_bfi_b32 v32, s39, v32, v33
	s_or_b64 s[0:1], s[0:1], s[6:7]
	v_cndmask_b32_e64 v18, v18, v32, s[0:1]
	v_cmp_o_f32_e64 s[0:1], v31, v49
	v_cndmask_b32_e64 v18, v28, v18, s[0:1]
	v_bfe_u32 v31, v18, 16, 1
	v_add3_u32 v31, v18, v31, s46
	v_lshrrev_b32_e32 v31, 16, v31
	v_cmp_o_f32_e64 s[0:1], v18, v18
	v_cndmask_b32_e64 v18, v29, v31, s[0:1]
	v_mov_b32_e32 v31, s21
	v_add_co_u32_e64 v32, s[0:1], s20, v12
	v_addc_co_u32_e64 v33, s[0:1], v11, v31, s[0:1]
	global_store_short v[32:33], v18, off
	s_or_b64 exec, exec, s[10:11]
	s_and_saveexec_b64 s[8:9], vcc
	s_cbranch_execz .LBB82_3
.LBB82_19:                              ;   in Loop: Header=BB82_4 Depth=1
	s_waitcnt vmcnt(0)
	v_lshlrev_b32_e32 v46, 16, v30
	v_cndmask_b32_e64 v47, v46, 1.0, s[24:25]
	v_mov_b32_e32 v48, s28
	v_cmp_eq_f32_e32 vcc, 0, v47
	v_cndmask_b32_e64 v49, |v48|, 1.0, vcc
	v_frexp_mant_f32_e32 v18, v49
	v_cmp_gt_f32_e64 s[0:1], s40, v18
	v_cndmask_b32_e64 v30, 1.0, 2.0, s[0:1]
	v_mul_f32_e32 v18, v18, v30
	v_add_f32_e32 v30, 1.0, v18
	v_rcp_f32_e32 v38, v30
	v_add_f32_e32 v31, -1.0, v30
	v_sub_f32_e32 v33, v18, v31
	v_add_f32_e32 v31, -1.0, v18
	v_mul_f32_e32 v18, v31, v38
	v_mul_f32_e32 v32, v30, v18
	v_fma_f32 v34, v18, v30, -v32
	v_fmac_f32_e32 v34, v18, v33
	v_add_f32_e32 v30, v32, v34
	v_sub_f32_e32 v33, v31, v30
	v_pk_add_f32 v[36:37], v[30:31], v[32:33] neg_lo:[0,1] neg_hi:[0,1]
	v_mov_b32_e32 v35, v30
	v_pk_add_f32 v[30:31], v[36:37], v[34:35] neg_lo:[0,1] neg_hi:[0,1]
	v_add_f32_e32 v30, v30, v31
	v_add_f32_e32 v30, v33, v30
	v_mul_f32_e32 v31, v38, v30
	v_add_f32_e32 v30, v18, v31
	v_sub_f32_e32 v18, v30, v18
	v_sub_f32_e32 v42, v31, v18
	v_mul_f32_e32 v18, v30, v30
	v_fma_f32 v31, v30, v30, -v18
	v_add_f32_e32 v32, v42, v42
	v_fmac_f32_e32 v31, v30, v32
	v_add_f32_e32 v32, v18, v31
	v_mov_b32_e32 v33, 0x3e91f4c4
	v_fmac_f32_e32 v33, 0x3e76c4e1, v32
	v_fma_f32 v33, v32, v33, v25
	v_sub_f32_e32 v18, v32, v18
	v_sub_f32_e32 v43, v31, v18
	v_mul_f32_e32 v31, v32, v33
	v_fma_f32 v18, v32, v33, -v31
	v_fmac_f32_e32 v18, v43, v33
	v_add_f32_e32 v35, v31, v18
	v_sub_f32_e32 v34, v35, v31
	v_pk_add_f32 v[36:37], v[18:19], v[34:35] neg_lo:[0,1] neg_hi:[0,1]
	v_pk_add_f32 v[38:39], v[34:35], s[28:29]
	v_mov_b32_e32 v37, v39
	v_pk_add_f32 v[40:41], v[36:37], s[30:31]
	v_sub_f32_e32 v33, v35, v41
	v_mov_b32_e32 v31, v40
	v_pk_mul_f32 v[34:35], v[30:31], v[32:33]
	v_fma_f32 v36, v32, v30, -v34
	v_pk_add_f32 v[40:41], v[30:31], v[32:33]
	v_fmac_f32_e32 v36, v32, v42
	v_mov_b32_e32 v35, v41
	v_fmac_f32_e32 v36, v43, v30
	v_pk_add_f32 v[32:33], v[34:35], v[36:37]
	v_sub_f32_e32 v18, v32, v34
	v_sub_f32_e32 v31, v36, v18
	;; [unrolled: 1-line block ×3, first 2 shown]
	v_add_f32_e32 v38, v41, v18
	v_mov_b32_e32 v18, v33
	v_cvt_f64_f32_e32 v[36:37], v49
	v_pk_mul_f32 v[34:35], v[32:33], v[18:19]
	v_frexp_exp_i32_f64_e32 v18, v[36:37]
	v_subbrev_co_u32_e64 v18, s[0:1], 0, v18, s[0:1]
	v_cvt_f32_i32_e32 v18, v18
	v_fma_f32 v36, v32, v33, -v34
	v_fmac_f32_e32 v36, v32, v38
	v_fmac_f32_e32 v36, v31, v33
	v_mul_f32_e32 v32, 0x3f317218, v18
	v_fma_f32 v38, v18, s41, -v32
	v_fmac_f32_e32 v38, 0xb102e308, v18
	v_ldexp_f32 v39, v30, 1
	v_add_f32_e32 v33, v34, v36
	v_pk_add_f32 v[30:31], v[32:33], v[38:39]
	v_mov_b32_e32 v40, v33
	v_mov_b32_e32 v41, v31
	;; [unrolled: 1-line block ×3, first 2 shown]
	v_pk_add_f32 v[34:35], v[40:41], v[34:35] neg_lo:[0,1] neg_hi:[0,1]
	v_mov_b32_e32 v37, v33
	v_ldexp_f32 v18, v42, 1
	v_pk_add_f32 v[34:35], v[36:37], v[34:35] neg_lo:[0,1] neg_hi:[0,1]
	v_add_f32_e32 v18, v18, v34
	v_add_f32_e32 v33, v18, v35
	v_pk_add_f32 v[34:35], v[30:31], v[32:33] neg_lo:[0,1] neg_hi:[0,1]
	v_pk_add_f32 v[36:37], v[30:31], v[32:33]
	v_mov_b32_e32 v40, v34
	v_mov_b32_e32 v41, v37
	;; [unrolled: 1-line block ×3, first 2 shown]
	v_pk_add_f32 v[40:41], v[38:39], v[40:41]
	v_mov_b32_e32 v18, v41
	v_pk_add_f32 v[42:43], v[18:19], v[30:31] neg_lo:[0,1] neg_hi:[0,1]
	v_mov_b32_e32 v43, v42
	v_mov_b32_e32 v40, v37
	;; [unrolled: 1-line block ×4, first 2 shown]
	v_pk_add_f32 v[34:35], v[38:39], v[34:35] neg_lo:[0,1] neg_hi:[0,1]
	v_pk_add_f32 v[44:45], v[36:37], v[42:43] neg_lo:[0,1] neg_hi:[0,1]
	;; [unrolled: 1-line block ×3, first 2 shown]
	v_mov_b32_e32 v38, v33
	v_pk_add_f32 v[30:31], v[38:39], v[30:31] neg_lo:[0,1] neg_hi:[0,1]
	v_mov_b32_e32 v44, v34
	v_pk_add_f32 v[32:33], v[44:45], v[30:31]
	v_mov_b32_e32 v36, v33
	v_pk_add_f32 v[36:37], v[32:33], v[36:37]
	v_pk_add_f32 v[38:39], v[18:19], v[36:37]
	v_mov_b32_e32 v35, v41
	v_mov_b32_e32 v33, v38
	v_pk_add_f32 v[40:41], v[32:33], v[34:35] neg_lo:[0,1] neg_hi:[0,1]
	v_mov_b32_e32 v31, v36
	v_sub_f32_e32 v18, v32, v40
	v_pk_add_f32 v[30:31], v[30:31], v[40:41] neg_lo:[0,1] neg_hi:[0,1]
	v_sub_f32_e32 v18, v34, v18
	v_add_f32_e32 v18, v30, v18
	v_add_f32_e32 v18, v18, v31
	;; [unrolled: 1-line block ×3, first 2 shown]
	v_sub_f32_e32 v31, v30, v38
	v_sub_f32_e32 v18, v18, v31
	v_mul_f32_e32 v31, v47, v30
	v_fma_f32 v30, v47, v30, -v31
	v_fmac_f32_e32 v30, v47, v18
	v_add_f32_e32 v18, v31, v30
	v_cmp_class_f32_e64 s[0:1], v31, s42
	v_sub_f32_e32 v32, v18, v31
	v_cndmask_b32_e64 v18, v18, v31, s[0:1]
	v_cmp_eq_f32_e64 s[0:1], s43, v18
	v_cndmask_b32_e64 v31, 0, v27, s[0:1]
	v_sub_f32_e32 v30, v30, v32
	v_sub_f32_e32 v32, v18, v31
	v_mul_f32_e32 v33, 0x3fb8aa3b, v32
	v_fma_f32 v34, v32, s44, -v33
	v_rndne_f32_e32 v35, v33
	v_fmac_f32_e32 v34, 0x32a5705f, v32
	v_sub_f32_e32 v33, v33, v35
	v_add_f32_e32 v33, v33, v34
	v_exp_f32_e32 v33, v33
	v_cvt_i32_f32_e32 v34, v35
	v_cmp_neq_f32_e64 s[0:1], |v18|, s38
	v_cndmask_b32_e64 v18, 0, v30, s[0:1]
	v_cmp_ngt_f32_e64 s[0:1], s45, v32
	v_ldexp_f32 v30, v33, v34
	v_cndmask_b32_e64 v30, 0, v30, s[0:1]
	v_cmp_nlt_f32_e64 s[0:1], s43, v32
	v_add_f32_e32 v18, v31, v18
	v_cndmask_b32_e64 v30, v26, v30, s[0:1]
	v_fma_f32 v18, v30, v18, v30
	v_cmp_class_f32_e64 s[0:1], v30, s42
	v_trunc_f32_e32 v31, v47
	v_cndmask_b32_e64 v18, v18, v30, s[0:1]
	v_cndmask_b32_e64 v30, v48, 1.0, vcc
	v_cmp_eq_f32_e32 vcc, v31, v47
	v_mul_f32_e32 v31, 0.5, v47
	v_trunc_f32_e32 v32, v31
	v_cmp_neq_f32_e64 s[0:1], v32, v31
	s_and_b64 s[0:1], vcc, s[0:1]
	v_cndmask_b32_e64 v31, 1.0, v30, s[0:1]
	v_bfi_b32 v18, s39, v18, v31
	v_cndmask_b32_e32 v31, v28, v18, vcc
	v_cmp_gt_f32_e32 vcc, 0, v30
	v_cndmask_b32_e32 v18, v18, v31, vcc
	v_cndmask_b32_e64 v31, |v46|, 1.0, s[24:25]
	v_cmp_neq_f32_e32 vcc, v47, v31
	v_cmp_gt_f32_e64 s[2:3], 1.0, v49
	s_xor_b64 s[2:3], vcc, s[2:3]
	v_cndmask_b32_e64 v32, v31, 0, s[2:3]
	v_cmp_eq_f32_e32 vcc, 1.0, v49
	v_cmp_eq_f32_e64 s[2:3], 0, v30
	v_cmp_gt_f32_e64 s[6:7], 0, v47
	v_cndmask_b32_e32 v32, v32, v49, vcc
	v_cmp_eq_f32_e32 vcc, s38, v31
	s_xor_b64 s[6:7], s[6:7], s[2:3]
	v_cndmask_b32_e32 v18, v18, v32, vcc
	v_cmp_eq_f32_e32 vcc, s38, v49
	v_cndmask_b32_e64 v31, v26, 0, s[6:7]
	v_cndmask_b32_e64 v32, 0, v30, s[0:1]
	v_bfi_b32 v31, s39, v31, v32
	s_or_b64 vcc, vcc, s[2:3]
	v_cndmask_b32_e32 v18, v18, v31, vcc
	v_cmp_o_f32_e32 vcc, v30, v47
	v_cndmask_b32_e32 v18, v28, v18, vcc
	v_bfe_u32 v30, v18, 16, 1
	v_add3_u32 v30, v18, v30, s46
	v_lshrrev_b32_e32 v30, 16, v30
	v_cmp_o_f32_e32 vcc, v18, v18
	v_cndmask_b32_e32 v18, v29, v30, vcc
	v_mov_b32_e32 v31, s21
	v_add_co_u32_e32 v30, vcc, s20, v8
	v_addc_co_u32_e32 v31, vcc, v7, v31, vcc
	global_store_short v[30:31], v18, off
	s_branch .LBB82_3
.LBB82_20:
	s_mov_b64 s[0:1], 0
.LBB82_21:
	s_andn2_b64 vcc, exec, s[0:1]
	s_cbranch_vccnz .LBB82_25
; %bb.22:
	v_mov_b32_e32 v3, 0
	v_lshlrev_b32_e32 v2, 2, v0
	s_mov_b32 s0, 0
	v_cmp_gt_i64_e32 vcc, s[52:53], v[2:3]
	s_and_saveexec_b64 s[2:3], vcc
	s_cbranch_execz .LBB82_25
; %bb.23:
	s_load_dword s1, s[4:5], 0xc5c
	v_lshlrev_b32_e32 v1, 3, v0
	v_mov_b32_e32 v2, s21
	v_add_co_u32_e32 v4, vcc, s20, v1
	s_waitcnt lgkmcnt(0)
	s_and_b32 s1, s1, 0xffff
	s_mov_b32 s58, 0x31739010
	v_cmp_eq_f32_e64 s[54:55], s28, 1.0
	v_addc_co_u32_e32 v1, vcc, 0, v2, vcc
	s_lshl_b32 s33, s1, 3
	v_add_lshl_u32 v2, v0, s1, 2
	s_lshl_b32 s62, s1, 2
	s_mov_b64 s[56:57], 0
	v_mov_b32_e32 v0, s49
	v_mov_b32_e32 v5, s28
	s_mov_b32 s63, 0x3f2aaaab
	v_mov_b32_e32 v10, 0x3ecccdef
	s_mov_b32 s49, 0x3f2aaaaa
	s_mov_b32 s59, 0xbf2aaaaa
	;; [unrolled: 1-line block ×3, first 2 shown]
	s_movk_i32 s65, 0x204
	s_mov_b32 s66, 0x7f800000
	s_mov_b32 s67, 0x42b17218
	v_mov_b32_e32 v11, 0x37000000
	s_mov_b32 s68, 0x3fb8aa3b
	s_mov_b32 s69, 0xc2ce8ed0
	v_mov_b32_e32 v12, 0x7f800000
	s_brev_b32 s70, -2
	v_mov_b32_e32 v13, 0x7fc00000
	s_movk_i32 s71, 0x7fff
	v_mov_b32_e32 v14, s51
	v_mov_b32_e32 v15, 0x7fc0
	s_mov_b64 s[60:61], 0xffff
	v_mov_b32_e32 v16, s0
	v_mov_b32_e32 v17, s0
	;; [unrolled: 1-line block ×3, first 2 shown]
.LBB82_24:                              ; =>This Inner Loop Header: Depth=1
	v_add_co_u32_e32 v8, vcc, s48, v4
	v_addc_co_u32_e32 v9, vcc, v0, v1, vcc
	global_load_dwordx2 v[8:9], v[8:9], off
	v_mov_b32_e32 v6, 0x3e91f4c4
	s_waitcnt vmcnt(0)
	v_lshlrev_b32_e32 v19, 16, v8
	v_and_b32_e32 v18, 0xffff0000, v8
	v_cndmask_b32_e64 v21, v19, 1.0, s[54:55]
	v_cndmask_b32_e64 v20, v18, 1.0, s[54:55]
	v_cmp_eq_f32_e64 s[2:3], 0, v21
	v_alignbit_b32 v8, v9, v8, 16
	v_and_b32_e32 v26, 0xffff0000, v9
	v_cndmask_b32_e64 v24, |v5|, 1.0, s[2:3]
	v_cmp_eq_f32_e64 s[0:1], 0, v20
	v_and_b32_e32 v25, 0xffff0000, v8
	v_cndmask_b32_e64 v8, v26, 1.0, s[54:55]
	v_cndmask_b32_e64 v23, |v5|, 1.0, s[0:1]
	v_frexp_mant_f32_e32 v31, v24
	v_mul_f32_e32 v28, 0.5, v21
	v_mul_f32_e32 v30, 0.5, v8
	v_frexp_mant_f32_e32 v33, v23
	v_cmp_gt_f32_e64 s[20:21], s63, v31
	v_trunc_f32_e32 v32, v28
	v_trunc_f32_e32 v37, v30
	v_cndmask_b32_e64 v38, 1.0, 2.0, s[20:21]
	v_cmp_gt_f32_e64 s[18:19], s63, v33
	v_cmp_eq_f32_e32 vcc, 0, v8
	v_cmp_neq_f32_e64 s[10:11], v32, v28
	v_cndmask_b32_e64 v28, 1.0, 2.0, s[18:19]
	v_cmp_neq_f32_e64 s[6:7], v37, v30
	v_mul_f32_e32 v30, v31, v38
	v_cndmask_b32_e64 v9, v25, 1.0, s[54:55]
	v_cndmask_b32_e64 v22, |v5|, 1.0, vcc
	v_mul_f32_e32 v28, v33, v28
	v_add_f32_e32 v37, 1.0, v30
	v_mul_f32_e32 v29, 0.5, v20
	v_cmp_eq_f32_e64 s[12:13], 0, v9
	v_frexp_mant_f32_e32 v36, v22
	v_add_f32_e32 v39, 1.0, v28
	v_rcp_f32_e32 v48, v37
	v_trunc_f32_e32 v34, v29
	v_cndmask_b32_e64 v27, |v5|, 1.0, s[12:13]
	v_mul_f32_e32 v35, 0.5, v9
	v_cmp_gt_f32_e64 s[14:15], s63, v36
	v_rcp_f32_e32 v49, v39
	v_cmp_neq_f32_e64 s[8:9], v34, v29
	v_frexp_mant_f32_e32 v32, v27
	v_trunc_f32_e32 v29, v35
	v_cndmask_b32_e64 v34, 1.0, 2.0, s[14:15]
	v_cmp_gt_f32_e64 s[16:17], s63, v32
	v_cmp_neq_f32_e64 s[4:5], v29, v35
	v_mul_f32_e32 v34, v36, v34
	v_add_f32_e32 v29, -1.0, v30
	v_cndmask_b32_e64 v33, 1.0, 2.0, s[16:17]
	v_add_f32_e32 v31, -1.0, v28
	v_add_f32_e32 v44, 1.0, v34
	v_add_f32_e32 v36, -1.0, v37
	v_mul_f32_e32 v51, v29, v48
	v_mul_f32_e32 v32, v32, v33
	v_add_f32_e32 v38, -1.0, v39
	v_add_f32_e32 v40, -1.0, v44
	v_sub_f32_e32 v30, v30, v36
	v_mul_f32_e32 v52, v31, v49
	v_mul_f32_e32 v36, v37, v51
	v_add_f32_e32 v33, -1.0, v34
	v_add_f32_e32 v45, 1.0, v32
	v_rcp_f32_e32 v54, v44
	v_sub_f32_e32 v43, v28, v38
	v_sub_f32_e32 v34, v34, v40
	v_mul_f32_e32 v38, v39, v52
	v_fma_f32 v40, v51, v37, -v36
	v_add_f32_e32 v28, -1.0, v45
	v_rcp_f32_e32 v50, v45
	v_fmac_f32_e32 v40, v51, v30
	v_fma_f32 v42, v52, v39, -v38
	v_add_f32_e32 v35, -1.0, v32
	v_sub_f32_e32 v32, v32, v28
	v_add_f32_e32 v28, v36, v40
	v_fmac_f32_e32 v42, v52, v43
	v_sub_f32_e32 v37, v29, v28
	v_add_f32_e32 v30, v38, v42
	v_mul_f32_e32 v55, v33, v54
	v_mov_b32_e32 v41, v28
	v_pk_add_f32 v[28:29], v[28:29], v[36:37] neg_lo:[0,1] neg_hi:[0,1]
	v_sub_f32_e32 v39, v31, v30
	v_mul_f32_e32 v53, v35, v50
	v_pk_add_f32 v[28:29], v[28:29], v[40:41] neg_lo:[0,1] neg_hi:[0,1]
	v_mul_f32_e32 v40, v44, v55
	v_mov_b32_e32 v43, v30
	v_pk_add_f32 v[30:31], v[30:31], v[38:39] neg_lo:[0,1] neg_hi:[0,1]
	v_pk_add_f32 v[30:31], v[30:31], v[42:43] neg_lo:[0,1] neg_hi:[0,1]
	v_mul_f32_e32 v42, v45, v53
	v_fma_f32 v44, v55, v44, -v40
	v_fmac_f32_e32 v44, v55, v34
	v_fma_f32 v46, v53, v45, -v42
	v_fmac_f32_e32 v46, v53, v32
	v_add_f32_e32 v32, v40, v44
	v_add_f32_e32 v34, v42, v46
	v_sub_f32_e32 v41, v33, v32
	v_mov_b32_e32 v45, v32
	v_sub_f32_e32 v43, v35, v34
	v_pk_add_f32 v[32:33], v[32:33], v[40:41] neg_lo:[0,1] neg_hi:[0,1]
	v_mov_b32_e32 v47, v34
	v_pk_add_f32 v[34:35], v[34:35], v[42:43] neg_lo:[0,1] neg_hi:[0,1]
	v_pk_add_f32 v[32:33], v[32:33], v[44:45] neg_lo:[0,1] neg_hi:[0,1]
	v_add_f32_e32 v38, v28, v29
	v_add_f32_e32 v30, v30, v31
	v_pk_add_f32 v[28:29], v[34:35], v[46:47] neg_lo:[0,1] neg_hi:[0,1]
	v_add_f32_e32 v31, v32, v33
	v_add_f32_e32 v32, v37, v38
	v_add_f32_e32 v30, v39, v30
	v_add_f32_e32 v28, v28, v29
	v_mul_f32_e32 v29, v48, v32
	v_add_f32_e32 v56, v41, v31
	v_mul_f32_e32 v31, v49, v30
	v_add_f32_e32 v32, v43, v28
	v_add_f32_e32 v28, v51, v29
	;; [unrolled: 1-line block ×3, first 2 shown]
	v_mul_f32_e32 v48, v50, v32
	v_sub_f32_e32 v32, v28, v51
	v_mul_f32_e32 v33, v28, v28
	v_sub_f32_e32 v34, v30, v52
	v_sub_f32_e32 v57, v29, v32
	v_mul_f32_e32 v35, v30, v30
	v_fma_f32 v29, v28, v28, -v33
	v_sub_f32_e32 v60, v31, v34
	v_add_f32_e32 v32, v57, v57
	v_fma_f32 v31, v30, v30, -v35
	v_add_f32_e32 v34, v60, v60
	v_fmac_f32_e32 v29, v28, v32
	v_fmac_f32_e32 v31, v30, v34
	v_add_f32_e32 v32, v33, v29
	v_add_f32_e32 v34, v35, v31
	v_fmac_f32_e32 v6, 0x3e76c4e1, v32
	v_sub_f32_e32 v35, v34, v35
	v_fma_f32 v37, v32, v6, v10
	v_sub_f32_e32 v33, v32, v33
	v_sub_f32_e32 v50, v31, v35
	v_mul_f32_e32 v31, v32, v37
	v_mov_b32_e32 v36, 0x3e91f4c4
	v_sub_f32_e32 v49, v29, v33
	v_fma_f32 v6, v32, v37, -v31
	v_fmac_f32_e32 v36, 0x3e76c4e1, v34
	v_fmac_f32_e32 v6, v49, v37
	v_fma_f32 v29, v34, v36, v10
	v_add_f32_e32 v37, v31, v6
	v_mul_f32_e32 v35, v34, v29
	v_sub_f32_e32 v36, v37, v31
	v_pk_add_f32 v[38:39], v[6:7], v[36:37] neg_lo:[0,1] neg_hi:[0,1]
	v_fma_f32 v6, v34, v29, -v35
	v_pk_add_f32 v[40:41], v[36:37], s[48:49]
	v_fmac_f32_e32 v6, v50, v29
	v_mov_b32_e32 v39, v41
	v_add_f32_e32 v45, v35, v6
	v_pk_add_f32 v[42:43], v[38:39], s[58:59]
	v_sub_f32_e32 v44, v45, v35
	v_sub_f32_e32 v33, v37, v43
	v_mov_b32_e32 v29, v42
	v_pk_add_f32 v[36:37], v[6:7], v[44:45] neg_lo:[0,1] neg_hi:[0,1]
	v_pk_add_f32 v[42:43], v[44:45], s[48:49]
	v_mov_b32_e32 v37, v43
	v_add_f32_e32 v40, v53, v48
	v_pk_add_f32 v[46:47], v[36:37], s[58:59]
	v_sub_f32_e32 v6, v40, v53
	v_sub_f32_e32 v35, v45, v47
	v_mul_f32_e32 v36, v40, v40
	v_sub_f32_e32 v61, v48, v6
	v_pk_mul_f32 v[44:45], v[28:29], v[32:33]
	v_fma_f32 v6, v40, v40, -v36
	v_add_f32_e32 v31, v61, v61
	v_fma_f32 v38, v32, v28, -v44
	v_fmac_f32_e32 v6, v40, v31
	v_fmac_f32_e32 v38, v32, v57
	v_pk_add_f32 v[32:33], v[28:29], v[32:33]
	v_add_f32_e32 v32, v36, v6
	v_sub_f32_e32 v36, v32, v36
	v_sub_f32_e32 v58, v6, v36
	v_mov_b32_e32 v6, 0x3e91f4c4
	v_mov_b32_e32 v45, v33
	v_fmac_f32_e32 v38, v49, v28
	v_fmac_f32_e32 v6, 0x3e76c4e1, v32
	v_mov_b32_e32 v31, v46
	v_pk_add_f32 v[46:47], v[44:45], v[38:39]
	v_fma_f32 v36, v32, v6, v10
	v_sub_f32_e32 v29, v46, v44
	v_mul_f32_e32 v44, v32, v36
	v_fma_f32 v6, v32, v36, -v44
	v_fmac_f32_e32 v6, v58, v36
	v_sub_f32_e32 v36, v41, v47
	v_add_f32_e32 v33, v33, v36
	v_mov_b32_e32 v36, v47
	v_sub_f32_e32 v29, v38, v29
	v_pk_mul_f32 v[38:39], v[46:47], v[36:37]
	v_fma_f32 v42, v46, v47, -v38
	v_fmac_f32_e32 v42, v46, v33
	v_fmac_f32_e32 v42, v29, v47
	v_pk_mul_f32 v[46:47], v[30:31], v[34:35]
	v_fma_f32 v36, v34, v30, -v46
	v_fmac_f32_e32 v36, v34, v60
	v_pk_add_f32 v[34:35], v[30:31], v[34:35]
	v_mov_b32_e32 v47, v35
	v_fmac_f32_e32 v36, v50, v30
	v_pk_add_f32 v[48:49], v[46:47], v[36:37]
	v_sub_f32_e32 v31, v43, v49
	v_mov_b32_e32 v34, v49
	v_sub_f32_e32 v29, v48, v46
	v_add_f32_e32 v31, v35, v31
	v_pk_mul_f32 v[34:35], v[48:49], v[34:35]
	v_add_f32_e32 v45, v44, v6
	v_sub_f32_e32 v29, v36, v29
	v_fma_f32 v36, v48, v49, -v34
	v_sub_f32_e32 v44, v45, v44
	v_fmac_f32_e32 v36, v48, v31
	v_pk_add_f32 v[46:47], v[6:7], v[44:45] neg_lo:[0,1] neg_hi:[0,1]
	v_fmac_f32_e32 v36, v29, v49
	v_pk_add_f32 v[48:49], v[44:45], s[48:49]
	v_mov_b32_e32 v47, v49
	v_pk_add_f32 v[50:51], v[46:47], s[58:59]
	v_sub_f32_e32 v33, v45, v51
	v_cvt_f64_f32_e32 v[44:45], v24
	v_frexp_exp_i32_f64_e32 v6, v[44:45]
	v_subbrev_co_u32_e64 v6, s[20:21], 0, v6, s[20:21]
	v_cvt_f32_i32_e32 v6, v6
	v_ldexp_f32 v29, v28, 1
	v_add_f32_e32 v45, v38, v42
	v_mov_b32_e32 v41, v50
	v_mul_f32_e32 v44, 0x3f317218, v6
	v_fma_f32 v28, v6, s64, -v44
	v_fmac_f32_e32 v28, 0xb102e308, v6
	v_pk_add_f32 v[50:51], v[44:45], v[28:29]
	v_mov_b32_e32 v39, v29
	v_mov_b32_e32 v52, v45
	;; [unrolled: 1-line block ×3, first 2 shown]
	v_pk_add_f32 v[38:39], v[52:53], v[38:39] neg_lo:[0,1] neg_hi:[0,1]
	v_mov_b32_e32 v43, v45
	v_pk_add_f32 v[38:39], v[42:43], v[38:39] neg_lo:[0,1] neg_hi:[0,1]
	v_pk_mul_f32 v[42:43], v[40:41], v[32:33]
	v_fma_f32 v46, v32, v40, -v42
	v_mul_f32_e32 v6, v54, v56
	v_fmac_f32_e32 v46, v32, v61
	v_pk_add_f32 v[32:33], v[40:41], v[32:33]
	v_add_f32_e32 v32, v55, v6
	v_sub_f32_e32 v31, v32, v55
	v_sub_f32_e32 v62, v6, v31
	v_mul_f32_e32 v6, v32, v32
	v_mov_b32_e32 v43, v33
	v_fmac_f32_e32 v46, v58, v40
	v_fma_f32 v31, v32, v32, -v6
	v_add_f32_e32 v35, v62, v62
	v_pk_add_f32 v[52:53], v[42:43], v[46:47]
	v_fmac_f32_e32 v31, v32, v35
	v_sub_f32_e32 v29, v52, v42
	v_add_f32_e32 v42, v6, v31
	v_sub_f32_e32 v6, v42, v6
	v_sub_f32_e32 v41, v31, v6
	v_mov_b32_e32 v6, 0x3e91f4c4
	v_fmac_f32_e32 v6, 0x3e76c4e1, v42
	v_sub_f32_e32 v35, v49, v53
	v_fma_f32 v31, v42, v6, v10
	v_add_f32_e32 v33, v33, v35
	v_mul_f32_e32 v35, v42, v31
	v_fma_f32 v6, v42, v31, -v35
	v_fmac_f32_e32 v6, v41, v31
	v_ldexp_f32 v31, v57, 1
	v_add_f32_e32 v31, v31, v38
	v_mov_b32_e32 v38, v53
	v_add_f32_e32 v45, v31, v39
	v_pk_mul_f32 v[38:39], v[52:53], v[38:39]
	v_sub_f32_e32 v29, v46, v29
	v_fma_f32 v46, v52, v53, -v38
	v_add_f32_e32 v49, v35, v6
	v_fmac_f32_e32 v46, v52, v33
	v_sub_f32_e32 v48, v49, v35
	v_fmac_f32_e32 v46, v29, v53
	v_pk_add_f32 v[52:53], v[6:7], v[48:49] neg_lo:[0,1] neg_hi:[0,1]
	v_pk_add_f32 v[54:55], v[48:49], s[48:49]
	v_mov_b32_e32 v53, v55
	v_pk_add_f32 v[56:57], v[52:53], s[58:59]
	v_sub_f32_e32 v43, v49, v57
	v_cvt_f64_f32_e32 v[48:49], v23
	v_frexp_exp_i32_f64_e32 v6, v[48:49]
	v_subbrev_co_u32_e64 v6, s[18:19], 0, v6, s[18:19]
	v_cvt_f32_i32_e32 v6, v6
	v_ldexp_f32 v31, v30, 1
	v_add_f32_e32 v49, v34, v36
	v_mov_b32_e32 v33, v56
	v_mul_f32_e32 v48, 0x3f317218, v6
	v_fma_f32 v30, v6, s64, -v48
	v_fmac_f32_e32 v30, 0xb102e308, v6
	v_pk_add_f32 v[56:57], v[48:49], v[30:31]
	v_mov_b32_e32 v35, v31
	v_mov_b32_e32 v58, v49
	v_mov_b32_e32 v59, v57
	v_pk_add_f32 v[34:35], v[58:59], v[34:35] neg_lo:[0,1] neg_hi:[0,1]
	v_mov_b32_e32 v37, v49
	v_pk_add_f32 v[34:35], v[36:37], v[34:35] neg_lo:[0,1] neg_hi:[0,1]
	v_pk_mul_f32 v[36:37], v[32:33], v[42:43]
	v_fma_f32 v52, v42, v32, -v36
	v_fmac_f32_e32 v52, v42, v62
	v_pk_add_f32 v[42:43], v[32:33], v[42:43]
	v_fmac_f32_e32 v52, v41, v32
	v_mov_b32_e32 v37, v43
	v_pk_add_f32 v[58:59], v[36:37], v[52:53]
	v_sub_f32_e32 v6, v58, v36
	v_sub_f32_e32 v29, v52, v6
	;; [unrolled: 1-line block ×3, first 2 shown]
	v_add_f32_e32 v31, v43, v6
	v_ldexp_f32 v6, v60, 1
	v_cvt_f64_f32_e32 v[36:37], v27
	v_add_f32_e32 v6, v6, v34
	v_frexp_exp_i32_f64_e32 v33, v[36:37]
	v_add_f32_e32 v49, v6, v35
	v_mov_b32_e32 v6, v59
	v_pk_mul_f32 v[34:35], v[58:59], v[6:7]
	v_subbrev_co_u32_e64 v6, s[16:17], 0, v33, s[16:17]
	v_cvt_f32_i32_e32 v6, v6
	v_ldexp_f32 v53, v40, 1
	v_add_f32_e32 v43, v38, v46
	v_mov_b32_e32 v39, v53
	v_mul_f32_e32 v42, 0x3f317218, v6
	v_fma_f32 v52, v6, s64, -v42
	v_fmac_f32_e32 v52, 0xb102e308, v6
	v_pk_add_f32 v[40:41], v[42:43], v[52:53]
	v_mov_b32_e32 v54, v43
	v_mov_b32_e32 v55, v41
	v_pk_add_f32 v[38:39], v[54:55], v[38:39] neg_lo:[0,1] neg_hi:[0,1]
	v_mov_b32_e32 v47, v43
	v_pk_add_f32 v[38:39], v[46:47], v[38:39] neg_lo:[0,1] neg_hi:[0,1]
	v_cvt_f64_f32_e32 v[46:47], v22
	v_frexp_exp_i32_f64_e32 v6, v[46:47]
	v_subbrev_co_u32_e64 v6, s[14:15], 0, v6, s[14:15]
	v_cvt_f32_i32_e32 v6, v6
	v_fma_f32 v36, v58, v59, -v34
	v_fmac_f32_e32 v36, v58, v31
	v_ldexp_f32 v33, v32, 1
	v_mul_f32_e32 v46, 0x3f317218, v6
	v_fma_f32 v32, v6, s64, -v46
	v_fmac_f32_e32 v36, v29, v59
	v_fmac_f32_e32 v32, 0xb102e308, v6
	v_ldexp_f32 v6, v61, 1
	v_add_f32_e32 v47, v34, v36
	v_add_f32_e32 v6, v6, v38
	;; [unrolled: 1-line block ×3, first 2 shown]
	v_pk_add_f32 v[38:39], v[46:47], v[32:33]
	v_mov_b32_e32 v35, v33
	v_mov_b32_e32 v54, v47
	;; [unrolled: 1-line block ×3, first 2 shown]
	v_pk_add_f32 v[34:35], v[54:55], v[34:35] neg_lo:[0,1] neg_hi:[0,1]
	v_mov_b32_e32 v37, v47
	v_ldexp_f32 v6, v62, 1
	v_pk_add_f32 v[34:35], v[36:37], v[34:35] neg_lo:[0,1] neg_hi:[0,1]
	v_add_f32_e32 v6, v6, v34
	v_mov_b32_e32 v29, v50
	v_add_f32_e32 v47, v6, v35
	v_pk_add_f32 v[34:35], v[50:51], v[44:45] neg_lo:[0,1] neg_hi:[0,1]
	v_pk_add_f32 v[36:37], v[50:51], v[44:45]
	v_pk_add_f32 v[54:55], v[28:29], v[34:35] neg_lo:[0,1] neg_hi:[0,1]
	v_mov_b32_e32 v35, v37
	v_pk_add_f32 v[34:35], v[28:29], v[34:35]
	v_mov_b32_e32 v6, v35
	v_mov_b32_e32 v44, v51
	v_pk_add_f32 v[50:51], v[6:7], v[50:51] neg_lo:[0,1] neg_hi:[0,1]
	v_mov_b32_e32 v28, v45
	v_mov_b32_e32 v34, v37
	;; [unrolled: 1-line block ×5, first 2 shown]
	v_pk_add_f32 v[34:35], v[34:35], v[44:45] neg_lo:[0,1] neg_hi:[0,1]
	v_pk_add_f32 v[44:45], v[56:57], v[48:49] neg_lo:[0,1] neg_hi:[0,1]
	v_pk_add_f32 v[50:51], v[56:57], v[48:49]
	v_pk_add_f32 v[36:37], v[36:37], v[30:31] neg_lo:[0,1] neg_hi:[0,1]
	v_pk_add_f32 v[30:31], v[30:31], v[44:45] neg_lo:[0,1] neg_hi:[0,1]
	v_mov_b32_e32 v45, v51
	v_mov_b32_e32 v59, v56
	v_pk_add_f32 v[44:45], v[58:59], v[44:45]
	v_mov_b32_e32 v48, v45
	v_pk_add_f32 v[28:29], v[28:29], v[34:35] neg_lo:[0,1] neg_hi:[0,1]
	v_mov_b32_e32 v34, v57
	v_pk_add_f32 v[56:57], v[48:49], v[56:57] neg_lo:[0,1] neg_hi:[0,1]
	v_mov_b32_e32 v44, v51
	v_mov_b32_e32 v35, v56
	;; [unrolled: 1-line block ×4, first 2 shown]
	v_pk_add_f32 v[50:51], v[50:51], v[30:31] neg_lo:[0,1] neg_hi:[0,1]
	v_mov_b32_e32 v31, v45
	v_pk_add_f32 v[34:35], v[44:45], v[34:35] neg_lo:[0,1] neg_hi:[0,1]
	v_pk_add_f32 v[44:45], v[40:41], v[42:43] neg_lo:[0,1] neg_hi:[0,1]
	v_pk_add_f32 v[56:57], v[40:41], v[42:43]
	v_pk_add_f32 v[36:37], v[36:37], v[28:29]
	v_pk_add_f32 v[52:53], v[52:53], v[44:45] neg_lo:[0,1] neg_hi:[0,1]
	v_mov_b32_e32 v45, v57
	v_mov_b32_e32 v61, v40
	;; [unrolled: 1-line block ×3, first 2 shown]
	v_pk_add_f32 v[44:45], v[60:61], v[44:45]
	v_mov_b32_e32 v60, v43
	v_pk_add_f32 v[42:43], v[36:37], v[42:43]
	v_pk_add_f32 v[62:63], v[6:7], v[42:43]
	v_mov_b32_e32 v37, v62
	v_mov_b32_e32 v29, v42
	v_pk_add_f32 v[42:43], v[36:37], v[54:55] neg_lo:[0,1] neg_hi:[0,1]
	v_mov_b32_e32 v6, v45
	v_mov_b32_e32 v58, v49
	v_sub_f32_e32 v49, v36, v42
	v_mov_b32_e32 v36, v41
	v_pk_add_f32 v[40:41], v[6:7], v[40:41] neg_lo:[0,1] neg_hi:[0,1]
	v_mov_b32_e32 v44, v57
	v_mov_b32_e32 v37, v40
	v_pk_add_f32 v[28:29], v[28:29], v[42:43] neg_lo:[0,1] neg_hi:[0,1]
	v_mov_b32_e32 v33, v40
	v_mov_b32_e32 v53, v45
	v_pk_add_f32 v[36:37], v[44:45], v[36:37] neg_lo:[0,1] neg_hi:[0,1]
	v_pk_add_f32 v[42:43], v[38:39], v[46:47] neg_lo:[0,1] neg_hi:[0,1]
	v_pk_add_f32 v[44:45], v[38:39], v[46:47]
	v_pk_add_f32 v[34:35], v[58:59], v[34:35] neg_lo:[0,1] neg_hi:[0,1]
	v_pk_add_f32 v[40:41], v[56:57], v[32:33] neg_lo:[0,1] neg_hi:[0,1]
	;; [unrolled: 1-line block ×3, first 2 shown]
	v_mov_b32_e32 v43, v45
	v_mov_b32_e32 v57, v38
	;; [unrolled: 1-line block ×3, first 2 shown]
	v_pk_add_f32 v[42:43], v[56:57], v[42:43]
	v_mov_b32_e32 v56, v47
	v_pk_add_f32 v[46:47], v[50:51], v[34:35]
	v_mov_b32_e32 v40, v47
	v_pk_add_f32 v[50:51], v[46:47], v[40:41]
	v_sub_f32_e32 v33, v54, v49
	v_pk_add_f32 v[48:49], v[48:49], v[50:51]
	v_add_f32_e32 v28, v28, v33
	v_mov_b32_e32 v47, v48
	v_add_f32_e32 v49, v28, v29
	v_pk_add_f32 v[28:29], v[46:47], v[30:31] neg_lo:[0,1] neg_hi:[0,1]
	v_mov_b32_e32 v35, v50
	v_sub_f32_e32 v47, v46, v28
	v_mov_b32_e32 v46, v43
	v_pk_add_f32 v[28:29], v[34:35], v[28:29] neg_lo:[0,1] neg_hi:[0,1]
	v_mov_b32_e32 v34, v39
	v_pk_add_f32 v[38:39], v[46:47], v[38:39] neg_lo:[0,1] neg_hi:[0,1]
	v_pk_add_f32 v[36:37], v[60:61], v[36:37] neg_lo:[0,1] neg_hi:[0,1]
	v_mov_b32_e32 v42, v45
	v_mov_b32_e32 v35, v38
	;; [unrolled: 1-line block ×4, first 2 shown]
	v_pk_add_f32 v[38:39], v[44:45], v[30:31] neg_lo:[0,1] neg_hi:[0,1]
	v_cndmask_b32_e64 v44, |v19|, 1.0, s[54:55]
	v_cndmask_b32_e64 v45, |v18|, 1.0, s[54:55]
	v_pk_add_f32 v[18:19], v[42:43], v[34:35] neg_lo:[0,1] neg_hi:[0,1]
	v_pk_add_f32 v[34:35], v[40:41], v[36:37]
	v_cndmask_b32_e64 v50, |v26|, 1.0, s[54:55]
	v_mov_b32_e32 v26, v35
	v_mov_b32_e32 v33, v43
	v_cmp_neq_f32_e64 s[16:17], v21, v44
	v_cndmask_b32_e64 v43, |v25|, 1.0, s[54:55]
	v_sub_f32_e32 v25, v30, v47
	v_pk_add_f32 v[30:31], v[34:35], v[26:27]
	v_cndmask_b32_e64 v26, v5, 1.0, s[2:3]
	v_cmp_gt_f32_e64 s[2:3], 1.0, v24
	v_cmp_neq_f32_e64 s[20:21], v20, v45
	v_pk_add_f32 v[40:41], v[6:7], v[30:31]
	v_trunc_f32_e32 v6, v8
	v_cmp_gt_f32_e64 s[38:39], 1.0, v23
	s_xor_b64 s[2:3], s[16:17], s[2:3]
	v_cndmask_b32_e64 v41, v5, 1.0, s[0:1]
	v_cmp_eq_f32_e64 s[0:1], v6, v8
	v_cndmask_b32_e64 v6, v44, 0, s[2:3]
	s_xor_b64 s[2:3], s[20:21], s[38:39]
	v_trunc_f32_e32 v38, v21
	v_cndmask_b32_e64 v31, v45, 0, s[2:3]
	v_cmp_eq_f32_e64 s[2:3], 1.0, v24
	v_mov_b32_e32 v35, v40
	v_cmp_gt_f32_e64 s[28:29], 0, v21
	v_trunc_f32_e32 v42, v20
	v_cmp_eq_f32_e64 s[24:25], v38, v21
	v_cmp_eq_f32_e64 s[22:23], s66, v24
	v_pk_add_f32 v[18:19], v[56:57], v[18:19] neg_lo:[0,1] neg_hi:[0,1]
	v_cmp_eq_f32_e64 s[26:27], 0, v26
	v_cndmask_b32_e64 v51, v6, v24, s[2:3]
	v_add_f32_e32 v6, v28, v25
	v_pk_add_f32 v[24:25], v[34:35], v[52:53] neg_lo:[0,1] neg_hi:[0,1]
	v_mov_b32_e32 v38, v32
	v_cmp_gt_f32_e64 s[30:31], 0, v20
	v_mov_b32_e32 v37, v30
	v_cmp_neq_f32_e64 s[34:35], v8, v50
	v_cmp_eq_f32_e64 s[18:19], v42, v20
	v_cndmask_b32_e64 v42, v5, 1.0, vcc
	v_cmp_gt_f32_e64 s[44:45], 1.0, v22
	v_cmp_eq_f32_e64 s[20:21], 0, v41
	v_add_f32_e32 v55, v6, v29
	v_sub_f32_e32 v6, v34, v24
	s_xor_b64 s[28:29], s[28:29], s[26:27]
	v_pk_add_f32 v[28:29], v[38:39], v[18:19]
	v_cmp_gt_f32_e64 s[36:37], 0, v8
	v_trunc_f32_e32 v30, v9
	v_cmp_neq_f32_e64 s[40:41], v9, v43
	v_cmp_eq_f32_e64 s[38:39], 1.0, v23
	v_cmp_gt_f32_e64 s[46:47], 1.0, v27
	s_xor_b64 s[34:35], s[34:35], s[44:45]
	v_cmp_eq_f32_e64 s[2:3], 0, v42
	v_pk_add_f32 v[24:25], v[36:37], v[24:25] neg_lo:[0,1] neg_hi:[0,1]
	v_cndmask_b32_e64 v36, v12, 0, s[28:29]
	s_and_b64 s[28:29], s[18:19], s[8:9]
	s_xor_b64 s[8:9], s[30:31], s[20:21]
	v_sub_f32_e32 v38, v52, v6
	v_mov_b32_e32 v6, v29
	v_cmp_eq_f32_e64 s[14:15], s66, v23
	v_cmp_eq_f32_e64 s[16:17], v30, v9
	v_cndmask_b32_e64 v47, v5, 1.0, s[12:13]
	v_cndmask_b32_e64 v54, v50, 0, s[34:35]
	v_cmp_eq_f32_e64 s[34:35], 1.0, v22
	v_cndmask_b32_e64 v56, v31, v23, s[38:39]
	v_cndmask_b32_e64 v23, v12, 0, s[8:9]
	s_xor_b64 s[8:9], s[40:41], s[46:47]
	v_pk_add_f32 v[30:31], v[28:29], v[6:7]
	s_xor_b64 s[30:31], s[36:37], s[2:3]
	v_cmp_gt_f32_e64 s[42:43], 0, v9
	v_cmp_eq_f32_e32 vcc, s66, v22
	s_and_b64 s[10:11], s[24:25], s[10:11]
	v_pk_add_f32 v[34:35], v[46:47], v[30:31]
	v_cndmask_b32_e64 v6, v43, 0, s[8:9]
	v_cmp_eq_f32_e64 s[8:9], 0, v47
	s_and_b64 s[6:7], s[0:1], s[6:7]
	v_cndmask_b32_e64 v31, v54, v22, s[34:35]
	v_cndmask_b32_e64 v22, v12, 0, s[30:31]
	v_cmp_eq_f32_e64 s[30:31], 1.0, v27
	v_cndmask_b32_e64 v29, 0, v41, s[28:29]
	v_cmp_eq_f32_e64 s[12:13], s66, v27
	v_mov_b32_e32 v19, v30
	v_cndmask_b32_e64 v30, 1.0, v42, s[6:7]
	v_cndmask_b32_e64 v6, v6, v27, s[30:31]
	v_cndmask_b32_e64 v27, 0, v26, s[10:11]
	v_bfi_b32 v35, s70, v23, v29
	v_cndmask_b32_e64 v23, 0, v42, s[6:7]
	s_and_b64 s[4:5], s[16:17], s[4:5]
	s_xor_b64 s[6:7], s[42:43], s[8:9]
	v_bfi_b32 v27, s70, v36, v27
	v_bfi_b32 v36, s70, v22, v23
	v_cndmask_b32_e64 v22, v12, 0, s[6:7]
	v_cndmask_b32_e64 v23, 0, v47, s[4:5]
	v_bfi_b32 v46, s70, v22, v23
	v_add_f32_e32 v22, v62, v49
	v_sub_f32_e32 v23, v22, v62
	v_mul_f32_e32 v29, v21, v22
	v_sub_f32_e32 v23, v49, v23
	v_fma_f32 v22, v21, v22, -v29
	v_fmac_f32_e32 v22, v21, v23
	v_cndmask_b32_e64 v39, 1.0, v47, s[4:5]
	v_add_f32_e32 v23, v29, v22
	v_cmp_class_f32_e64 s[4:5], v29, s65
	v_sub_f32_e32 v49, v23, v29
	v_cndmask_b32_e64 v23, v23, v29, s[4:5]
	v_add_f32_e32 v29, v48, v55
	v_sub_f32_e32 v48, v29, v48
	v_sub_f32_e32 v22, v22, v49
	v_mul_f32_e32 v49, v20, v29
	v_sub_f32_e32 v48, v55, v48
	v_fma_f32 v52, v20, v29, -v49
	v_cmp_eq_f32_e64 s[4:5], s67, v23
	v_fmac_f32_e32 v52, v20, v48
	v_cndmask_b32_e64 v48, 0, v11, s[4:5]
	v_add_f32_e32 v24, v24, v38
	v_cmp_neq_f32_e64 s[4:5], |v23|, s66
	v_mov_b32_e32 v29, v34
	v_cndmask_b32_e64 v38, 0, v22, s[4:5]
	v_add_f32_e32 v55, v24, v25
	v_add_co_u32_e64 v24, s[4:5], s50, v4
	v_sub_f32_e32 v54, v23, v48
	v_pk_add_f32 v[22:23], v[28:29], v[32:33] neg_lo:[0,1] neg_hi:[0,1]
	v_addc_co_u32_e64 v25, s[4:5], v14, v1, s[4:5]
	v_sub_f32_e32 v28, v28, v22
	v_cmp_le_i64_e64 s[4:5], s[52:53], v[2:3]
	v_cmp_lt_u64_e64 s[6:7], s[60:61], v[2:3]
	v_cndmask_b32_e64 v37, 1.0, v41, s[28:29]
	s_or_b64 s[28:29], s[4:5], s[6:7]
	v_pk_add_f32 v[18:19], v[18:19], v[22:23] neg_lo:[0,1] neg_hi:[0,1]
	v_mul_f32_e32 v22, 0x3fb8aa3b, v54
	v_add_f32_e32 v23, v49, v52
	v_sub_f32_e32 v28, v32, v28
	v_add_f32_e32 v32, v40, v55
	v_cmp_class_f32_e64 s[4:5], v49, s65
	v_add_f32_e32 v29, v48, v38
	v_sub_f32_e32 v33, v23, v49
	v_cndmask_b32_e64 v23, v23, v49, s[4:5]
	v_fma_f32 v38, v54, s68, -v22
	v_sub_f32_e32 v40, v32, v40
	v_rndne_f32_e32 v48, v22
	v_mul_f32_e32 v49, v9, v32
	v_fmac_f32_e32 v38, 0x32a5705f, v54
	v_sub_f32_e32 v22, v22, v48
	v_sub_f32_e32 v40, v55, v40
	v_cmp_eq_f32_e64 s[4:5], s67, v23
	v_fma_f32 v32, v9, v32, -v49
	v_add_f32_e32 v18, v18, v28
	v_sub_f32_e32 v33, v52, v33
	v_cndmask_b32_e64 v52, 0, v11, s[4:5]
	v_cmp_neq_f32_e64 s[4:5], |v23|, s66
	v_add_f32_e32 v22, v22, v38
	v_fmac_f32_e32 v32, v9, v40
	v_add_f32_e32 v18, v18, v19
	v_cvt_i32_f32_e32 v48, v48
	v_cndmask_b32_e64 v28, 0, v33, s[4:5]
	v_sub_f32_e32 v23, v23, v52
	v_exp_f32_e32 v19, v22
	v_add_f32_e32 v33, v49, v32
	v_add_f32_e32 v38, v34, v18
	v_cmp_class_f32_e64 s[4:5], v49, s65
	v_add_f32_e32 v22, v52, v28
	v_mul_f32_e32 v28, 0x3fb8aa3b, v23
	v_sub_f32_e32 v52, v33, v49
	v_cndmask_b32_e64 v33, v33, v49, s[4:5]
	v_sub_f32_e32 v34, v38, v34
	v_mul_f32_e32 v55, v8, v38
	v_fma_f32 v40, v23, s68, -v28
	v_rndne_f32_e32 v49, v28
	v_cmp_eq_f32_e64 s[4:5], s67, v33
	v_sub_f32_e32 v18, v18, v34
	v_fma_f32 v34, v8, v38, -v55
	v_fmac_f32_e32 v40, 0x32a5705f, v23
	v_sub_f32_e32 v28, v28, v49
	v_sub_f32_e32 v32, v32, v52
	v_cndmask_b32_e64 v52, 0, v11, s[4:5]
	v_cmp_neq_f32_e64 s[4:5], |v33|, s66
	v_fmac_f32_e32 v34, v8, v18
	v_add_f32_e32 v28, v28, v40
	v_cndmask_b32_e64 v32, 0, v32, s[4:5]
	v_sub_f32_e32 v33, v33, v52
	v_ldexp_f32 v18, v19, v48
	v_add_f32_e32 v38, v55, v34
	v_cmp_class_f32_e64 s[4:5], v55, s65
	v_cmp_ngt_f32_e64 s[6:7], s69, v54
	v_cvt_i32_f32_e32 v49, v49
	v_exp_f32_e32 v19, v28
	v_add_f32_e32 v28, v52, v32
	v_mul_f32_e32 v32, 0x3fb8aa3b, v33
	v_cndmask_b32_e64 v18, 0, v18, s[6:7]
	v_sub_f32_e32 v52, v38, v55
	v_cndmask_b32_e64 v38, v38, v55, s[4:5]
	v_cmp_nlt_f32_e64 s[4:5], s67, v54
	v_fma_f32 v40, v33, s68, -v32
	v_rndne_f32_e32 v48, v32
	v_cndmask_b32_e64 v18, v12, v18, s[4:5]
	v_cmp_eq_f32_e64 s[4:5], s67, v38
	v_fmac_f32_e32 v40, 0x32a5705f, v33
	v_sub_f32_e32 v32, v32, v48
	v_sub_f32_e32 v34, v34, v52
	v_cndmask_b32_e64 v52, 0, v11, s[4:5]
	v_cmp_neq_f32_e64 s[4:5], |v38|, s66
	v_fma_f32 v29, v18, v29, v18
	v_add_f32_e32 v32, v32, v40
	v_cndmask_b32_e64 v34, 0, v34, s[4:5]
	v_sub_f32_e32 v38, v38, v52
	v_cmp_class_f32_e64 s[4:5], v18, s65
	v_cndmask_b32_e64 v53, 1.0, v26, s[10:11]
	v_cvt_i32_f32_e32 v48, v48
	v_cndmask_b32_e64 v18, v29, v18, s[4:5]
	v_ldexp_f32 v19, v19, v49
	v_exp_f32_e32 v29, v32
	v_add_f32_e32 v32, v52, v34
	v_mul_f32_e32 v34, 0x3fb8aa3b, v38
	v_cmp_ngt_f32_e64 s[4:5], s69, v23
	v_bfi_b32 v18, s70, v18, v53
	v_cndmask_b32_e64 v19, 0, v19, s[4:5]
	v_cmp_nlt_f32_e64 s[4:5], s67, v23
	v_fma_f32 v23, v38, s68, -v34
	v_rndne_f32_e32 v40, v34
	v_cndmask_b32_e64 v49, v13, v18, s[24:25]
	v_cndmask_b32_e64 v19, v12, v19, s[4:5]
	v_fmac_f32_e32 v23, 0x32a5705f, v38
	v_sub_f32_e32 v34, v34, v40
	v_cmp_gt_f32_e64 s[4:5], 0, v26
	v_cndmask_b32_e64 v18, v18, v49, s[4:5]
	v_fma_f32 v22, v19, v22, v19
	v_cmp_class_f32_e64 s[4:5], v19, s65
	v_add_f32_e32 v23, v34, v23
	v_cvt_i32_f32_e32 v40, v40
	v_cmp_eq_f32_e64 s[6:7], s66, v44
	v_cndmask_b32_e64 v19, v22, v19, s[4:5]
	v_ldexp_f32 v22, v29, v48
	v_cmp_ngt_f32_e64 s[4:5], s69, v33
	v_exp_f32_e32 v23, v23
	v_add_co_u32_e64 v4, s[10:11], s33, v4
	v_cndmask_b32_e64 v18, v18, v51, s[6:7]
	s_or_b64 s[6:7], s[22:23], s[26:27]
	v_bfi_b32 v19, s70, v19, v37
	v_cndmask_b32_e64 v22, 0, v22, s[4:5]
	v_cmp_nlt_f32_e64 s[4:5], s67, v33
	v_addc_co_u32_e64 v1, s[10:11], v1, v16, s[10:11]
	v_cndmask_b32_e64 v18, v18, v27, s[6:7]
	v_cmp_o_f32_e64 s[6:7], v26, v21
	v_cndmask_b32_e64 v21, v13, v19, s[18:19]
	v_cndmask_b32_e64 v22, v12, v22, s[4:5]
	v_cmp_gt_f32_e64 s[4:5], 0, v41
	v_add_co_u32_e64 v2, s[10:11], s62, v2
	v_cndmask_b32_e64 v18, v13, v18, s[6:7]
	v_cndmask_b32_e64 v19, v19, v21, s[4:5]
	v_fma_f32 v21, v22, v28, v22
	v_cmp_class_f32_e64 s[4:5], v22, s65
	v_cmp_eq_f32_e64 s[6:7], s66, v45
	v_addc_co_u32_e64 v3, s[10:11], v3, v17, s[10:11]
	v_bfe_u32 v26, v18, 16, 1
	v_cndmask_b32_e64 v19, v19, v56, s[6:7]
	v_cndmask_b32_e64 v21, v21, v22, s[4:5]
	v_ldexp_f32 v22, v23, v40
	v_cmp_ngt_f32_e64 s[4:5], s69, v38
	s_or_b64 s[6:7], s[14:15], s[20:21]
	v_add3_u32 v26, v18, v26, s71
	v_cndmask_b32_e64 v19, v19, v35, s[6:7]
	v_bfi_b32 v21, s70, v21, v39
	v_cndmask_b32_e64 v22, 0, v22, s[4:5]
	v_cmp_nlt_f32_e64 s[4:5], s67, v38
	v_cmp_o_f32_e64 s[10:11], v41, v20
	v_lshrrev_b32_e32 v23, 16, v26
	v_cmp_o_f32_e64 s[6:7], v18, v18
	v_cndmask_b32_e64 v18, v13, v19, s[10:11]
	v_cndmask_b32_e64 v19, v13, v21, s[16:17]
	;; [unrolled: 1-line block ×3, first 2 shown]
	v_cmp_gt_f32_e64 s[4:5], 0, v47
	v_cndmask_b32_e64 v22, v15, v23, s[6:7]
	v_cndmask_b32_e64 v19, v21, v19, s[4:5]
	v_fma_f32 v21, v20, v32, v20
	v_cmp_class_f32_e64 s[4:5], v20, s65
	v_cmp_eq_f32_e64 s[6:7], s66, v43
	v_cndmask_b32_e64 v6, v19, v6, s[6:7]
	v_cndmask_b32_e64 v19, v21, v20, s[4:5]
	v_bfi_b32 v19, s70, v19, v30
	v_bfe_u32 v23, v18, 16, 1
	s_or_b64 s[4:5], s[12:13], s[8:9]
	v_cmp_o_f32_e64 s[6:7], v47, v9
	v_cndmask_b32_e64 v9, v13, v19, s[0:1]
	v_cmp_gt_f32_e64 s[0:1], 0, v42
	v_add3_u32 v23, v18, v23, s71
	v_cndmask_b32_e64 v6, v6, v46, s[4:5]
	v_cndmask_b32_e64 v9, v19, v9, s[0:1]
	v_cmp_eq_f32_e64 s[0:1], s66, v50
	v_and_b32_e32 v20, 0xffff0000, v23
	v_cmp_o_f32_e64 s[4:5], v18, v18
	v_cndmask_b32_e64 v6, v13, v6, s[6:7]
	v_cndmask_b32_e64 v9, v9, v31, s[0:1]
	s_or_b64 vcc, vcc, s[2:3]
	v_cndmask_b32_e64 v18, v13, v20, s[4:5]
	v_bfe_u32 v20, v6, 16, 1
	v_cndmask_b32_e32 v9, v9, v36, vcc
	v_cmp_o_f32_e64 s[0:1], v42, v8
	v_add3_u32 v19, v6, v20, s71
	v_cmp_o_f32_e32 vcc, v6, v6
	v_cndmask_b32_e64 v6, v13, v9, s[0:1]
	v_bfe_u32 v9, v6, 16, 1
	v_lshrrev_b32_e32 v19, 16, v19
	v_add3_u32 v9, v6, v9, s71
	v_cndmask_b32_e32 v8, v15, v19, vcc
	v_and_b32_e32 v9, 0xffff0000, v9
	v_cmp_o_f32_e32 vcc, v6, v6
	v_or_b32_e32 v18, v22, v18
	s_and_b64 s[2:3], exec, s[28:29]
	v_cndmask_b32_e32 v6, v13, v9, vcc
	v_or3_b32 v18, v18, 0, 0
	s_or_b64 s[56:57], s[2:3], s[56:57]
	v_or3_b32 v19, 0, v8, v6
	global_store_dwordx2 v[24:25], v[18:19], off
	s_andn2_b64 exec, exec, s[56:57]
	s_cbranch_execnz .LBB82_24
.LBB82_25:
	s_endpgm
	.section	.rodata,"a",@progbits
	.p2align	6, 0x0
	.amdhsa_kernel _ZN2at6native12_GLOBAL__N_125multi_tensor_apply_kernelINS1_18TensorListMetadataILi2EEENS1_21BinaryOpScalarFunctorIN3c108BFloat16ELi2ELi1ELi1EEEJNS1_21reverse_power_functorIfEEfEEEvT_T0_DpT1_
		.amdhsa_group_segment_fixed_size 0
		.amdhsa_private_segment_fixed_size 0
		.amdhsa_kernarg_size 3408
		.amdhsa_user_sgpr_count 6
		.amdhsa_user_sgpr_private_segment_buffer 1
		.amdhsa_user_sgpr_dispatch_ptr 0
		.amdhsa_user_sgpr_queue_ptr 0
		.amdhsa_user_sgpr_kernarg_segment_ptr 1
		.amdhsa_user_sgpr_dispatch_id 0
		.amdhsa_user_sgpr_flat_scratch_init 0
		.amdhsa_user_sgpr_kernarg_preload_length 0
		.amdhsa_user_sgpr_kernarg_preload_offset 0
		.amdhsa_user_sgpr_private_segment_size 0
		.amdhsa_uses_dynamic_stack 0
		.amdhsa_system_sgpr_private_segment_wavefront_offset 0
		.amdhsa_system_sgpr_workgroup_id_x 1
		.amdhsa_system_sgpr_workgroup_id_y 0
		.amdhsa_system_sgpr_workgroup_id_z 0
		.amdhsa_system_sgpr_workgroup_info 0
		.amdhsa_system_vgpr_workitem_id 0
		.amdhsa_next_free_vgpr 64
		.amdhsa_next_free_sgpr 72
		.amdhsa_accum_offset 64
		.amdhsa_reserve_vcc 1
		.amdhsa_reserve_flat_scratch 0
		.amdhsa_float_round_mode_32 0
		.amdhsa_float_round_mode_16_64 0
		.amdhsa_float_denorm_mode_32 3
		.amdhsa_float_denorm_mode_16_64 3
		.amdhsa_dx10_clamp 1
		.amdhsa_ieee_mode 1
		.amdhsa_fp16_overflow 0
		.amdhsa_tg_split 0
		.amdhsa_exception_fp_ieee_invalid_op 0
		.amdhsa_exception_fp_denorm_src 0
		.amdhsa_exception_fp_ieee_div_zero 0
		.amdhsa_exception_fp_ieee_overflow 0
		.amdhsa_exception_fp_ieee_underflow 0
		.amdhsa_exception_fp_ieee_inexact 0
		.amdhsa_exception_int_div_zero 0
	.end_amdhsa_kernel
	.section	.text._ZN2at6native12_GLOBAL__N_125multi_tensor_apply_kernelINS1_18TensorListMetadataILi2EEENS1_21BinaryOpScalarFunctorIN3c108BFloat16ELi2ELi1ELi1EEEJNS1_21reverse_power_functorIfEEfEEEvT_T0_DpT1_,"axG",@progbits,_ZN2at6native12_GLOBAL__N_125multi_tensor_apply_kernelINS1_18TensorListMetadataILi2EEENS1_21BinaryOpScalarFunctorIN3c108BFloat16ELi2ELi1ELi1EEEJNS1_21reverse_power_functorIfEEfEEEvT_T0_DpT1_,comdat
.Lfunc_end82:
	.size	_ZN2at6native12_GLOBAL__N_125multi_tensor_apply_kernelINS1_18TensorListMetadataILi2EEENS1_21BinaryOpScalarFunctorIN3c108BFloat16ELi2ELi1ELi1EEEJNS1_21reverse_power_functorIfEEfEEEvT_T0_DpT1_, .Lfunc_end82-_ZN2at6native12_GLOBAL__N_125multi_tensor_apply_kernelINS1_18TensorListMetadataILi2EEENS1_21BinaryOpScalarFunctorIN3c108BFloat16ELi2ELi1ELi1EEEJNS1_21reverse_power_functorIfEEfEEEvT_T0_DpT1_
                                        ; -- End function
	.section	.AMDGPU.csdata,"",@progbits
; Kernel info:
; codeLenInByte = 10272
; NumSgprs: 76
; NumVgprs: 64
; NumAgprs: 0
; TotalNumVgprs: 64
; ScratchSize: 0
; MemoryBound: 0
; FloatMode: 240
; IeeeMode: 1
; LDSByteSize: 0 bytes/workgroup (compile time only)
; SGPRBlocks: 9
; VGPRBlocks: 7
; NumSGPRsForWavesPerEU: 76
; NumVGPRsForWavesPerEU: 64
; AccumOffset: 64
; Occupancy: 8
; WaveLimiterHint : 0
; COMPUTE_PGM_RSRC2:SCRATCH_EN: 0
; COMPUTE_PGM_RSRC2:USER_SGPR: 6
; COMPUTE_PGM_RSRC2:TRAP_HANDLER: 0
; COMPUTE_PGM_RSRC2:TGID_X_EN: 1
; COMPUTE_PGM_RSRC2:TGID_Y_EN: 0
; COMPUTE_PGM_RSRC2:TGID_Z_EN: 0
; COMPUTE_PGM_RSRC2:TIDIG_COMP_CNT: 0
; COMPUTE_PGM_RSRC3_GFX90A:ACCUM_OFFSET: 15
; COMPUTE_PGM_RSRC3_GFX90A:TG_SPLIT: 0
	.section	.text._ZN2at6native12_GLOBAL__N_125multi_tensor_apply_kernelINS1_18TensorListMetadataILi1EEENS1_21BinaryOpScalarFunctorIhLi1ELi1ELi0EEEJSt5minusIhEhEEEvT_T0_DpT1_,"axG",@progbits,_ZN2at6native12_GLOBAL__N_125multi_tensor_apply_kernelINS1_18TensorListMetadataILi1EEENS1_21BinaryOpScalarFunctorIhLi1ELi1ELi0EEEJSt5minusIhEhEEEvT_T0_DpT1_,comdat
	.globl	_ZN2at6native12_GLOBAL__N_125multi_tensor_apply_kernelINS1_18TensorListMetadataILi1EEENS1_21BinaryOpScalarFunctorIhLi1ELi1ELi0EEEJSt5minusIhEhEEEvT_T0_DpT1_ ; -- Begin function _ZN2at6native12_GLOBAL__N_125multi_tensor_apply_kernelINS1_18TensorListMetadataILi1EEENS1_21BinaryOpScalarFunctorIhLi1ELi1ELi0EEEJSt5minusIhEhEEEvT_T0_DpT1_
	.p2align	8
	.type	_ZN2at6native12_GLOBAL__N_125multi_tensor_apply_kernelINS1_18TensorListMetadataILi1EEENS1_21BinaryOpScalarFunctorIhLi1ELi1ELi0EEEJSt5minusIhEhEEEvT_T0_DpT1_,@function
_ZN2at6native12_GLOBAL__N_125multi_tensor_apply_kernelINS1_18TensorListMetadataILi1EEENS1_21BinaryOpScalarFunctorIhLi1ELi1ELi0EEEJSt5minusIhEhEEEvT_T0_DpT1_: ; @_ZN2at6native12_GLOBAL__N_125multi_tensor_apply_kernelINS1_18TensorListMetadataILi1EEENS1_21BinaryOpScalarFunctorIhLi1ELi1ELi0EEEJSt5minusIhEhEEEvT_T0_DpT1_
; %bb.0:
	v_mov_b32_e32 v1, s6
	global_load_ubyte v1, v1, s[4:5] offset:1760
	s_add_u32 s0, s4, s6
	s_mul_hi_u32 s1, s6, 3
	s_mul_i32 s6, s6, 3
	s_addc_u32 s2, s5, 0
	s_add_u32 s0, s0, s6
	s_addc_u32 s1, s2, s1
	s_load_dword s2, s[0:1], 0x820
	s_waitcnt vmcnt(0)
	v_readfirstlane_b32 s0, v1
	s_lshl_b32 s3, s0, 3
	s_load_dwordx2 s[0:1], s[4:5], s3 offset:0x0
	s_load_dword s19, s[4:5], 0xd28
	s_load_dwordx2 s[6:7], s[4:5], s3 offset:0x370
	s_waitcnt lgkmcnt(0)
	s_ashr_i32 s3, s2, 31
	s_lshl_b64 s[2:3], s[2:3], 16
	s_add_u32 s18, s0, s2
	s_addc_u32 s20, s1, s3
	s_sub_u32 s10, s6, s2
	s_subb_u32 s11, s7, s3
	s_or_b32 s6, s6, s18
	s_and_b32 s6, s6, 3
	s_cmp_eq_u32 s6, 0
	s_cbranch_scc1 .LBB83_21
; %bb.1:
	v_cmp_lt_i64_e64 s[6:7], s[10:11], 1
	s_and_b64 vcc, exec, s[6:7]
	s_cbranch_vccnz .LBB83_20
; %bb.2:
	s_load_dword s6, s[4:5], 0xd3c
	v_mov_b32_e32 v2, 0x10000
	v_mov_b32_e32 v3, 0
	v_cmp_lt_u64_e32 vcc, s[10:11], v[2:3]
	v_mov_b32_e32 v1, s3
	s_waitcnt lgkmcnt(0)
	s_and_b32 s8, s6, 0xffff
	s_and_b64 s[6:7], vcc, exec
	s_cselect_b32 s13, s11, 0
	s_cselect_b32 s12, s10, 0x10000
	s_lshl_b32 s9, s8, 1
	s_mul_i32 s6, s8, 3
	s_lshl_b32 s21, s8, 2
	s_add_u32 s7, s2, s6
	v_add_co_u32_e32 v4, vcc, s2, v0
	s_addc_u32 s14, s3, 0
	v_addc_co_u32_e32 v5, vcc, 0, v1, vcc
	s_add_u32 s7, s0, s7
	v_mov_b32_e32 v6, s1
	v_add_co_u32_e32 v1, vcc, s0, v4
	s_addc_u32 s14, s1, s14
	v_addc_co_u32_e32 v6, vcc, v6, v5, vcc
	s_add_u32 s2, s2, s9
	v_mov_b32_e32 v8, s14
	v_add_co_u32_e32 v7, vcc, s7, v0
	s_addc_u32 s3, s3, 0
	v_addc_co_u32_e32 v8, vcc, 0, v8, vcc
	s_add_u32 s2, s0, s2
	v_add_co_u32_e32 v9, vcc, s6, v0
	s_addc_u32 s3, s1, s3
	v_addc_co_u32_e64 v10, s[6:7], 0, 0, vcc
	v_mov_b32_e32 v12, s3
	v_add_co_u32_e32 v11, vcc, s2, v0
	v_addc_co_u32_e32 v12, vcc, 0, v12, vcc
	s_add_u32 s0, s0, s8
	v_add_co_u32_e32 v13, vcc, s9, v0
	s_addc_u32 s1, s1, 0
	v_addc_co_u32_e64 v14, s[2:3], 0, 0, vcc
	v_mov_b32_e32 v16, s1
	v_add_co_u32_e32 v15, vcc, s0, v4
	v_addc_co_u32_e32 v16, vcc, v16, v5, vcc
	v_add_co_u32_e32 v17, vcc, s8, v0
	v_addc_co_u32_e64 v18, s[0:1], 0, 0, vcc
	s_mov_b64 s[14:15], 0
	s_lshr_b32 s22, s19, 16
	v_pk_mov_b32 v[4:5], s[10:11], s[10:11] op_sel:[0,1]
	s_branch .LBB83_4
.LBB83_3:                               ;   in Loop: Header=BB83_4 Depth=1
	s_or_b64 exec, exec, s[0:1]
	s_add_u32 s14, s14, s21
	s_addc_u32 s15, s15, 0
	v_cmp_lt_i64_e32 vcc, s[14:15], v[4:5]
	v_cmp_lt_u64_e64 s[0:1], s[14:15], v[2:3]
	s_and_b64 s[0:1], vcc, s[0:1]
	s_and_b64 vcc, exec, s[0:1]
	s_cbranch_vccz .LBB83_20
.LBB83_4:                               ; =>This Inner Loop Header: Depth=1
	s_waitcnt vmcnt(0)
	v_mov_b32_e32 v19, s15
	v_add_co_u32_e32 v20, vcc, s14, v0
	v_addc_co_u32_e32 v21, vcc, 0, v19, vcc
	v_cmp_gt_u64_e32 vcc, s[12:13], v[20:21]
	v_mov_b32_e32 v19, 0
	s_and_saveexec_b64 s[2:3], vcc
	s_cbranch_execz .LBB83_6
; %bb.5:                                ;   in Loop: Header=BB83_4 Depth=1
	v_mov_b32_e32 v19, s15
	v_add_co_u32_e64 v20, s[0:1], s14, v1
	v_addc_co_u32_e64 v21, s[0:1], v6, v19, s[0:1]
	global_load_ubyte v19, v[20:21], off
.LBB83_6:                               ;   in Loop: Header=BB83_4 Depth=1
	s_or_b64 exec, exec, s[2:3]
	v_mov_b32_e32 v21, s15
	v_add_co_u32_e64 v20, s[0:1], s14, v17
	v_addc_co_u32_e64 v21, s[0:1], v18, v21, s[0:1]
	v_cmp_gt_u64_e64 s[0:1], s[12:13], v[20:21]
	v_mov_b32_e32 v21, 0
	s_and_saveexec_b64 s[6:7], s[0:1]
	s_cbranch_execz .LBB83_8
; %bb.7:                                ;   in Loop: Header=BB83_4 Depth=1
	v_mov_b32_e32 v21, s15
	v_add_co_u32_e64 v20, s[2:3], s14, v15
	v_addc_co_u32_e64 v21, s[2:3], v16, v21, s[2:3]
	global_load_ubyte v21, v[20:21], off
.LBB83_8:                               ;   in Loop: Header=BB83_4 Depth=1
	s_or_b64 exec, exec, s[6:7]
	v_mov_b32_e32 v20, s15
	v_add_co_u32_e64 v22, s[2:3], s14, v13
	v_addc_co_u32_e64 v23, s[2:3], v14, v20, s[2:3]
	v_cmp_gt_u64_e64 s[2:3], s[12:13], v[22:23]
	v_mov_b32_e32 v20, 0
	v_mov_b32_e32 v22, 0
	s_and_saveexec_b64 s[8:9], s[2:3]
	s_cbranch_execz .LBB83_10
; %bb.9:                                ;   in Loop: Header=BB83_4 Depth=1
	v_mov_b32_e32 v23, s15
	v_add_co_u32_e64 v22, s[6:7], s14, v11
	v_addc_co_u32_e64 v23, s[6:7], v12, v23, s[6:7]
	global_load_ubyte v22, v[22:23], off
.LBB83_10:                              ;   in Loop: Header=BB83_4 Depth=1
	s_or_b64 exec, exec, s[8:9]
	v_mov_b32_e32 v23, s15
	v_add_co_u32_e64 v24, s[6:7], s14, v9
	v_addc_co_u32_e64 v25, s[6:7], v10, v23, s[6:7]
	v_cmp_gt_u64_e64 s[6:7], s[12:13], v[24:25]
	s_and_saveexec_b64 s[16:17], s[6:7]
	s_cbranch_execnz .LBB83_15
; %bb.11:                               ;   in Loop: Header=BB83_4 Depth=1
	s_or_b64 exec, exec, s[16:17]
	s_and_saveexec_b64 s[8:9], vcc
	s_cbranch_execnz .LBB83_16
.LBB83_12:                              ;   in Loop: Header=BB83_4 Depth=1
	s_or_b64 exec, exec, s[8:9]
	s_and_saveexec_b64 s[8:9], s[0:1]
	s_cbranch_execnz .LBB83_17
.LBB83_13:                              ;   in Loop: Header=BB83_4 Depth=1
	s_or_b64 exec, exec, s[8:9]
	s_and_saveexec_b64 s[0:1], s[2:3]
	s_cbranch_execnz .LBB83_18
.LBB83_14:                              ;   in Loop: Header=BB83_4 Depth=1
	s_or_b64 exec, exec, s[0:1]
	s_and_saveexec_b64 s[0:1], s[6:7]
	s_cbranch_execz .LBB83_3
	s_branch .LBB83_19
.LBB83_15:                              ;   in Loop: Header=BB83_4 Depth=1
	v_mov_b32_e32 v20, s15
	v_add_co_u32_e64 v24, s[8:9], s14, v7
	v_addc_co_u32_e64 v25, s[8:9], v8, v20, s[8:9]
	global_load_ubyte v20, v[24:25], off
	s_or_b64 exec, exec, s[16:17]
	s_and_saveexec_b64 s[8:9], vcc
	s_cbranch_execz .LBB83_12
.LBB83_16:                              ;   in Loop: Header=BB83_4 Depth=1
	v_mov_b32_e32 v23, s15
	v_add_co_u32_e32 v24, vcc, s14, v1
	s_waitcnt vmcnt(0)
	v_subrev_u16_e32 v19, s22, v19
	v_addc_co_u32_e32 v25, vcc, v6, v23, vcc
	global_store_byte v[24:25], v19, off
	s_or_b64 exec, exec, s[8:9]
	s_and_saveexec_b64 s[8:9], s[0:1]
	s_cbranch_execz .LBB83_13
.LBB83_17:                              ;   in Loop: Header=BB83_4 Depth=1
	s_waitcnt vmcnt(0)
	v_subrev_u16_e32 v19, s22, v21
	v_mov_b32_e32 v21, s15
	v_add_co_u32_e32 v24, vcc, s14, v15
	v_addc_co_u32_e32 v25, vcc, v16, v21, vcc
	global_store_byte v[24:25], v19, off
	s_or_b64 exec, exec, s[8:9]
	s_and_saveexec_b64 s[0:1], s[2:3]
	s_cbranch_execz .LBB83_14
.LBB83_18:                              ;   in Loop: Header=BB83_4 Depth=1
	s_waitcnt vmcnt(0)
	v_subrev_u16_e32 v19, s22, v22
	v_mov_b32_e32 v21, s15
	v_add_co_u32_e32 v22, vcc, s14, v11
	v_addc_co_u32_e32 v23, vcc, v12, v21, vcc
	global_store_byte v[22:23], v19, off
	s_or_b64 exec, exec, s[0:1]
	s_and_saveexec_b64 s[0:1], s[6:7]
	s_cbranch_execz .LBB83_3
.LBB83_19:                              ;   in Loop: Header=BB83_4 Depth=1
	s_waitcnt vmcnt(0)
	v_subrev_u16_e32 v19, s22, v20
	v_mov_b32_e32 v21, s15
	v_add_co_u32_e32 v20, vcc, s14, v7
	v_addc_co_u32_e32 v21, vcc, v8, v21, vcc
	global_store_byte v[20:21], v19, off
	s_branch .LBB83_3
.LBB83_20:
	s_cbranch_execz .LBB83_22
	s_branch .LBB83_25
.LBB83_21:
.LBB83_22:
	v_lshlrev_b32_e32 v0, 2, v0
	v_mov_b32_e32 v1, 0
	v_cmp_gt_i64_e32 vcc, s[10:11], v[0:1]
	s_and_saveexec_b64 s[0:1], vcc
	s_cbranch_execz .LBB83_25
; %bb.23:
	s_load_dword s0, s[4:5], 0xd3c
	s_mov_b32 s1, 0
	s_mov_b64 s[2:3], 0
	s_lshr_b32 s6, s19, 16
	v_mov_b32_e32 v2, s20
	s_waitcnt lgkmcnt(0)
	s_and_b32 s0, s0, 0xffff
	s_lshl_b32 s7, s0, 2
	v_mov_b32_e32 v3, s1
	s_mov_b64 s[4:5], 0xffff
	v_mov_b32_e32 v4, 8
.LBB83_24:                              ; =>This Inner Loop Header: Depth=1
	v_add_co_u32_e32 v6, vcc, s18, v0
	v_addc_co_u32_e32 v7, vcc, v2, v1, vcc
	global_load_dword v5, v[6:7], off
	v_add_co_u32_e32 v0, vcc, s7, v0
	v_addc_co_u32_e32 v1, vcc, v3, v1, vcc
	v_cmp_le_i64_e32 vcc, s[10:11], v[0:1]
	v_cmp_lt_u64_e64 s[0:1], s[4:5], v[0:1]
	s_or_b64 s[0:1], vcc, s[0:1]
	s_and_b64 s[0:1], exec, s[0:1]
	s_or_b64 s[2:3], s[0:1], s[2:3]
	s_waitcnt vmcnt(0)
	v_sub_u16_sdwa v10, v5, s6 dst_sel:DWORD dst_unused:UNUSED_PAD src0_sel:WORD_1 src1_sel:DWORD
	v_lshrrev_b32_e32 v9, 8, v5
	v_and_b32_e32 v10, 0xff, v10
	v_subrev_u16_e32 v8, s6, v5
	v_sub_u16_sdwa v5, v5, s6 dst_sel:DWORD dst_unused:UNUSED_PAD src0_sel:BYTE_3 src1_sel:DWORD
	v_subrev_u16_e32 v9, s6, v9
	v_lshlrev_b32_e32 v10, 16, v10
	v_and_b32_e32 v8, 0xff, v8
	v_lshlrev_b32_sdwa v9, v4, v9 dst_sel:DWORD dst_unused:UNUSED_PAD src0_sel:DWORD src1_sel:BYTE_0
	v_lshl_or_b32 v5, v5, 24, v10
	v_or3_b32 v5, v5, v9, v8
	global_store_dword v[6:7], v5, off
	s_andn2_b64 exec, exec, s[2:3]
	s_cbranch_execnz .LBB83_24
.LBB83_25:
	s_endpgm
	.section	.rodata,"a",@progbits
	.p2align	6, 0x0
	.amdhsa_kernel _ZN2at6native12_GLOBAL__N_125multi_tensor_apply_kernelINS1_18TensorListMetadataILi1EEENS1_21BinaryOpScalarFunctorIhLi1ELi1ELi0EEEJSt5minusIhEhEEEvT_T0_DpT1_
		.amdhsa_group_segment_fixed_size 0
		.amdhsa_private_segment_fixed_size 0
		.amdhsa_kernarg_size 3632
		.amdhsa_user_sgpr_count 6
		.amdhsa_user_sgpr_private_segment_buffer 1
		.amdhsa_user_sgpr_dispatch_ptr 0
		.amdhsa_user_sgpr_queue_ptr 0
		.amdhsa_user_sgpr_kernarg_segment_ptr 1
		.amdhsa_user_sgpr_dispatch_id 0
		.amdhsa_user_sgpr_flat_scratch_init 0
		.amdhsa_user_sgpr_kernarg_preload_length 0
		.amdhsa_user_sgpr_kernarg_preload_offset 0
		.amdhsa_user_sgpr_private_segment_size 0
		.amdhsa_uses_dynamic_stack 0
		.amdhsa_system_sgpr_private_segment_wavefront_offset 0
		.amdhsa_system_sgpr_workgroup_id_x 1
		.amdhsa_system_sgpr_workgroup_id_y 0
		.amdhsa_system_sgpr_workgroup_id_z 0
		.amdhsa_system_sgpr_workgroup_info 0
		.amdhsa_system_vgpr_workitem_id 0
		.amdhsa_next_free_vgpr 26
		.amdhsa_next_free_sgpr 23
		.amdhsa_accum_offset 28
		.amdhsa_reserve_vcc 1
		.amdhsa_reserve_flat_scratch 0
		.amdhsa_float_round_mode_32 0
		.amdhsa_float_round_mode_16_64 0
		.amdhsa_float_denorm_mode_32 3
		.amdhsa_float_denorm_mode_16_64 3
		.amdhsa_dx10_clamp 1
		.amdhsa_ieee_mode 1
		.amdhsa_fp16_overflow 0
		.amdhsa_tg_split 0
		.amdhsa_exception_fp_ieee_invalid_op 0
		.amdhsa_exception_fp_denorm_src 0
		.amdhsa_exception_fp_ieee_div_zero 0
		.amdhsa_exception_fp_ieee_overflow 0
		.amdhsa_exception_fp_ieee_underflow 0
		.amdhsa_exception_fp_ieee_inexact 0
		.amdhsa_exception_int_div_zero 0
	.end_amdhsa_kernel
	.section	.text._ZN2at6native12_GLOBAL__N_125multi_tensor_apply_kernelINS1_18TensorListMetadataILi1EEENS1_21BinaryOpScalarFunctorIhLi1ELi1ELi0EEEJSt5minusIhEhEEEvT_T0_DpT1_,"axG",@progbits,_ZN2at6native12_GLOBAL__N_125multi_tensor_apply_kernelINS1_18TensorListMetadataILi1EEENS1_21BinaryOpScalarFunctorIhLi1ELi1ELi0EEEJSt5minusIhEhEEEvT_T0_DpT1_,comdat
.Lfunc_end83:
	.size	_ZN2at6native12_GLOBAL__N_125multi_tensor_apply_kernelINS1_18TensorListMetadataILi1EEENS1_21BinaryOpScalarFunctorIhLi1ELi1ELi0EEEJSt5minusIhEhEEEvT_T0_DpT1_, .Lfunc_end83-_ZN2at6native12_GLOBAL__N_125multi_tensor_apply_kernelINS1_18TensorListMetadataILi1EEENS1_21BinaryOpScalarFunctorIhLi1ELi1ELi0EEEJSt5minusIhEhEEEvT_T0_DpT1_
                                        ; -- End function
	.section	.AMDGPU.csdata,"",@progbits
; Kernel info:
; codeLenInByte = 1116
; NumSgprs: 27
; NumVgprs: 26
; NumAgprs: 0
; TotalNumVgprs: 26
; ScratchSize: 0
; MemoryBound: 0
; FloatMode: 240
; IeeeMode: 1
; LDSByteSize: 0 bytes/workgroup (compile time only)
; SGPRBlocks: 3
; VGPRBlocks: 3
; NumSGPRsForWavesPerEU: 27
; NumVGPRsForWavesPerEU: 26
; AccumOffset: 28
; Occupancy: 8
; WaveLimiterHint : 0
; COMPUTE_PGM_RSRC2:SCRATCH_EN: 0
; COMPUTE_PGM_RSRC2:USER_SGPR: 6
; COMPUTE_PGM_RSRC2:TRAP_HANDLER: 0
; COMPUTE_PGM_RSRC2:TGID_X_EN: 1
; COMPUTE_PGM_RSRC2:TGID_Y_EN: 0
; COMPUTE_PGM_RSRC2:TGID_Z_EN: 0
; COMPUTE_PGM_RSRC2:TIDIG_COMP_CNT: 0
; COMPUTE_PGM_RSRC3_GFX90A:ACCUM_OFFSET: 6
; COMPUTE_PGM_RSRC3_GFX90A:TG_SPLIT: 0
	.section	.text._ZN2at6native12_GLOBAL__N_125multi_tensor_apply_kernelINS1_18TensorListMetadataILi1EEENS1_21BinaryOpScalarFunctorIaLi1ELi1ELi0EEEJSt5minusIaEaEEEvT_T0_DpT1_,"axG",@progbits,_ZN2at6native12_GLOBAL__N_125multi_tensor_apply_kernelINS1_18TensorListMetadataILi1EEENS1_21BinaryOpScalarFunctorIaLi1ELi1ELi0EEEJSt5minusIaEaEEEvT_T0_DpT1_,comdat
	.globl	_ZN2at6native12_GLOBAL__N_125multi_tensor_apply_kernelINS1_18TensorListMetadataILi1EEENS1_21BinaryOpScalarFunctorIaLi1ELi1ELi0EEEJSt5minusIaEaEEEvT_T0_DpT1_ ; -- Begin function _ZN2at6native12_GLOBAL__N_125multi_tensor_apply_kernelINS1_18TensorListMetadataILi1EEENS1_21BinaryOpScalarFunctorIaLi1ELi1ELi0EEEJSt5minusIaEaEEEvT_T0_DpT1_
	.p2align	8
	.type	_ZN2at6native12_GLOBAL__N_125multi_tensor_apply_kernelINS1_18TensorListMetadataILi1EEENS1_21BinaryOpScalarFunctorIaLi1ELi1ELi0EEEJSt5minusIaEaEEEvT_T0_DpT1_,@function
_ZN2at6native12_GLOBAL__N_125multi_tensor_apply_kernelINS1_18TensorListMetadataILi1EEENS1_21BinaryOpScalarFunctorIaLi1ELi1ELi0EEEJSt5minusIaEaEEEvT_T0_DpT1_: ; @_ZN2at6native12_GLOBAL__N_125multi_tensor_apply_kernelINS1_18TensorListMetadataILi1EEENS1_21BinaryOpScalarFunctorIaLi1ELi1ELi0EEEJSt5minusIaEaEEEvT_T0_DpT1_
; %bb.0:
	v_mov_b32_e32 v1, s6
	global_load_ubyte v1, v1, s[4:5] offset:1760
	s_add_u32 s0, s4, s6
	s_mul_hi_u32 s1, s6, 3
	s_mul_i32 s6, s6, 3
	s_addc_u32 s2, s5, 0
	s_add_u32 s0, s0, s6
	s_addc_u32 s1, s2, s1
	s_load_dword s2, s[0:1], 0x820
	s_waitcnt vmcnt(0)
	v_readfirstlane_b32 s0, v1
	s_lshl_b32 s3, s0, 3
	s_load_dwordx2 s[0:1], s[4:5], s3 offset:0x0
	s_load_dword s19, s[4:5], 0xd28
	s_load_dwordx2 s[6:7], s[4:5], s3 offset:0x370
	s_waitcnt lgkmcnt(0)
	s_ashr_i32 s3, s2, 31
	s_lshl_b64 s[2:3], s[2:3], 16
	s_add_u32 s18, s0, s2
	s_addc_u32 s20, s1, s3
	s_sub_u32 s10, s6, s2
	s_subb_u32 s11, s7, s3
	s_or_b32 s6, s6, s18
	s_and_b32 s6, s6, 3
	s_cmp_eq_u32 s6, 0
	s_cbranch_scc1 .LBB84_21
; %bb.1:
	v_cmp_lt_i64_e64 s[6:7], s[10:11], 1
	s_and_b64 vcc, exec, s[6:7]
	s_cbranch_vccnz .LBB84_20
; %bb.2:
	s_load_dword s6, s[4:5], 0xd3c
	v_mov_b32_e32 v2, 0x10000
	v_mov_b32_e32 v3, 0
	v_cmp_lt_u64_e32 vcc, s[10:11], v[2:3]
	v_mov_b32_e32 v1, s3
	s_waitcnt lgkmcnt(0)
	s_and_b32 s8, s6, 0xffff
	s_and_b64 s[6:7], vcc, exec
	s_cselect_b32 s13, s11, 0
	s_cselect_b32 s12, s10, 0x10000
	s_lshl_b32 s9, s8, 1
	s_mul_i32 s6, s8, 3
	s_lshl_b32 s21, s8, 2
	s_add_u32 s7, s2, s6
	v_add_co_u32_e32 v4, vcc, s2, v0
	s_addc_u32 s14, s3, 0
	v_addc_co_u32_e32 v5, vcc, 0, v1, vcc
	s_add_u32 s7, s0, s7
	v_mov_b32_e32 v6, s1
	v_add_co_u32_e32 v1, vcc, s0, v4
	s_addc_u32 s14, s1, s14
	v_addc_co_u32_e32 v6, vcc, v6, v5, vcc
	s_add_u32 s2, s2, s9
	v_mov_b32_e32 v8, s14
	v_add_co_u32_e32 v7, vcc, s7, v0
	s_addc_u32 s3, s3, 0
	v_addc_co_u32_e32 v8, vcc, 0, v8, vcc
	s_add_u32 s2, s0, s2
	v_add_co_u32_e32 v9, vcc, s6, v0
	s_addc_u32 s3, s1, s3
	v_addc_co_u32_e64 v10, s[6:7], 0, 0, vcc
	v_mov_b32_e32 v12, s3
	v_add_co_u32_e32 v11, vcc, s2, v0
	v_addc_co_u32_e32 v12, vcc, 0, v12, vcc
	s_add_u32 s0, s0, s8
	v_add_co_u32_e32 v13, vcc, s9, v0
	s_addc_u32 s1, s1, 0
	v_addc_co_u32_e64 v14, s[2:3], 0, 0, vcc
	v_mov_b32_e32 v16, s1
	v_add_co_u32_e32 v15, vcc, s0, v4
	v_addc_co_u32_e32 v16, vcc, v16, v5, vcc
	v_add_co_u32_e32 v17, vcc, s8, v0
	v_addc_co_u32_e64 v18, s[0:1], 0, 0, vcc
	s_mov_b64 s[14:15], 0
	s_lshr_b32 s22, s19, 16
	v_pk_mov_b32 v[4:5], s[10:11], s[10:11] op_sel:[0,1]
	s_branch .LBB84_4
.LBB84_3:                               ;   in Loop: Header=BB84_4 Depth=1
	s_or_b64 exec, exec, s[0:1]
	s_add_u32 s14, s14, s21
	s_addc_u32 s15, s15, 0
	v_cmp_lt_i64_e32 vcc, s[14:15], v[4:5]
	v_cmp_lt_u64_e64 s[0:1], s[14:15], v[2:3]
	s_and_b64 s[0:1], vcc, s[0:1]
	s_and_b64 vcc, exec, s[0:1]
	s_cbranch_vccz .LBB84_20
.LBB84_4:                               ; =>This Inner Loop Header: Depth=1
	s_waitcnt vmcnt(0)
	v_mov_b32_e32 v19, s15
	v_add_co_u32_e32 v20, vcc, s14, v0
	v_addc_co_u32_e32 v21, vcc, 0, v19, vcc
	v_cmp_gt_u64_e32 vcc, s[12:13], v[20:21]
	v_mov_b32_e32 v19, 0
	s_and_saveexec_b64 s[2:3], vcc
	s_cbranch_execz .LBB84_6
; %bb.5:                                ;   in Loop: Header=BB84_4 Depth=1
	v_mov_b32_e32 v19, s15
	v_add_co_u32_e64 v20, s[0:1], s14, v1
	v_addc_co_u32_e64 v21, s[0:1], v6, v19, s[0:1]
	global_load_ubyte v19, v[20:21], off
.LBB84_6:                               ;   in Loop: Header=BB84_4 Depth=1
	s_or_b64 exec, exec, s[2:3]
	v_mov_b32_e32 v21, s15
	v_add_co_u32_e64 v20, s[0:1], s14, v17
	v_addc_co_u32_e64 v21, s[0:1], v18, v21, s[0:1]
	v_cmp_gt_u64_e64 s[0:1], s[12:13], v[20:21]
	v_mov_b32_e32 v21, 0
	s_and_saveexec_b64 s[6:7], s[0:1]
	s_cbranch_execz .LBB84_8
; %bb.7:                                ;   in Loop: Header=BB84_4 Depth=1
	v_mov_b32_e32 v21, s15
	v_add_co_u32_e64 v20, s[2:3], s14, v15
	v_addc_co_u32_e64 v21, s[2:3], v16, v21, s[2:3]
	global_load_ubyte v21, v[20:21], off
.LBB84_8:                               ;   in Loop: Header=BB84_4 Depth=1
	s_or_b64 exec, exec, s[6:7]
	v_mov_b32_e32 v20, s15
	v_add_co_u32_e64 v22, s[2:3], s14, v13
	v_addc_co_u32_e64 v23, s[2:3], v14, v20, s[2:3]
	v_cmp_gt_u64_e64 s[2:3], s[12:13], v[22:23]
	v_mov_b32_e32 v20, 0
	v_mov_b32_e32 v22, 0
	s_and_saveexec_b64 s[8:9], s[2:3]
	s_cbranch_execz .LBB84_10
; %bb.9:                                ;   in Loop: Header=BB84_4 Depth=1
	v_mov_b32_e32 v23, s15
	v_add_co_u32_e64 v22, s[6:7], s14, v11
	v_addc_co_u32_e64 v23, s[6:7], v12, v23, s[6:7]
	global_load_ubyte v22, v[22:23], off
.LBB84_10:                              ;   in Loop: Header=BB84_4 Depth=1
	s_or_b64 exec, exec, s[8:9]
	v_mov_b32_e32 v23, s15
	v_add_co_u32_e64 v24, s[6:7], s14, v9
	v_addc_co_u32_e64 v25, s[6:7], v10, v23, s[6:7]
	v_cmp_gt_u64_e64 s[6:7], s[12:13], v[24:25]
	s_and_saveexec_b64 s[16:17], s[6:7]
	s_cbranch_execnz .LBB84_15
; %bb.11:                               ;   in Loop: Header=BB84_4 Depth=1
	s_or_b64 exec, exec, s[16:17]
	s_and_saveexec_b64 s[8:9], vcc
	s_cbranch_execnz .LBB84_16
.LBB84_12:                              ;   in Loop: Header=BB84_4 Depth=1
	s_or_b64 exec, exec, s[8:9]
	s_and_saveexec_b64 s[8:9], s[0:1]
	s_cbranch_execnz .LBB84_17
.LBB84_13:                              ;   in Loop: Header=BB84_4 Depth=1
	s_or_b64 exec, exec, s[8:9]
	s_and_saveexec_b64 s[0:1], s[2:3]
	s_cbranch_execnz .LBB84_18
.LBB84_14:                              ;   in Loop: Header=BB84_4 Depth=1
	s_or_b64 exec, exec, s[0:1]
	s_and_saveexec_b64 s[0:1], s[6:7]
	s_cbranch_execz .LBB84_3
	s_branch .LBB84_19
.LBB84_15:                              ;   in Loop: Header=BB84_4 Depth=1
	v_mov_b32_e32 v20, s15
	v_add_co_u32_e64 v24, s[8:9], s14, v7
	v_addc_co_u32_e64 v25, s[8:9], v8, v20, s[8:9]
	global_load_ubyte v20, v[24:25], off
	s_or_b64 exec, exec, s[16:17]
	s_and_saveexec_b64 s[8:9], vcc
	s_cbranch_execz .LBB84_12
.LBB84_16:                              ;   in Loop: Header=BB84_4 Depth=1
	v_mov_b32_e32 v23, s15
	v_add_co_u32_e32 v24, vcc, s14, v1
	s_waitcnt vmcnt(0)
	v_subrev_u16_e32 v19, s22, v19
	v_addc_co_u32_e32 v25, vcc, v6, v23, vcc
	global_store_byte v[24:25], v19, off
	s_or_b64 exec, exec, s[8:9]
	s_and_saveexec_b64 s[8:9], s[0:1]
	s_cbranch_execz .LBB84_13
.LBB84_17:                              ;   in Loop: Header=BB84_4 Depth=1
	s_waitcnt vmcnt(0)
	v_subrev_u16_e32 v19, s22, v21
	v_mov_b32_e32 v21, s15
	v_add_co_u32_e32 v24, vcc, s14, v15
	v_addc_co_u32_e32 v25, vcc, v16, v21, vcc
	global_store_byte v[24:25], v19, off
	s_or_b64 exec, exec, s[8:9]
	s_and_saveexec_b64 s[0:1], s[2:3]
	s_cbranch_execz .LBB84_14
.LBB84_18:                              ;   in Loop: Header=BB84_4 Depth=1
	s_waitcnt vmcnt(0)
	v_subrev_u16_e32 v19, s22, v22
	v_mov_b32_e32 v21, s15
	v_add_co_u32_e32 v22, vcc, s14, v11
	v_addc_co_u32_e32 v23, vcc, v12, v21, vcc
	global_store_byte v[22:23], v19, off
	s_or_b64 exec, exec, s[0:1]
	s_and_saveexec_b64 s[0:1], s[6:7]
	s_cbranch_execz .LBB84_3
.LBB84_19:                              ;   in Loop: Header=BB84_4 Depth=1
	s_waitcnt vmcnt(0)
	v_subrev_u16_e32 v19, s22, v20
	v_mov_b32_e32 v21, s15
	v_add_co_u32_e32 v20, vcc, s14, v7
	v_addc_co_u32_e32 v21, vcc, v8, v21, vcc
	global_store_byte v[20:21], v19, off
	s_branch .LBB84_3
.LBB84_20:
	s_cbranch_execz .LBB84_22
	s_branch .LBB84_25
.LBB84_21:
.LBB84_22:
	v_lshlrev_b32_e32 v0, 2, v0
	v_mov_b32_e32 v1, 0
	v_cmp_gt_i64_e32 vcc, s[10:11], v[0:1]
	s_and_saveexec_b64 s[0:1], vcc
	s_cbranch_execz .LBB84_25
; %bb.23:
	s_load_dword s0, s[4:5], 0xd3c
	s_mov_b32 s1, 0
	s_mov_b64 s[2:3], 0
	s_lshr_b32 s6, s19, 16
	v_mov_b32_e32 v2, s20
	s_waitcnt lgkmcnt(0)
	s_and_b32 s0, s0, 0xffff
	s_lshl_b32 s7, s0, 2
	v_mov_b32_e32 v3, s1
	s_mov_b64 s[4:5], 0xffff
	v_mov_b32_e32 v4, 8
.LBB84_24:                              ; =>This Inner Loop Header: Depth=1
	v_add_co_u32_e32 v6, vcc, s18, v0
	v_addc_co_u32_e32 v7, vcc, v2, v1, vcc
	global_load_dword v5, v[6:7], off
	v_add_co_u32_e32 v0, vcc, s7, v0
	v_addc_co_u32_e32 v1, vcc, v3, v1, vcc
	v_cmp_le_i64_e32 vcc, s[10:11], v[0:1]
	v_cmp_lt_u64_e64 s[0:1], s[4:5], v[0:1]
	s_or_b64 s[0:1], vcc, s[0:1]
	s_and_b64 s[0:1], exec, s[0:1]
	s_or_b64 s[2:3], s[0:1], s[2:3]
	s_waitcnt vmcnt(0)
	v_sub_u16_sdwa v10, v5, s6 dst_sel:DWORD dst_unused:UNUSED_PAD src0_sel:WORD_1 src1_sel:DWORD
	v_lshrrev_b32_e32 v9, 8, v5
	v_and_b32_e32 v10, 0xff, v10
	v_subrev_u16_e32 v8, s6, v5
	v_sub_u16_sdwa v5, v5, s6 dst_sel:DWORD dst_unused:UNUSED_PAD src0_sel:BYTE_3 src1_sel:DWORD
	v_subrev_u16_e32 v9, s6, v9
	v_lshlrev_b32_e32 v10, 16, v10
	v_and_b32_e32 v8, 0xff, v8
	v_lshlrev_b32_sdwa v9, v4, v9 dst_sel:DWORD dst_unused:UNUSED_PAD src0_sel:DWORD src1_sel:BYTE_0
	v_lshl_or_b32 v5, v5, 24, v10
	v_or3_b32 v5, v5, v9, v8
	global_store_dword v[6:7], v5, off
	s_andn2_b64 exec, exec, s[2:3]
	s_cbranch_execnz .LBB84_24
.LBB84_25:
	s_endpgm
	.section	.rodata,"a",@progbits
	.p2align	6, 0x0
	.amdhsa_kernel _ZN2at6native12_GLOBAL__N_125multi_tensor_apply_kernelINS1_18TensorListMetadataILi1EEENS1_21BinaryOpScalarFunctorIaLi1ELi1ELi0EEEJSt5minusIaEaEEEvT_T0_DpT1_
		.amdhsa_group_segment_fixed_size 0
		.amdhsa_private_segment_fixed_size 0
		.amdhsa_kernarg_size 3632
		.amdhsa_user_sgpr_count 6
		.amdhsa_user_sgpr_private_segment_buffer 1
		.amdhsa_user_sgpr_dispatch_ptr 0
		.amdhsa_user_sgpr_queue_ptr 0
		.amdhsa_user_sgpr_kernarg_segment_ptr 1
		.amdhsa_user_sgpr_dispatch_id 0
		.amdhsa_user_sgpr_flat_scratch_init 0
		.amdhsa_user_sgpr_kernarg_preload_length 0
		.amdhsa_user_sgpr_kernarg_preload_offset 0
		.amdhsa_user_sgpr_private_segment_size 0
		.amdhsa_uses_dynamic_stack 0
		.amdhsa_system_sgpr_private_segment_wavefront_offset 0
		.amdhsa_system_sgpr_workgroup_id_x 1
		.amdhsa_system_sgpr_workgroup_id_y 0
		.amdhsa_system_sgpr_workgroup_id_z 0
		.amdhsa_system_sgpr_workgroup_info 0
		.amdhsa_system_vgpr_workitem_id 0
		.amdhsa_next_free_vgpr 26
		.amdhsa_next_free_sgpr 23
		.amdhsa_accum_offset 28
		.amdhsa_reserve_vcc 1
		.amdhsa_reserve_flat_scratch 0
		.amdhsa_float_round_mode_32 0
		.amdhsa_float_round_mode_16_64 0
		.amdhsa_float_denorm_mode_32 3
		.amdhsa_float_denorm_mode_16_64 3
		.amdhsa_dx10_clamp 1
		.amdhsa_ieee_mode 1
		.amdhsa_fp16_overflow 0
		.amdhsa_tg_split 0
		.amdhsa_exception_fp_ieee_invalid_op 0
		.amdhsa_exception_fp_denorm_src 0
		.amdhsa_exception_fp_ieee_div_zero 0
		.amdhsa_exception_fp_ieee_overflow 0
		.amdhsa_exception_fp_ieee_underflow 0
		.amdhsa_exception_fp_ieee_inexact 0
		.amdhsa_exception_int_div_zero 0
	.end_amdhsa_kernel
	.section	.text._ZN2at6native12_GLOBAL__N_125multi_tensor_apply_kernelINS1_18TensorListMetadataILi1EEENS1_21BinaryOpScalarFunctorIaLi1ELi1ELi0EEEJSt5minusIaEaEEEvT_T0_DpT1_,"axG",@progbits,_ZN2at6native12_GLOBAL__N_125multi_tensor_apply_kernelINS1_18TensorListMetadataILi1EEENS1_21BinaryOpScalarFunctorIaLi1ELi1ELi0EEEJSt5minusIaEaEEEvT_T0_DpT1_,comdat
.Lfunc_end84:
	.size	_ZN2at6native12_GLOBAL__N_125multi_tensor_apply_kernelINS1_18TensorListMetadataILi1EEENS1_21BinaryOpScalarFunctorIaLi1ELi1ELi0EEEJSt5minusIaEaEEEvT_T0_DpT1_, .Lfunc_end84-_ZN2at6native12_GLOBAL__N_125multi_tensor_apply_kernelINS1_18TensorListMetadataILi1EEENS1_21BinaryOpScalarFunctorIaLi1ELi1ELi0EEEJSt5minusIaEaEEEvT_T0_DpT1_
                                        ; -- End function
	.section	.AMDGPU.csdata,"",@progbits
; Kernel info:
; codeLenInByte = 1116
; NumSgprs: 27
; NumVgprs: 26
; NumAgprs: 0
; TotalNumVgprs: 26
; ScratchSize: 0
; MemoryBound: 0
; FloatMode: 240
; IeeeMode: 1
; LDSByteSize: 0 bytes/workgroup (compile time only)
; SGPRBlocks: 3
; VGPRBlocks: 3
; NumSGPRsForWavesPerEU: 27
; NumVGPRsForWavesPerEU: 26
; AccumOffset: 28
; Occupancy: 8
; WaveLimiterHint : 0
; COMPUTE_PGM_RSRC2:SCRATCH_EN: 0
; COMPUTE_PGM_RSRC2:USER_SGPR: 6
; COMPUTE_PGM_RSRC2:TRAP_HANDLER: 0
; COMPUTE_PGM_RSRC2:TGID_X_EN: 1
; COMPUTE_PGM_RSRC2:TGID_Y_EN: 0
; COMPUTE_PGM_RSRC2:TGID_Z_EN: 0
; COMPUTE_PGM_RSRC2:TIDIG_COMP_CNT: 0
; COMPUTE_PGM_RSRC3_GFX90A:ACCUM_OFFSET: 6
; COMPUTE_PGM_RSRC3_GFX90A:TG_SPLIT: 0
	.section	.text._ZN2at6native12_GLOBAL__N_125multi_tensor_apply_kernelINS1_18TensorListMetadataILi1EEENS1_21BinaryOpScalarFunctorIiLi1ELi1ELi0EEEJSt5minusIiEiEEEvT_T0_DpT1_,"axG",@progbits,_ZN2at6native12_GLOBAL__N_125multi_tensor_apply_kernelINS1_18TensorListMetadataILi1EEENS1_21BinaryOpScalarFunctorIiLi1ELi1ELi0EEEJSt5minusIiEiEEEvT_T0_DpT1_,comdat
	.globl	_ZN2at6native12_GLOBAL__N_125multi_tensor_apply_kernelINS1_18TensorListMetadataILi1EEENS1_21BinaryOpScalarFunctorIiLi1ELi1ELi0EEEJSt5minusIiEiEEEvT_T0_DpT1_ ; -- Begin function _ZN2at6native12_GLOBAL__N_125multi_tensor_apply_kernelINS1_18TensorListMetadataILi1EEENS1_21BinaryOpScalarFunctorIiLi1ELi1ELi0EEEJSt5minusIiEiEEEvT_T0_DpT1_
	.p2align	8
	.type	_ZN2at6native12_GLOBAL__N_125multi_tensor_apply_kernelINS1_18TensorListMetadataILi1EEENS1_21BinaryOpScalarFunctorIiLi1ELi1ELi0EEEJSt5minusIiEiEEEvT_T0_DpT1_,@function
_ZN2at6native12_GLOBAL__N_125multi_tensor_apply_kernelINS1_18TensorListMetadataILi1EEENS1_21BinaryOpScalarFunctorIiLi1ELi1ELi0EEEJSt5minusIiEiEEEvT_T0_DpT1_: ; @_ZN2at6native12_GLOBAL__N_125multi_tensor_apply_kernelINS1_18TensorListMetadataILi1EEENS1_21BinaryOpScalarFunctorIiLi1ELi1ELi0EEEJSt5minusIiEiEEEvT_T0_DpT1_
; %bb.0:
	v_mov_b32_e32 v1, s6
	global_load_ubyte v1, v1, s[4:5] offset:1760
	s_add_u32 s0, s4, s6
	s_mul_hi_u32 s1, s6, 3
	s_mul_i32 s6, s6, 3
	s_addc_u32 s2, s5, 0
	s_add_u32 s0, s0, s6
	s_addc_u32 s1, s2, s1
	s_load_dword s0, s[0:1], 0x820
	s_mov_b32 s7, 0
	s_waitcnt vmcnt(0)
	v_readfirstlane_b32 s1, v1
	s_lshl_b32 s1, s1, 3
	s_load_dword s22, s[4:5], 0xd2c
	s_load_dwordx2 s[2:3], s[4:5], s1 offset:0x370
	s_load_dwordx2 s[12:13], s[4:5], s1 offset:0x0
	s_waitcnt lgkmcnt(0)
	s_ashr_i32 s1, s0, 31
	s_lshl_b64 s[14:15], s[0:1], 18
	s_lshl_b64 s[0:1], s[0:1], 16
	s_and_b32 s6, s12, 15
	s_sub_u32 s10, s2, s0
	s_subb_u32 s11, s3, s1
	s_and_b32 s0, s2, 3
	s_mov_b32 s1, s7
	s_or_b64 s[0:1], s[6:7], s[0:1]
	s_cmp_eq_u64 s[0:1], 0
	s_cbranch_scc1 .LBB85_21
; %bb.1:
	v_cmp_lt_i64_e64 s[0:1], s[10:11], 1
	s_and_b64 vcc, exec, s[0:1]
	s_cbranch_vccnz .LBB85_20
; %bb.2:
	s_load_dword s0, s[4:5], 0xd3c
	v_mov_b32_e32 v2, 0x10000
	v_mov_b32_e32 v3, 0
	v_cmp_lt_u64_e32 vcc, s[10:11], v[2:3]
	v_lshlrev_b32_e32 v1, 2, v0
	s_waitcnt lgkmcnt(0)
	s_and_b32 s3, s0, 0xffff
	s_and_b64 s[0:1], vcc, exec
	s_cselect_b32 s17, s11, 0
	s_cselect_b32 s16, s10, 0x10000
	s_lshl_b32 s6, s3, 1
	s_lshl_b32 s23, s3, 2
	s_add_u32 s7, s12, s14
	s_addc_u32 s8, s13, s15
	v_mov_b32_e32 v5, s8
	v_add_co_u32_e32 v4, vcc, s7, v1
	s_mul_i32 s0, s3, 3
	v_addc_co_u32_e32 v5, vcc, 0, v5, vcc
	v_add_co_u32_e32 v1, vcc, s0, v0
	v_addc_co_u32_e64 v10, s[0:1], 0, 0, vcc
	v_add_co_u32_e32 v11, vcc, s6, v0
	v_addc_co_u32_e64 v12, s[0:1], 0, 0, vcc
	v_add_co_u32_e32 v13, vcc, s3, v0
	v_lshlrev_b32_e32 v6, 2, v13
	s_mov_b32 s2, 0
	v_addc_co_u32_e64 v14, s[0:1], 0, 0, vcc
	v_mov_b32_e32 v7, s8
	v_add_co_u32_e32 v6, vcc, s7, v6
	s_lshl_b32 s24, s3, 4
	s_mul_i32 s25, s3, 12
	s_mov_b32 s26, s2
	s_lshl_b32 s27, s3, 3
	s_mov_b32 s28, s2
	v_addc_co_u32_e32 v7, vcc, 0, v7, vcc
	s_mov_b64 s[18:19], 0
	v_pk_mov_b32 v[8:9], s[10:11], s[10:11] op_sel:[0,1]
	v_mov_b32_e32 v15, s2
	s_branch .LBB85_4
.LBB85_3:                               ;   in Loop: Header=BB85_4 Depth=1
	s_or_b64 exec, exec, s[0:1]
	s_add_u32 s18, s18, s23
	s_addc_u32 s19, s19, 0
	v_cmp_lt_i64_e32 vcc, s[18:19], v[8:9]
	v_cmp_lt_u64_e64 s[0:1], s[18:19], v[2:3]
	s_and_b64 s[0:1], vcc, s[0:1]
	v_add_co_u32_e32 v4, vcc, s24, v4
	v_addc_co_u32_e32 v5, vcc, v5, v15, vcc
	v_add_co_u32_e32 v6, vcc, s24, v6
	v_addc_co_u32_e32 v7, vcc, v7, v15, vcc
	s_and_b64 vcc, exec, s[0:1]
	s_cbranch_vccz .LBB85_20
.LBB85_4:                               ; =>This Inner Loop Header: Depth=1
	s_waitcnt vmcnt(0)
	v_mov_b32_e32 v17, s19
	v_add_co_u32_e32 v16, vcc, s18, v0
	v_addc_co_u32_e32 v17, vcc, 0, v17, vcc
	v_cmp_gt_u64_e32 vcc, s[16:17], v[16:17]
	v_mov_b32_e32 v16, 0
	s_and_saveexec_b64 s[0:1], vcc
	s_cbranch_execz .LBB85_6
; %bb.5:                                ;   in Loop: Header=BB85_4 Depth=1
	global_load_dword v16, v[4:5], off
.LBB85_6:                               ;   in Loop: Header=BB85_4 Depth=1
	s_or_b64 exec, exec, s[0:1]
	v_mov_b32_e32 v17, s19
	v_add_co_u32_e64 v18, s[0:1], s18, v13
	v_addc_co_u32_e64 v19, s[0:1], v14, v17, s[0:1]
	v_cmp_gt_u64_e64 s[0:1], s[16:17], v[18:19]
	v_mov_b32_e32 v18, 0
	s_and_saveexec_b64 s[2:3], s[0:1]
	s_cbranch_execz .LBB85_8
; %bb.7:                                ;   in Loop: Header=BB85_4 Depth=1
	global_load_dword v18, v[6:7], off
.LBB85_8:                               ;   in Loop: Header=BB85_4 Depth=1
	s_or_b64 exec, exec, s[2:3]
	v_mov_b32_e32 v17, s19
	v_add_co_u32_e64 v20, s[2:3], s18, v11
	v_addc_co_u32_e64 v21, s[2:3], v12, v17, s[2:3]
	v_cmp_gt_u64_e64 s[2:3], s[16:17], v[20:21]
	v_mov_b32_e32 v17, 0
	v_mov_b32_e32 v19, 0
	s_and_saveexec_b64 s[8:9], s[2:3]
	s_cbranch_execz .LBB85_10
; %bb.9:                                ;   in Loop: Header=BB85_4 Depth=1
	v_mov_b32_e32 v19, s28
	v_add_co_u32_e64 v20, s[6:7], s27, v4
	v_addc_co_u32_e64 v21, s[6:7], v5, v19, s[6:7]
	global_load_dword v19, v[20:21], off
.LBB85_10:                              ;   in Loop: Header=BB85_4 Depth=1
	s_or_b64 exec, exec, s[8:9]
	v_mov_b32_e32 v21, s19
	v_add_co_u32_e64 v20, s[6:7], s18, v1
	v_addc_co_u32_e64 v21, s[6:7], v10, v21, s[6:7]
	v_cmp_gt_u64_e64 s[6:7], s[16:17], v[20:21]
	s_and_saveexec_b64 s[20:21], s[6:7]
	s_cbranch_execnz .LBB85_15
; %bb.11:                               ;   in Loop: Header=BB85_4 Depth=1
	s_or_b64 exec, exec, s[20:21]
	s_and_saveexec_b64 s[8:9], vcc
	s_cbranch_execnz .LBB85_16
.LBB85_12:                              ;   in Loop: Header=BB85_4 Depth=1
	s_or_b64 exec, exec, s[8:9]
	s_and_saveexec_b64 s[8:9], s[0:1]
	s_cbranch_execnz .LBB85_17
.LBB85_13:                              ;   in Loop: Header=BB85_4 Depth=1
	s_or_b64 exec, exec, s[8:9]
	s_and_saveexec_b64 s[0:1], s[2:3]
	s_cbranch_execnz .LBB85_18
.LBB85_14:                              ;   in Loop: Header=BB85_4 Depth=1
	s_or_b64 exec, exec, s[0:1]
	s_and_saveexec_b64 s[0:1], s[6:7]
	s_cbranch_execz .LBB85_3
	s_branch .LBB85_19
.LBB85_15:                              ;   in Loop: Header=BB85_4 Depth=1
	v_mov_b32_e32 v17, s26
	v_add_co_u32_e64 v20, s[8:9], s25, v4
	v_addc_co_u32_e64 v21, s[8:9], v5, v17, s[8:9]
	global_load_dword v17, v[20:21], off
	s_or_b64 exec, exec, s[20:21]
	s_and_saveexec_b64 s[8:9], vcc
	s_cbranch_execz .LBB85_12
.LBB85_16:                              ;   in Loop: Header=BB85_4 Depth=1
	s_waitcnt vmcnt(0)
	v_subrev_u32_e32 v16, s22, v16
	global_store_dword v[4:5], v16, off
	s_or_b64 exec, exec, s[8:9]
	s_and_saveexec_b64 s[8:9], s[0:1]
	s_cbranch_execz .LBB85_13
.LBB85_17:                              ;   in Loop: Header=BB85_4 Depth=1
	s_waitcnt vmcnt(0)
	v_subrev_u32_e32 v16, s22, v18
	global_store_dword v[6:7], v16, off
	s_or_b64 exec, exec, s[8:9]
	s_and_saveexec_b64 s[0:1], s[2:3]
	s_cbranch_execz .LBB85_14
.LBB85_18:                              ;   in Loop: Header=BB85_4 Depth=1
	s_waitcnt vmcnt(0)
	v_subrev_u32_e32 v16, s22, v19
	v_mov_b32_e32 v19, s28
	v_add_co_u32_e32 v18, vcc, s27, v4
	v_addc_co_u32_e32 v19, vcc, v5, v19, vcc
	global_store_dword v[18:19], v16, off
	s_or_b64 exec, exec, s[0:1]
	s_and_saveexec_b64 s[0:1], s[6:7]
	s_cbranch_execz .LBB85_3
.LBB85_19:                              ;   in Loop: Header=BB85_4 Depth=1
	s_waitcnt vmcnt(0)
	v_subrev_u32_e32 v18, s22, v17
	v_mov_b32_e32 v17, s26
	v_add_co_u32_e32 v16, vcc, s25, v4
	v_addc_co_u32_e32 v17, vcc, v5, v17, vcc
	global_store_dword v[16:17], v18, off
	s_branch .LBB85_3
.LBB85_20:
	s_cbranch_execz .LBB85_22
	s_branch .LBB85_25
.LBB85_21:
.LBB85_22:
	v_mov_b32_e32 v3, 0
	v_lshlrev_b32_e32 v2, 2, v0
	s_mov_b32 s0, 0
	v_cmp_gt_i64_e32 vcc, s[10:11], v[2:3]
	s_and_saveexec_b64 s[2:3], vcc
	s_cbranch_execz .LBB85_25
; %bb.23:
	s_load_dword s1, s[4:5], 0xd3c
	v_lshlrev_b32_e32 v1, 4, v0
	s_mov_b32 s6, s22
	s_mov_b64 s[4:5], 0xffff
	s_waitcnt lgkmcnt(0)
	s_and_b32 s1, s1, 0xffff
	s_add_u32 s2, s12, s14
	s_addc_u32 s3, s13, s15
	v_mov_b32_e32 v2, s3
	v_add_co_u32_e32 v1, vcc, s2, v1
	v_addc_co_u32_e32 v2, vcc, 0, v2, vcc
	v_add_co_u32_e32 v4, vcc, 8, v1
	v_addc_co_u32_e32 v5, vcc, 0, v2, vcc
	s_lshl_b32 s7, s1, 4
	v_add_lshl_u32 v2, v0, s1, 2
	s_lshl_b32 s8, s1, 2
	s_mov_b64 s[2:3], 0
	v_mov_b32_e32 v0, s0
	v_mov_b32_e32 v1, s0
.LBB85_24:                              ; =>This Inner Loop Header: Depth=1
	global_load_dwordx4 v[6:9], v[4:5], off offset:-8
	v_cmp_le_i64_e32 vcc, s[10:11], v[2:3]
	v_cmp_lt_u64_e64 s[0:1], s[4:5], v[2:3]
	s_or_b64 s[0:1], vcc, s[0:1]
	s_and_b64 s[0:1], exec, s[0:1]
	s_or_b64 s[2:3], s[0:1], s[2:3]
	s_waitcnt vmcnt(0)
	v_subrev_u32_e32 v7, s6, v7
	v_subrev_u32_e32 v6, s22, v6
	;; [unrolled: 1-line block ×4, first 2 shown]
	global_store_dwordx4 v[4:5], v[6:9], off offset:-8
	v_add_co_u32_e32 v4, vcc, s7, v4
	v_addc_co_u32_e32 v5, vcc, v5, v0, vcc
	v_add_co_u32_e32 v2, vcc, s8, v2
	v_addc_co_u32_e32 v3, vcc, v3, v1, vcc
	s_andn2_b64 exec, exec, s[2:3]
	s_cbranch_execnz .LBB85_24
.LBB85_25:
	s_endpgm
	.section	.rodata,"a",@progbits
	.p2align	6, 0x0
	.amdhsa_kernel _ZN2at6native12_GLOBAL__N_125multi_tensor_apply_kernelINS1_18TensorListMetadataILi1EEENS1_21BinaryOpScalarFunctorIiLi1ELi1ELi0EEEJSt5minusIiEiEEEvT_T0_DpT1_
		.amdhsa_group_segment_fixed_size 0
		.amdhsa_private_segment_fixed_size 0
		.amdhsa_kernarg_size 3632
		.amdhsa_user_sgpr_count 6
		.amdhsa_user_sgpr_private_segment_buffer 1
		.amdhsa_user_sgpr_dispatch_ptr 0
		.amdhsa_user_sgpr_queue_ptr 0
		.amdhsa_user_sgpr_kernarg_segment_ptr 1
		.amdhsa_user_sgpr_dispatch_id 0
		.amdhsa_user_sgpr_flat_scratch_init 0
		.amdhsa_user_sgpr_kernarg_preload_length 0
		.amdhsa_user_sgpr_kernarg_preload_offset 0
		.amdhsa_user_sgpr_private_segment_size 0
		.amdhsa_uses_dynamic_stack 0
		.amdhsa_system_sgpr_private_segment_wavefront_offset 0
		.amdhsa_system_sgpr_workgroup_id_x 1
		.amdhsa_system_sgpr_workgroup_id_y 0
		.amdhsa_system_sgpr_workgroup_id_z 0
		.amdhsa_system_sgpr_workgroup_info 0
		.amdhsa_system_vgpr_workitem_id 0
		.amdhsa_next_free_vgpr 22
		.amdhsa_next_free_sgpr 29
		.amdhsa_accum_offset 24
		.amdhsa_reserve_vcc 1
		.amdhsa_reserve_flat_scratch 0
		.amdhsa_float_round_mode_32 0
		.amdhsa_float_round_mode_16_64 0
		.amdhsa_float_denorm_mode_32 3
		.amdhsa_float_denorm_mode_16_64 3
		.amdhsa_dx10_clamp 1
		.amdhsa_ieee_mode 1
		.amdhsa_fp16_overflow 0
		.amdhsa_tg_split 0
		.amdhsa_exception_fp_ieee_invalid_op 0
		.amdhsa_exception_fp_denorm_src 0
		.amdhsa_exception_fp_ieee_div_zero 0
		.amdhsa_exception_fp_ieee_overflow 0
		.amdhsa_exception_fp_ieee_underflow 0
		.amdhsa_exception_fp_ieee_inexact 0
		.amdhsa_exception_int_div_zero 0
	.end_amdhsa_kernel
	.section	.text._ZN2at6native12_GLOBAL__N_125multi_tensor_apply_kernelINS1_18TensorListMetadataILi1EEENS1_21BinaryOpScalarFunctorIiLi1ELi1ELi0EEEJSt5minusIiEiEEEvT_T0_DpT1_,"axG",@progbits,_ZN2at6native12_GLOBAL__N_125multi_tensor_apply_kernelINS1_18TensorListMetadataILi1EEENS1_21BinaryOpScalarFunctorIiLi1ELi1ELi0EEEJSt5minusIiEiEEEvT_T0_DpT1_,comdat
.Lfunc_end85:
	.size	_ZN2at6native12_GLOBAL__N_125multi_tensor_apply_kernelINS1_18TensorListMetadataILi1EEENS1_21BinaryOpScalarFunctorIiLi1ELi1ELi0EEEJSt5minusIiEiEEEvT_T0_DpT1_, .Lfunc_end85-_ZN2at6native12_GLOBAL__N_125multi_tensor_apply_kernelINS1_18TensorListMetadataILi1EEENS1_21BinaryOpScalarFunctorIiLi1ELi1ELi0EEEJSt5minusIiEiEEEvT_T0_DpT1_
                                        ; -- End function
	.section	.AMDGPU.csdata,"",@progbits
; Kernel info:
; codeLenInByte = 1024
; NumSgprs: 33
; NumVgprs: 22
; NumAgprs: 0
; TotalNumVgprs: 22
; ScratchSize: 0
; MemoryBound: 0
; FloatMode: 240
; IeeeMode: 1
; LDSByteSize: 0 bytes/workgroup (compile time only)
; SGPRBlocks: 4
; VGPRBlocks: 2
; NumSGPRsForWavesPerEU: 33
; NumVGPRsForWavesPerEU: 22
; AccumOffset: 24
; Occupancy: 8
; WaveLimiterHint : 0
; COMPUTE_PGM_RSRC2:SCRATCH_EN: 0
; COMPUTE_PGM_RSRC2:USER_SGPR: 6
; COMPUTE_PGM_RSRC2:TRAP_HANDLER: 0
; COMPUTE_PGM_RSRC2:TGID_X_EN: 1
; COMPUTE_PGM_RSRC2:TGID_Y_EN: 0
; COMPUTE_PGM_RSRC2:TGID_Z_EN: 0
; COMPUTE_PGM_RSRC2:TIDIG_COMP_CNT: 0
; COMPUTE_PGM_RSRC3_GFX90A:ACCUM_OFFSET: 5
; COMPUTE_PGM_RSRC3_GFX90A:TG_SPLIT: 0
	.section	.text._ZN2at6native12_GLOBAL__N_125multi_tensor_apply_kernelINS1_18TensorListMetadataILi1EEENS1_21BinaryOpScalarFunctorIlLi1ELi1ELi0EEEJSt5minusIlElEEEvT_T0_DpT1_,"axG",@progbits,_ZN2at6native12_GLOBAL__N_125multi_tensor_apply_kernelINS1_18TensorListMetadataILi1EEENS1_21BinaryOpScalarFunctorIlLi1ELi1ELi0EEEJSt5minusIlElEEEvT_T0_DpT1_,comdat
	.globl	_ZN2at6native12_GLOBAL__N_125multi_tensor_apply_kernelINS1_18TensorListMetadataILi1EEENS1_21BinaryOpScalarFunctorIlLi1ELi1ELi0EEEJSt5minusIlElEEEvT_T0_DpT1_ ; -- Begin function _ZN2at6native12_GLOBAL__N_125multi_tensor_apply_kernelINS1_18TensorListMetadataILi1EEENS1_21BinaryOpScalarFunctorIlLi1ELi1ELi0EEEJSt5minusIlElEEEvT_T0_DpT1_
	.p2align	8
	.type	_ZN2at6native12_GLOBAL__N_125multi_tensor_apply_kernelINS1_18TensorListMetadataILi1EEENS1_21BinaryOpScalarFunctorIlLi1ELi1ELi0EEEJSt5minusIlElEEEvT_T0_DpT1_,@function
_ZN2at6native12_GLOBAL__N_125multi_tensor_apply_kernelINS1_18TensorListMetadataILi1EEENS1_21BinaryOpScalarFunctorIlLi1ELi1ELi0EEEJSt5minusIlElEEEvT_T0_DpT1_: ; @_ZN2at6native12_GLOBAL__N_125multi_tensor_apply_kernelINS1_18TensorListMetadataILi1EEENS1_21BinaryOpScalarFunctorIlLi1ELi1ELi0EEEJSt5minusIlElEEEvT_T0_DpT1_
; %bb.0:
	v_mov_b32_e32 v1, s6
	global_load_ubyte v1, v1, s[4:5] offset:1760
	s_add_u32 s0, s4, s6
	s_mul_hi_u32 s1, s6, 3
	s_mul_i32 s6, s6, 3
	s_addc_u32 s2, s5, 0
	s_add_u32 s0, s0, s6
	s_addc_u32 s1, s2, s1
	s_load_dword s0, s[0:1], 0x820
	s_mov_b32 s7, 0
	s_waitcnt vmcnt(0)
	v_readfirstlane_b32 s1, v1
	s_lshl_b32 s1, s1, 3
	s_load_dwordx2 s[10:11], s[4:5], 0xd30
	s_load_dwordx2 s[2:3], s[4:5], s1 offset:0x370
	s_load_dwordx2 s[14:15], s[4:5], s1 offset:0x0
	s_waitcnt lgkmcnt(0)
	s_ashr_i32 s1, s0, 31
	s_lshl_b64 s[16:17], s[0:1], 19
	s_lshl_b64 s[0:1], s[0:1], 16
	s_and_b32 s6, s14, 31
	s_sub_u32 s12, s2, s0
	s_subb_u32 s13, s3, s1
	s_and_b32 s0, s2, 3
	s_mov_b32 s1, s7
	s_or_b64 s[0:1], s[6:7], s[0:1]
	s_cmp_eq_u64 s[0:1], 0
	s_cbranch_scc1 .LBB86_21
; %bb.1:
	v_cmp_lt_i64_e64 s[0:1], s[12:13], 1
	s_and_b64 vcc, exec, s[0:1]
	s_cbranch_vccnz .LBB86_20
; %bb.2:
	s_load_dword s0, s[4:5], 0xd44
	v_mov_b32_e32 v2, 0x10000
	v_mov_b32_e32 v3, 0
	v_cmp_lt_u64_e32 vcc, s[12:13], v[2:3]
	v_lshlrev_b32_e32 v1, 3, v0
	s_waitcnt lgkmcnt(0)
	s_and_b32 s3, s0, 0xffff
	s_and_b64 s[0:1], vcc, exec
	s_cselect_b32 s19, s13, 0
	s_cselect_b32 s18, s12, 0x10000
	s_lshl_b32 s6, s3, 1
	s_lshl_b32 s24, s3, 2
	s_add_u32 s7, s14, s16
	s_addc_u32 s8, s15, s17
	v_mov_b32_e32 v3, s8
	v_add_co_u32_e32 v2, vcc, s7, v1
	s_mul_i32 s0, s3, 3
	v_addc_co_u32_e32 v3, vcc, 0, v3, vcc
	v_add_co_u32_e32 v1, vcc, s0, v0
	v_addc_co_u32_e64 v16, s[0:1], 0, 0, vcc
	v_add_co_u32_e32 v17, vcc, s6, v0
	v_addc_co_u32_e64 v18, s[0:1], 0, 0, vcc
	v_add_co_u32_e32 v19, vcc, s3, v0
	v_lshlrev_b32_e32 v4, 3, v19
	s_mov_b32 s2, 0
	v_addc_co_u32_e64 v20, s[0:1], 0, 0, vcc
	v_mov_b32_e32 v5, s8
	v_add_co_u32_e32 v4, vcc, s7, v4
	s_lshl_b32 s25, s3, 5
	s_mul_i32 s26, s3, 24
	s_mov_b32 s27, s2
	s_lshl_b32 s28, s3, 4
	s_mov_b32 s29, s2
	v_addc_co_u32_e32 v5, vcc, 0, v5, vcc
	s_mov_b64 s[20:21], 0
	v_pk_mov_b32 v[6:7], s[12:13], s[12:13] op_sel:[0,1]
	v_mov_b32_e32 v21, s2
	s_branch .LBB86_4
.LBB86_3:                               ;   in Loop: Header=BB86_4 Depth=1
	s_or_b64 exec, exec, s[0:1]
	s_add_u32 s20, s20, s24
	s_waitcnt vmcnt(0)
	v_mov_b32_e32 v8, 0x10000
	s_addc_u32 s21, s21, 0
	v_mov_b32_e32 v9, 0
	v_cmp_lt_i64_e32 vcc, s[20:21], v[6:7]
	v_cmp_lt_u64_e64 s[0:1], s[20:21], v[8:9]
	s_and_b64 s[0:1], vcc, s[0:1]
	v_add_co_u32_e32 v2, vcc, s25, v2
	v_addc_co_u32_e32 v3, vcc, v3, v21, vcc
	v_add_co_u32_e32 v4, vcc, s25, v4
	v_addc_co_u32_e32 v5, vcc, v5, v21, vcc
	s_and_b64 vcc, exec, s[0:1]
	s_cbranch_vccz .LBB86_20
.LBB86_4:                               ; =>This Inner Loop Header: Depth=1
	v_mov_b32_e32 v9, s21
	v_add_co_u32_e32 v8, vcc, s20, v0
	v_addc_co_u32_e32 v9, vcc, 0, v9, vcc
	v_cmp_gt_u64_e32 vcc, s[18:19], v[8:9]
	v_pk_mov_b32 v[8:9], 0, 0
	v_pk_mov_b32 v[12:13], v[8:9], v[8:9] op_sel:[0,1]
	s_and_saveexec_b64 s[0:1], vcc
	s_cbranch_execz .LBB86_6
; %bb.5:                                ;   in Loop: Header=BB86_4 Depth=1
	global_load_dwordx2 v[12:13], v[2:3], off
.LBB86_6:                               ;   in Loop: Header=BB86_4 Depth=1
	s_or_b64 exec, exec, s[0:1]
	v_mov_b32_e32 v11, s21
	v_add_co_u32_e64 v10, s[0:1], s20, v19
	v_addc_co_u32_e64 v11, s[0:1], v20, v11, s[0:1]
	v_cmp_gt_u64_e64 s[0:1], s[18:19], v[10:11]
	s_and_saveexec_b64 s[2:3], s[0:1]
	s_cbranch_execz .LBB86_8
; %bb.7:                                ;   in Loop: Header=BB86_4 Depth=1
	global_load_dwordx2 v[8:9], v[4:5], off
.LBB86_8:                               ;   in Loop: Header=BB86_4 Depth=1
	s_or_b64 exec, exec, s[2:3]
	v_mov_b32_e32 v11, s21
	v_add_co_u32_e64 v10, s[2:3], s20, v17
	v_addc_co_u32_e64 v11, s[2:3], v18, v11, s[2:3]
	v_cmp_gt_u64_e64 s[2:3], s[18:19], v[10:11]
	v_pk_mov_b32 v[10:11], 0, 0
	v_pk_mov_b32 v[14:15], v[10:11], v[10:11] op_sel:[0,1]
	s_and_saveexec_b64 s[8:9], s[2:3]
	s_cbranch_execz .LBB86_10
; %bb.9:                                ;   in Loop: Header=BB86_4 Depth=1
	v_mov_b32_e32 v15, s29
	v_add_co_u32_e64 v14, s[6:7], s28, v2
	v_addc_co_u32_e64 v15, s[6:7], v3, v15, s[6:7]
	global_load_dwordx2 v[14:15], v[14:15], off
.LBB86_10:                              ;   in Loop: Header=BB86_4 Depth=1
	s_or_b64 exec, exec, s[8:9]
	v_mov_b32_e32 v23, s21
	v_add_co_u32_e64 v22, s[6:7], s20, v1
	v_addc_co_u32_e64 v23, s[6:7], v16, v23, s[6:7]
	v_cmp_gt_u64_e64 s[6:7], s[18:19], v[22:23]
	s_and_saveexec_b64 s[22:23], s[6:7]
	s_cbranch_execnz .LBB86_15
; %bb.11:                               ;   in Loop: Header=BB86_4 Depth=1
	s_or_b64 exec, exec, s[22:23]
	s_and_saveexec_b64 s[8:9], vcc
	s_cbranch_execnz .LBB86_16
.LBB86_12:                              ;   in Loop: Header=BB86_4 Depth=1
	s_or_b64 exec, exec, s[8:9]
	s_and_saveexec_b64 s[8:9], s[0:1]
	s_cbranch_execnz .LBB86_17
.LBB86_13:                              ;   in Loop: Header=BB86_4 Depth=1
	s_or_b64 exec, exec, s[8:9]
	s_and_saveexec_b64 s[0:1], s[2:3]
	s_cbranch_execnz .LBB86_18
.LBB86_14:                              ;   in Loop: Header=BB86_4 Depth=1
	s_or_b64 exec, exec, s[0:1]
	s_and_saveexec_b64 s[0:1], s[6:7]
	s_cbranch_execz .LBB86_3
	s_branch .LBB86_19
.LBB86_15:                              ;   in Loop: Header=BB86_4 Depth=1
	v_mov_b32_e32 v11, s27
	v_add_co_u32_e64 v10, s[8:9], s26, v2
	v_addc_co_u32_e64 v11, s[8:9], v3, v11, s[8:9]
	global_load_dwordx2 v[10:11], v[10:11], off
	s_or_b64 exec, exec, s[22:23]
	s_and_saveexec_b64 s[8:9], vcc
	s_cbranch_execz .LBB86_12
.LBB86_16:                              ;   in Loop: Header=BB86_4 Depth=1
	v_mov_b32_e32 v22, s11
	s_waitcnt vmcnt(0)
	v_subrev_co_u32_e32 v12, vcc, s10, v12
	v_subb_co_u32_e32 v13, vcc, v13, v22, vcc
	global_store_dwordx2 v[2:3], v[12:13], off
	s_or_b64 exec, exec, s[8:9]
	s_and_saveexec_b64 s[8:9], s[0:1]
	s_cbranch_execz .LBB86_13
.LBB86_17:                              ;   in Loop: Header=BB86_4 Depth=1
	s_waitcnt vmcnt(0)
	v_mov_b32_e32 v12, s11
	v_subrev_co_u32_e32 v8, vcc, s10, v8
	v_subb_co_u32_e32 v9, vcc, v9, v12, vcc
	global_store_dwordx2 v[4:5], v[8:9], off
	s_or_b64 exec, exec, s[8:9]
	s_and_saveexec_b64 s[0:1], s[2:3]
	s_cbranch_execz .LBB86_14
.LBB86_18:                              ;   in Loop: Header=BB86_4 Depth=1
	s_waitcnt vmcnt(0)
	v_mov_b32_e32 v9, s11
	v_subrev_co_u32_e32 v8, vcc, s10, v14
	v_subb_co_u32_e32 v9, vcc, v15, v9, vcc
	v_mov_b32_e32 v13, s29
	v_add_co_u32_e32 v12, vcc, s28, v2
	v_addc_co_u32_e32 v13, vcc, v3, v13, vcc
	global_store_dwordx2 v[12:13], v[8:9], off
	s_or_b64 exec, exec, s[0:1]
	s_and_saveexec_b64 s[0:1], s[6:7]
	s_cbranch_execz .LBB86_3
.LBB86_19:                              ;   in Loop: Header=BB86_4 Depth=1
	s_waitcnt vmcnt(0)
	v_mov_b32_e32 v9, s11
	v_subrev_co_u32_e32 v8, vcc, s10, v10
	v_subb_co_u32_e32 v9, vcc, v11, v9, vcc
	v_mov_b32_e32 v11, s27
	v_add_co_u32_e32 v10, vcc, s26, v2
	v_addc_co_u32_e32 v11, vcc, v3, v11, vcc
	global_store_dwordx2 v[10:11], v[8:9], off
	s_branch .LBB86_3
.LBB86_20:
	s_cbranch_execz .LBB86_22
	s_branch .LBB86_25
.LBB86_21:
.LBB86_22:
	v_mov_b32_e32 v3, 0
	v_lshlrev_b32_e32 v2, 2, v0
	s_mov_b32 s0, 0
	v_cmp_gt_i64_e32 vcc, s[12:13], v[2:3]
	s_and_saveexec_b64 s[2:3], vcc
	s_cbranch_execz .LBB86_25
; %bb.23:
	s_load_dword s1, s[4:5], 0xd44
	v_lshlrev_b32_e32 v1, 5, v0
	s_mov_b64 s[4:5], 0
	s_mov_b64 s[6:7], 0xffff
	v_mov_b32_e32 v5, s0
	s_waitcnt lgkmcnt(0)
	s_and_b32 s1, s1, 0xffff
	s_lshl_b32 s8, s1, 2
	s_add_u32 s2, s14, s16
	s_addc_u32 s3, s15, s17
	v_add_lshl_u32 v2, v0, s1, 2
	v_mov_b32_e32 v0, s3
	v_add_co_u32_e32 v1, vcc, s2, v1
	v_addc_co_u32_e32 v4, vcc, 0, v0, vcc
	v_add_co_u32_e32 v0, vcc, 16, v1
	v_addc_co_u32_e32 v1, vcc, 0, v4, vcc
	s_lshl_b32 s9, s1, 5
	v_mov_b32_e32 v4, s11
	v_mov_b32_e32 v6, s0
.LBB86_24:                              ; =>This Inner Loop Header: Depth=1
	global_load_dwordx4 v[8:11], v[0:1], off offset:-16
	global_load_dwordx4 v[12:15], v[0:1], off
	v_cmp_le_i64_e32 vcc, s[12:13], v[2:3]
	v_cmp_lt_u64_e64 s[0:1], s[6:7], v[2:3]
	s_or_b64 s[0:1], vcc, s[0:1]
	v_add_co_u32_e64 v2, s[2:3], s8, v2
	s_and_b64 s[0:1], exec, s[0:1]
	v_addc_co_u32_e64 v3, s[2:3], v3, v5, s[2:3]
	s_or_b64 s[4:5], s[0:1], s[4:5]
	s_waitcnt vmcnt(1)
	v_subrev_co_u32_e32 v8, vcc, s10, v8
	v_subb_co_u32_e32 v9, vcc, v9, v4, vcc
	v_subrev_co_u32_e32 v10, vcc, s10, v10
	v_subb_co_u32_e32 v11, vcc, v11, v4, vcc
	s_waitcnt vmcnt(0)
	v_subrev_co_u32_e32 v12, vcc, s10, v12
	v_subb_co_u32_e32 v13, vcc, v13, v4, vcc
	v_subrev_co_u32_e32 v14, vcc, s10, v14
	v_subb_co_u32_e32 v15, vcc, v15, v4, vcc
	global_store_dwordx4 v[0:1], v[8:11], off offset:-16
	global_store_dwordx4 v[0:1], v[12:15], off
	v_add_co_u32_e32 v0, vcc, s9, v0
	v_addc_co_u32_e32 v1, vcc, v1, v6, vcc
	s_andn2_b64 exec, exec, s[4:5]
	s_cbranch_execnz .LBB86_24
.LBB86_25:
	s_endpgm
	.section	.rodata,"a",@progbits
	.p2align	6, 0x0
	.amdhsa_kernel _ZN2at6native12_GLOBAL__N_125multi_tensor_apply_kernelINS1_18TensorListMetadataILi1EEENS1_21BinaryOpScalarFunctorIlLi1ELi1ELi0EEEJSt5minusIlElEEEvT_T0_DpT1_
		.amdhsa_group_segment_fixed_size 0
		.amdhsa_private_segment_fixed_size 0
		.amdhsa_kernarg_size 3640
		.amdhsa_user_sgpr_count 6
		.amdhsa_user_sgpr_private_segment_buffer 1
		.amdhsa_user_sgpr_dispatch_ptr 0
		.amdhsa_user_sgpr_queue_ptr 0
		.amdhsa_user_sgpr_kernarg_segment_ptr 1
		.amdhsa_user_sgpr_dispatch_id 0
		.amdhsa_user_sgpr_flat_scratch_init 0
		.amdhsa_user_sgpr_kernarg_preload_length 0
		.amdhsa_user_sgpr_kernarg_preload_offset 0
		.amdhsa_user_sgpr_private_segment_size 0
		.amdhsa_uses_dynamic_stack 0
		.amdhsa_system_sgpr_private_segment_wavefront_offset 0
		.amdhsa_system_sgpr_workgroup_id_x 1
		.amdhsa_system_sgpr_workgroup_id_y 0
		.amdhsa_system_sgpr_workgroup_id_z 0
		.amdhsa_system_sgpr_workgroup_info 0
		.amdhsa_system_vgpr_workitem_id 0
		.amdhsa_next_free_vgpr 24
		.amdhsa_next_free_sgpr 30
		.amdhsa_accum_offset 24
		.amdhsa_reserve_vcc 1
		.amdhsa_reserve_flat_scratch 0
		.amdhsa_float_round_mode_32 0
		.amdhsa_float_round_mode_16_64 0
		.amdhsa_float_denorm_mode_32 3
		.amdhsa_float_denorm_mode_16_64 3
		.amdhsa_dx10_clamp 1
		.amdhsa_ieee_mode 1
		.amdhsa_fp16_overflow 0
		.amdhsa_tg_split 0
		.amdhsa_exception_fp_ieee_invalid_op 0
		.amdhsa_exception_fp_denorm_src 0
		.amdhsa_exception_fp_ieee_div_zero 0
		.amdhsa_exception_fp_ieee_overflow 0
		.amdhsa_exception_fp_ieee_underflow 0
		.amdhsa_exception_fp_ieee_inexact 0
		.amdhsa_exception_int_div_zero 0
	.end_amdhsa_kernel
	.section	.text._ZN2at6native12_GLOBAL__N_125multi_tensor_apply_kernelINS1_18TensorListMetadataILi1EEENS1_21BinaryOpScalarFunctorIlLi1ELi1ELi0EEEJSt5minusIlElEEEvT_T0_DpT1_,"axG",@progbits,_ZN2at6native12_GLOBAL__N_125multi_tensor_apply_kernelINS1_18TensorListMetadataILi1EEENS1_21BinaryOpScalarFunctorIlLi1ELi1ELi0EEEJSt5minusIlElEEEvT_T0_DpT1_,comdat
.Lfunc_end86:
	.size	_ZN2at6native12_GLOBAL__N_125multi_tensor_apply_kernelINS1_18TensorListMetadataILi1EEENS1_21BinaryOpScalarFunctorIlLi1ELi1ELi0EEEJSt5minusIlElEEEvT_T0_DpT1_, .Lfunc_end86-_ZN2at6native12_GLOBAL__N_125multi_tensor_apply_kernelINS1_18TensorListMetadataILi1EEENS1_21BinaryOpScalarFunctorIlLi1ELi1ELi0EEEJSt5minusIlElEEEvT_T0_DpT1_
                                        ; -- End function
	.section	.AMDGPU.csdata,"",@progbits
; Kernel info:
; codeLenInByte = 1128
; NumSgprs: 34
; NumVgprs: 24
; NumAgprs: 0
; TotalNumVgprs: 24
; ScratchSize: 0
; MemoryBound: 0
; FloatMode: 240
; IeeeMode: 1
; LDSByteSize: 0 bytes/workgroup (compile time only)
; SGPRBlocks: 4
; VGPRBlocks: 2
; NumSGPRsForWavesPerEU: 34
; NumVGPRsForWavesPerEU: 24
; AccumOffset: 24
; Occupancy: 8
; WaveLimiterHint : 0
; COMPUTE_PGM_RSRC2:SCRATCH_EN: 0
; COMPUTE_PGM_RSRC2:USER_SGPR: 6
; COMPUTE_PGM_RSRC2:TRAP_HANDLER: 0
; COMPUTE_PGM_RSRC2:TGID_X_EN: 1
; COMPUTE_PGM_RSRC2:TGID_Y_EN: 0
; COMPUTE_PGM_RSRC2:TGID_Z_EN: 0
; COMPUTE_PGM_RSRC2:TIDIG_COMP_CNT: 0
; COMPUTE_PGM_RSRC3_GFX90A:ACCUM_OFFSET: 5
; COMPUTE_PGM_RSRC3_GFX90A:TG_SPLIT: 0
	.section	.text._ZN2at6native12_GLOBAL__N_125multi_tensor_apply_kernelINS1_18TensorListMetadataILi1EEENS1_21BinaryOpScalarFunctorIsLi1ELi1ELi0EEEJSt5minusIsEsEEEvT_T0_DpT1_,"axG",@progbits,_ZN2at6native12_GLOBAL__N_125multi_tensor_apply_kernelINS1_18TensorListMetadataILi1EEENS1_21BinaryOpScalarFunctorIsLi1ELi1ELi0EEEJSt5minusIsEsEEEvT_T0_DpT1_,comdat
	.globl	_ZN2at6native12_GLOBAL__N_125multi_tensor_apply_kernelINS1_18TensorListMetadataILi1EEENS1_21BinaryOpScalarFunctorIsLi1ELi1ELi0EEEJSt5minusIsEsEEEvT_T0_DpT1_ ; -- Begin function _ZN2at6native12_GLOBAL__N_125multi_tensor_apply_kernelINS1_18TensorListMetadataILi1EEENS1_21BinaryOpScalarFunctorIsLi1ELi1ELi0EEEJSt5minusIsEsEEEvT_T0_DpT1_
	.p2align	8
	.type	_ZN2at6native12_GLOBAL__N_125multi_tensor_apply_kernelINS1_18TensorListMetadataILi1EEENS1_21BinaryOpScalarFunctorIsLi1ELi1ELi0EEEJSt5minusIsEsEEEvT_T0_DpT1_,@function
_ZN2at6native12_GLOBAL__N_125multi_tensor_apply_kernelINS1_18TensorListMetadataILi1EEENS1_21BinaryOpScalarFunctorIsLi1ELi1ELi0EEEJSt5minusIsEsEEEvT_T0_DpT1_: ; @_ZN2at6native12_GLOBAL__N_125multi_tensor_apply_kernelINS1_18TensorListMetadataILi1EEENS1_21BinaryOpScalarFunctorIsLi1ELi1ELi0EEEJSt5minusIsEsEEEvT_T0_DpT1_
; %bb.0:
	v_mov_b32_e32 v1, s6
	global_load_ubyte v1, v1, s[4:5] offset:1760
	s_load_dword s0, s[4:5], 0xd28
	s_mul_i32 s2, s6, 3
	s_mul_hi_u32 s1, s6, 3
	s_mov_b32 s7, 0
	s_waitcnt lgkmcnt(0)
	s_lshr_b32 s22, s0, 16
	s_add_u32 s0, s4, s6
	s_addc_u32 s3, s5, 0
	s_add_u32 s0, s0, s2
	s_addc_u32 s1, s3, s1
	s_load_dword s0, s[0:1], 0x820
	s_waitcnt vmcnt(0)
	v_readfirstlane_b32 s2, v1
	s_lshl_b32 s1, s2, 3
	s_load_dwordx2 s[2:3], s[4:5], s1 offset:0x370
	s_load_dwordx2 s[12:13], s[4:5], s1 offset:0x0
	s_waitcnt lgkmcnt(0)
	s_ashr_i32 s1, s0, 31
	s_lshl_b64 s[14:15], s[0:1], 17
	s_lshl_b64 s[0:1], s[0:1], 16
	s_and_b32 s6, s12, 7
	s_sub_u32 s10, s2, s0
	s_subb_u32 s11, s3, s1
	s_and_b32 s0, s2, 3
	s_mov_b32 s1, s7
	s_or_b64 s[0:1], s[6:7], s[0:1]
	s_cmp_eq_u64 s[0:1], 0
	s_cbranch_scc1 .LBB87_21
; %bb.1:
	v_cmp_lt_i64_e64 s[0:1], s[10:11], 1
	s_and_b64 vcc, exec, s[0:1]
	s_cbranch_vccnz .LBB87_20
; %bb.2:
	s_load_dword s0, s[4:5], 0xd3c
	v_mov_b32_e32 v2, 0x10000
	v_mov_b32_e32 v3, 0
	v_cmp_lt_u64_e32 vcc, s[10:11], v[2:3]
	v_lshlrev_b32_e32 v1, 1, v0
	s_waitcnt lgkmcnt(0)
	s_and_b32 s2, s0, 0xffff
	s_and_b64 s[0:1], vcc, exec
	s_cselect_b32 s17, s11, 0
	s_cselect_b32 s16, s10, 0x10000
	s_lshl_b32 s3, s2, 1
	s_lshl_b32 s24, s2, 2
	s_add_u32 s6, s12, s14
	s_addc_u32 s7, s13, s15
	v_mov_b32_e32 v5, s7
	v_add_co_u32_e32 v4, vcc, s6, v1
	s_mul_i32 s0, s2, 3
	v_addc_co_u32_e32 v5, vcc, 0, v5, vcc
	v_add_co_u32_e32 v1, vcc, s0, v0
	v_addc_co_u32_e64 v10, s[0:1], 0, 0, vcc
	v_add_co_u32_e32 v11, vcc, s3, v0
	v_addc_co_u32_e64 v12, s[0:1], 0, 0, vcc
	v_add_co_u32_e32 v13, vcc, s2, v0
	v_lshlrev_b32_e32 v6, 1, v13
	s_mov_b32 s23, 0
	v_addc_co_u32_e64 v14, s[0:1], 0, 0, vcc
	v_mov_b32_e32 v7, s7
	v_add_co_u32_e32 v6, vcc, s6, v6
	s_lshl_b32 s25, s2, 3
	s_mul_i32 s26, s2, 6
	s_mov_b32 s27, s23
	v_addc_co_u32_e32 v7, vcc, 0, v7, vcc
	s_mov_b64 s[18:19], 0
	v_pk_mov_b32 v[8:9], s[10:11], s[10:11] op_sel:[0,1]
	v_mov_b32_e32 v15, s23
	s_branch .LBB87_4
.LBB87_3:                               ;   in Loop: Header=BB87_4 Depth=1
	s_or_b64 exec, exec, s[0:1]
	s_add_u32 s18, s18, s24
	s_addc_u32 s19, s19, 0
	v_cmp_lt_i64_e32 vcc, s[18:19], v[8:9]
	v_cmp_lt_u64_e64 s[0:1], s[18:19], v[2:3]
	s_and_b64 s[0:1], vcc, s[0:1]
	v_add_co_u32_e32 v4, vcc, s25, v4
	v_addc_co_u32_e32 v5, vcc, v5, v15, vcc
	v_add_co_u32_e32 v6, vcc, s25, v6
	v_addc_co_u32_e32 v7, vcc, v7, v15, vcc
	s_and_b64 vcc, exec, s[0:1]
	s_cbranch_vccz .LBB87_20
.LBB87_4:                               ; =>This Inner Loop Header: Depth=1
	s_waitcnt vmcnt(0)
	v_mov_b32_e32 v17, s19
	v_add_co_u32_e32 v16, vcc, s18, v0
	v_addc_co_u32_e32 v17, vcc, 0, v17, vcc
	v_cmp_gt_u64_e32 vcc, s[16:17], v[16:17]
	v_mov_b32_e32 v16, 0
	s_and_saveexec_b64 s[0:1], vcc
	s_cbranch_execz .LBB87_6
; %bb.5:                                ;   in Loop: Header=BB87_4 Depth=1
	global_load_ushort v16, v[4:5], off
.LBB87_6:                               ;   in Loop: Header=BB87_4 Depth=1
	s_or_b64 exec, exec, s[0:1]
	v_mov_b32_e32 v17, s19
	v_add_co_u32_e64 v18, s[0:1], s18, v13
	v_addc_co_u32_e64 v19, s[0:1], v14, v17, s[0:1]
	v_cmp_gt_u64_e64 s[0:1], s[16:17], v[18:19]
	v_mov_b32_e32 v18, 0
	s_and_saveexec_b64 s[2:3], s[0:1]
	s_cbranch_execz .LBB87_8
; %bb.7:                                ;   in Loop: Header=BB87_4 Depth=1
	global_load_ushort v18, v[6:7], off
.LBB87_8:                               ;   in Loop: Header=BB87_4 Depth=1
	s_or_b64 exec, exec, s[2:3]
	v_mov_b32_e32 v17, s19
	v_add_co_u32_e64 v20, s[2:3], s18, v11
	v_addc_co_u32_e64 v21, s[2:3], v12, v17, s[2:3]
	v_cmp_gt_u64_e64 s[2:3], s[16:17], v[20:21]
	v_mov_b32_e32 v17, 0
	v_mov_b32_e32 v19, 0
	s_and_saveexec_b64 s[8:9], s[2:3]
	s_cbranch_execz .LBB87_10
; %bb.9:                                ;   in Loop: Header=BB87_4 Depth=1
	v_mov_b32_e32 v19, s23
	v_add_co_u32_e64 v20, s[6:7], s24, v4
	v_addc_co_u32_e64 v21, s[6:7], v5, v19, s[6:7]
	global_load_ushort v19, v[20:21], off
.LBB87_10:                              ;   in Loop: Header=BB87_4 Depth=1
	s_or_b64 exec, exec, s[8:9]
	v_mov_b32_e32 v21, s19
	v_add_co_u32_e64 v20, s[6:7], s18, v1
	v_addc_co_u32_e64 v21, s[6:7], v10, v21, s[6:7]
	v_cmp_gt_u64_e64 s[6:7], s[16:17], v[20:21]
	s_and_saveexec_b64 s[20:21], s[6:7]
	s_cbranch_execnz .LBB87_15
; %bb.11:                               ;   in Loop: Header=BB87_4 Depth=1
	s_or_b64 exec, exec, s[20:21]
	s_and_saveexec_b64 s[8:9], vcc
	s_cbranch_execnz .LBB87_16
.LBB87_12:                              ;   in Loop: Header=BB87_4 Depth=1
	s_or_b64 exec, exec, s[8:9]
	s_and_saveexec_b64 s[8:9], s[0:1]
	s_cbranch_execnz .LBB87_17
.LBB87_13:                              ;   in Loop: Header=BB87_4 Depth=1
	s_or_b64 exec, exec, s[8:9]
	s_and_saveexec_b64 s[0:1], s[2:3]
	s_cbranch_execnz .LBB87_18
.LBB87_14:                              ;   in Loop: Header=BB87_4 Depth=1
	s_or_b64 exec, exec, s[0:1]
	s_and_saveexec_b64 s[0:1], s[6:7]
	s_cbranch_execz .LBB87_3
	s_branch .LBB87_19
.LBB87_15:                              ;   in Loop: Header=BB87_4 Depth=1
	v_mov_b32_e32 v17, s27
	v_add_co_u32_e64 v20, s[8:9], s26, v4
	v_addc_co_u32_e64 v21, s[8:9], v5, v17, s[8:9]
	global_load_ushort v17, v[20:21], off
	s_or_b64 exec, exec, s[20:21]
	s_and_saveexec_b64 s[8:9], vcc
	s_cbranch_execz .LBB87_12
.LBB87_16:                              ;   in Loop: Header=BB87_4 Depth=1
	s_waitcnt vmcnt(0)
	v_subrev_u16_e32 v16, s22, v16
	global_store_short v[4:5], v16, off
	s_or_b64 exec, exec, s[8:9]
	s_and_saveexec_b64 s[8:9], s[0:1]
	s_cbranch_execz .LBB87_13
.LBB87_17:                              ;   in Loop: Header=BB87_4 Depth=1
	s_waitcnt vmcnt(0)
	v_subrev_u16_e32 v16, s22, v18
	global_store_short v[6:7], v16, off
	s_or_b64 exec, exec, s[8:9]
	s_and_saveexec_b64 s[0:1], s[2:3]
	s_cbranch_execz .LBB87_14
.LBB87_18:                              ;   in Loop: Header=BB87_4 Depth=1
	s_waitcnt vmcnt(0)
	v_subrev_u16_e32 v16, s22, v19
	v_mov_b32_e32 v19, s23
	v_add_co_u32_e32 v18, vcc, s24, v4
	v_addc_co_u32_e32 v19, vcc, v5, v19, vcc
	global_store_short v[18:19], v16, off
	s_or_b64 exec, exec, s[0:1]
	s_and_saveexec_b64 s[0:1], s[6:7]
	s_cbranch_execz .LBB87_3
.LBB87_19:                              ;   in Loop: Header=BB87_4 Depth=1
	s_waitcnt vmcnt(0)
	v_subrev_u16_e32 v18, s22, v17
	v_mov_b32_e32 v17, s27
	v_add_co_u32_e32 v16, vcc, s26, v4
	v_addc_co_u32_e32 v17, vcc, v5, v17, vcc
	global_store_short v[16:17], v18, off
	s_branch .LBB87_3
.LBB87_20:
	s_cbranch_execz .LBB87_22
	s_branch .LBB87_25
.LBB87_21:
.LBB87_22:
	v_mov_b32_e32 v3, 0
	v_lshlrev_b32_e32 v2, 2, v0
	s_mov_b32 s0, 0
	v_cmp_gt_i64_e32 vcc, s[10:11], v[2:3]
	s_and_saveexec_b64 s[2:3], vcc
	s_cbranch_execz .LBB87_25
; %bb.23:
	s_load_dword s1, s[4:5], 0xd3c
	v_lshlrev_b32_e32 v1, 3, v0
	s_mov_b64 s[4:5], 0xffff
	s_waitcnt lgkmcnt(0)
	s_and_b32 s1, s1, 0xffff
	s_add_u32 s2, s12, s14
	s_addc_u32 s3, s13, s15
	v_mov_b32_e32 v2, s3
	v_add_co_u32_e32 v4, vcc, s2, v1
	v_addc_co_u32_e32 v5, vcc, 0, v2, vcc
	s_lshl_b32 s6, s1, 3
	v_add_lshl_u32 v2, v0, s1, 2
	s_lshl_b32 s7, s1, 2
	s_mov_b64 s[2:3], 0
	v_mov_b32_e32 v0, s0
	v_mov_b32_e32 v1, s0
.LBB87_24:                              ; =>This Inner Loop Header: Depth=1
	global_load_dwordx2 v[6:7], v[4:5], off
	v_cmp_le_i64_e32 vcc, s[10:11], v[2:3]
	v_cmp_lt_u64_e64 s[0:1], s[4:5], v[2:3]
	s_or_b64 s[0:1], vcc, s[0:1]
	s_and_b64 s[0:1], exec, s[0:1]
	s_or_b64 s[2:3], s[0:1], s[2:3]
	s_waitcnt vmcnt(0)
	v_sub_u16_sdwa v8, v6, s22 dst_sel:WORD_1 dst_unused:UNUSED_PAD src0_sel:WORD_1 src1_sel:DWORD
	v_sub_u16_sdwa v9, v7, s22 dst_sel:WORD_1 dst_unused:UNUSED_PAD src0_sel:WORD_1 src1_sel:DWORD
	v_subrev_u16_e32 v7, s22, v7
	v_subrev_u16_e32 v6, s22, v6
	v_or_b32_e32 v7, v9, v7
	v_or_b32_e32 v6, v8, v6
	global_store_dwordx2 v[4:5], v[6:7], off
	v_add_co_u32_e32 v4, vcc, s6, v4
	v_addc_co_u32_e32 v5, vcc, v5, v0, vcc
	v_add_co_u32_e32 v2, vcc, s7, v2
	v_addc_co_u32_e32 v3, vcc, v3, v1, vcc
	s_andn2_b64 exec, exec, s[2:3]
	s_cbranch_execnz .LBB87_24
.LBB87_25:
	s_endpgm
	.section	.rodata,"a",@progbits
	.p2align	6, 0x0
	.amdhsa_kernel _ZN2at6native12_GLOBAL__N_125multi_tensor_apply_kernelINS1_18TensorListMetadataILi1EEENS1_21BinaryOpScalarFunctorIsLi1ELi1ELi0EEEJSt5minusIsEsEEEvT_T0_DpT1_
		.amdhsa_group_segment_fixed_size 0
		.amdhsa_private_segment_fixed_size 0
		.amdhsa_kernarg_size 3632
		.amdhsa_user_sgpr_count 6
		.amdhsa_user_sgpr_private_segment_buffer 1
		.amdhsa_user_sgpr_dispatch_ptr 0
		.amdhsa_user_sgpr_queue_ptr 0
		.amdhsa_user_sgpr_kernarg_segment_ptr 1
		.amdhsa_user_sgpr_dispatch_id 0
		.amdhsa_user_sgpr_flat_scratch_init 0
		.amdhsa_user_sgpr_kernarg_preload_length 0
		.amdhsa_user_sgpr_kernarg_preload_offset 0
		.amdhsa_user_sgpr_private_segment_size 0
		.amdhsa_uses_dynamic_stack 0
		.amdhsa_system_sgpr_private_segment_wavefront_offset 0
		.amdhsa_system_sgpr_workgroup_id_x 1
		.amdhsa_system_sgpr_workgroup_id_y 0
		.amdhsa_system_sgpr_workgroup_id_z 0
		.amdhsa_system_sgpr_workgroup_info 0
		.amdhsa_system_vgpr_workitem_id 0
		.amdhsa_next_free_vgpr 22
		.amdhsa_next_free_sgpr 28
		.amdhsa_accum_offset 24
		.amdhsa_reserve_vcc 1
		.amdhsa_reserve_flat_scratch 0
		.amdhsa_float_round_mode_32 0
		.amdhsa_float_round_mode_16_64 0
		.amdhsa_float_denorm_mode_32 3
		.amdhsa_float_denorm_mode_16_64 3
		.amdhsa_dx10_clamp 1
		.amdhsa_ieee_mode 1
		.amdhsa_fp16_overflow 0
		.amdhsa_tg_split 0
		.amdhsa_exception_fp_ieee_invalid_op 0
		.amdhsa_exception_fp_denorm_src 0
		.amdhsa_exception_fp_ieee_div_zero 0
		.amdhsa_exception_fp_ieee_overflow 0
		.amdhsa_exception_fp_ieee_underflow 0
		.amdhsa_exception_fp_ieee_inexact 0
		.amdhsa_exception_int_div_zero 0
	.end_amdhsa_kernel
	.section	.text._ZN2at6native12_GLOBAL__N_125multi_tensor_apply_kernelINS1_18TensorListMetadataILi1EEENS1_21BinaryOpScalarFunctorIsLi1ELi1ELi0EEEJSt5minusIsEsEEEvT_T0_DpT1_,"axG",@progbits,_ZN2at6native12_GLOBAL__N_125multi_tensor_apply_kernelINS1_18TensorListMetadataILi1EEENS1_21BinaryOpScalarFunctorIsLi1ELi1ELi0EEEJSt5minusIsEsEEEvT_T0_DpT1_,comdat
.Lfunc_end87:
	.size	_ZN2at6native12_GLOBAL__N_125multi_tensor_apply_kernelINS1_18TensorListMetadataILi1EEENS1_21BinaryOpScalarFunctorIsLi1ELi1ELi0EEEJSt5minusIsEsEEEvT_T0_DpT1_, .Lfunc_end87-_ZN2at6native12_GLOBAL__N_125multi_tensor_apply_kernelINS1_18TensorListMetadataILi1EEENS1_21BinaryOpScalarFunctorIsLi1ELi1ELi0EEEJSt5minusIsEsEEEvT_T0_DpT1_
                                        ; -- End function
	.section	.AMDGPU.csdata,"",@progbits
; Kernel info:
; codeLenInByte = 1028
; NumSgprs: 32
; NumVgprs: 22
; NumAgprs: 0
; TotalNumVgprs: 22
; ScratchSize: 0
; MemoryBound: 0
; FloatMode: 240
; IeeeMode: 1
; LDSByteSize: 0 bytes/workgroup (compile time only)
; SGPRBlocks: 3
; VGPRBlocks: 2
; NumSGPRsForWavesPerEU: 32
; NumVGPRsForWavesPerEU: 22
; AccumOffset: 24
; Occupancy: 8
; WaveLimiterHint : 0
; COMPUTE_PGM_RSRC2:SCRATCH_EN: 0
; COMPUTE_PGM_RSRC2:USER_SGPR: 6
; COMPUTE_PGM_RSRC2:TRAP_HANDLER: 0
; COMPUTE_PGM_RSRC2:TGID_X_EN: 1
; COMPUTE_PGM_RSRC2:TGID_Y_EN: 0
; COMPUTE_PGM_RSRC2:TGID_Z_EN: 0
; COMPUTE_PGM_RSRC2:TIDIG_COMP_CNT: 0
; COMPUTE_PGM_RSRC3_GFX90A:ACCUM_OFFSET: 5
; COMPUTE_PGM_RSRC3_GFX90A:TG_SPLIT: 0
	.section	.text._ZN2at6native12_GLOBAL__N_125multi_tensor_apply_kernelINS1_18TensorListMetadataILi1EEENS1_21BinaryOpScalarFunctorIdLi1ELi1ELi0EEEJSt5minusIdEdEEEvT_T0_DpT1_,"axG",@progbits,_ZN2at6native12_GLOBAL__N_125multi_tensor_apply_kernelINS1_18TensorListMetadataILi1EEENS1_21BinaryOpScalarFunctorIdLi1ELi1ELi0EEEJSt5minusIdEdEEEvT_T0_DpT1_,comdat
	.globl	_ZN2at6native12_GLOBAL__N_125multi_tensor_apply_kernelINS1_18TensorListMetadataILi1EEENS1_21BinaryOpScalarFunctorIdLi1ELi1ELi0EEEJSt5minusIdEdEEEvT_T0_DpT1_ ; -- Begin function _ZN2at6native12_GLOBAL__N_125multi_tensor_apply_kernelINS1_18TensorListMetadataILi1EEENS1_21BinaryOpScalarFunctorIdLi1ELi1ELi0EEEJSt5minusIdEdEEEvT_T0_DpT1_
	.p2align	8
	.type	_ZN2at6native12_GLOBAL__N_125multi_tensor_apply_kernelINS1_18TensorListMetadataILi1EEENS1_21BinaryOpScalarFunctorIdLi1ELi1ELi0EEEJSt5minusIdEdEEEvT_T0_DpT1_,@function
_ZN2at6native12_GLOBAL__N_125multi_tensor_apply_kernelINS1_18TensorListMetadataILi1EEENS1_21BinaryOpScalarFunctorIdLi1ELi1ELi0EEEJSt5minusIdEdEEEvT_T0_DpT1_: ; @_ZN2at6native12_GLOBAL__N_125multi_tensor_apply_kernelINS1_18TensorListMetadataILi1EEENS1_21BinaryOpScalarFunctorIdLi1ELi1ELi0EEEJSt5minusIdEdEEEvT_T0_DpT1_
; %bb.0:
	v_mov_b32_e32 v1, s6
	global_load_ubyte v1, v1, s[4:5] offset:1760
	s_add_u32 s0, s4, s6
	s_mul_hi_u32 s1, s6, 3
	s_mul_i32 s6, s6, 3
	s_addc_u32 s2, s5, 0
	s_add_u32 s0, s0, s6
	s_addc_u32 s1, s2, s1
	s_load_dword s0, s[0:1], 0x820
	s_mov_b32 s7, 0
	s_waitcnt vmcnt(0)
	v_readfirstlane_b32 s1, v1
	s_lshl_b32 s1, s1, 3
	s_load_dwordx2 s[10:11], s[4:5], 0xd30
	s_load_dwordx2 s[2:3], s[4:5], s1 offset:0x370
	s_load_dwordx2 s[14:15], s[4:5], s1 offset:0x0
	s_waitcnt lgkmcnt(0)
	s_ashr_i32 s1, s0, 31
	s_lshl_b64 s[16:17], s[0:1], 19
	s_lshl_b64 s[0:1], s[0:1], 16
	s_and_b32 s6, s14, 31
	s_sub_u32 s12, s2, s0
	s_subb_u32 s13, s3, s1
	s_and_b32 s0, s2, 3
	s_mov_b32 s1, s7
	s_or_b64 s[0:1], s[6:7], s[0:1]
	s_cmp_eq_u64 s[0:1], 0
	s_cbranch_scc1 .LBB88_21
; %bb.1:
	v_cmp_lt_i64_e64 s[0:1], s[12:13], 1
	s_and_b64 vcc, exec, s[0:1]
	s_cbranch_vccnz .LBB88_20
; %bb.2:
	s_load_dword s0, s[4:5], 0xd44
	v_mov_b32_e32 v2, 0x10000
	v_mov_b32_e32 v3, 0
	v_cmp_lt_u64_e32 vcc, s[12:13], v[2:3]
	v_lshlrev_b32_e32 v1, 3, v0
	s_waitcnt lgkmcnt(0)
	s_and_b32 s3, s0, 0xffff
	s_and_b64 s[0:1], vcc, exec
	s_cselect_b32 s19, s13, 0
	s_cselect_b32 s18, s12, 0x10000
	s_lshl_b32 s6, s3, 1
	s_lshl_b32 s24, s3, 2
	s_add_u32 s7, s14, s16
	s_addc_u32 s8, s15, s17
	v_mov_b32_e32 v5, s8
	v_add_co_u32_e32 v4, vcc, s7, v1
	s_mul_i32 s0, s3, 3
	v_addc_co_u32_e32 v5, vcc, 0, v5, vcc
	v_add_co_u32_e32 v1, vcc, s0, v0
	v_addc_co_u32_e64 v18, s[0:1], 0, 0, vcc
	v_add_co_u32_e32 v19, vcc, s6, v0
	v_addc_co_u32_e64 v20, s[0:1], 0, 0, vcc
	v_add_co_u32_e32 v21, vcc, s3, v0
	v_lshlrev_b32_e32 v6, 3, v21
	s_mov_b32 s2, 0
	v_addc_co_u32_e64 v22, s[0:1], 0, 0, vcc
	v_mov_b32_e32 v7, s8
	v_add_co_u32_e32 v6, vcc, s7, v6
	s_lshl_b32 s25, s3, 5
	s_mul_i32 s26, s3, 24
	s_mov_b32 s27, s2
	s_lshl_b32 s28, s3, 4
	s_mov_b32 s29, s2
	v_addc_co_u32_e32 v7, vcc, 0, v7, vcc
	s_mov_b64 s[20:21], 0
	v_pk_mov_b32 v[8:9], s[12:13], s[12:13] op_sel:[0,1]
	v_mov_b32_e32 v23, s2
	s_branch .LBB88_4
.LBB88_3:                               ;   in Loop: Header=BB88_4 Depth=1
	s_or_b64 exec, exec, s[0:1]
	s_add_u32 s20, s20, s24
	s_addc_u32 s21, s21, 0
	v_cmp_lt_i64_e32 vcc, s[20:21], v[8:9]
	v_cmp_lt_u64_e64 s[0:1], s[20:21], v[2:3]
	s_and_b64 s[0:1], vcc, s[0:1]
	v_add_co_u32_e32 v4, vcc, s25, v4
	v_addc_co_u32_e32 v5, vcc, v5, v23, vcc
	v_add_co_u32_e32 v6, vcc, s25, v6
	v_addc_co_u32_e32 v7, vcc, v7, v23, vcc
	s_and_b64 vcc, exec, s[0:1]
	s_cbranch_vccz .LBB88_20
.LBB88_4:                               ; =>This Inner Loop Header: Depth=1
	s_waitcnt vmcnt(0)
	v_mov_b32_e32 v11, s21
	v_add_co_u32_e32 v10, vcc, s20, v0
	v_addc_co_u32_e32 v11, vcc, 0, v11, vcc
	v_cmp_gt_u64_e32 vcc, s[18:19], v[10:11]
	v_pk_mov_b32 v[10:11], 0, 0
	v_pk_mov_b32 v[12:13], v[10:11], v[10:11] op_sel:[0,1]
	s_and_saveexec_b64 s[0:1], vcc
	s_cbranch_execz .LBB88_6
; %bb.5:                                ;   in Loop: Header=BB88_4 Depth=1
	global_load_dwordx2 v[12:13], v[4:5], off
.LBB88_6:                               ;   in Loop: Header=BB88_4 Depth=1
	s_or_b64 exec, exec, s[0:1]
	v_mov_b32_e32 v15, s21
	v_add_co_u32_e64 v14, s[0:1], s20, v21
	v_addc_co_u32_e64 v15, s[0:1], v22, v15, s[0:1]
	v_cmp_gt_u64_e64 s[0:1], s[18:19], v[14:15]
	s_and_saveexec_b64 s[2:3], s[0:1]
	s_cbranch_execz .LBB88_8
; %bb.7:                                ;   in Loop: Header=BB88_4 Depth=1
	global_load_dwordx2 v[10:11], v[6:7], off
.LBB88_8:                               ;   in Loop: Header=BB88_4 Depth=1
	s_or_b64 exec, exec, s[2:3]
	v_mov_b32_e32 v15, s21
	v_add_co_u32_e64 v14, s[2:3], s20, v19
	v_addc_co_u32_e64 v15, s[2:3], v20, v15, s[2:3]
	v_cmp_gt_u64_e64 s[2:3], s[18:19], v[14:15]
	v_pk_mov_b32 v[14:15], 0, 0
	v_pk_mov_b32 v[16:17], v[14:15], v[14:15] op_sel:[0,1]
	s_and_saveexec_b64 s[8:9], s[2:3]
	s_cbranch_execz .LBB88_10
; %bb.9:                                ;   in Loop: Header=BB88_4 Depth=1
	v_mov_b32_e32 v17, s29
	v_add_co_u32_e64 v16, s[6:7], s28, v4
	v_addc_co_u32_e64 v17, s[6:7], v5, v17, s[6:7]
	global_load_dwordx2 v[16:17], v[16:17], off
.LBB88_10:                              ;   in Loop: Header=BB88_4 Depth=1
	s_or_b64 exec, exec, s[8:9]
	v_mov_b32_e32 v25, s21
	v_add_co_u32_e64 v24, s[6:7], s20, v1
	v_addc_co_u32_e64 v25, s[6:7], v18, v25, s[6:7]
	v_cmp_gt_u64_e64 s[6:7], s[18:19], v[24:25]
	s_and_saveexec_b64 s[22:23], s[6:7]
	s_cbranch_execnz .LBB88_15
; %bb.11:                               ;   in Loop: Header=BB88_4 Depth=1
	s_or_b64 exec, exec, s[22:23]
	s_and_saveexec_b64 s[8:9], vcc
	s_cbranch_execnz .LBB88_16
.LBB88_12:                              ;   in Loop: Header=BB88_4 Depth=1
	s_or_b64 exec, exec, s[8:9]
	s_and_saveexec_b64 s[8:9], s[0:1]
	s_cbranch_execnz .LBB88_17
.LBB88_13:                              ;   in Loop: Header=BB88_4 Depth=1
	s_or_b64 exec, exec, s[8:9]
	s_and_saveexec_b64 s[0:1], s[2:3]
	s_cbranch_execnz .LBB88_18
.LBB88_14:                              ;   in Loop: Header=BB88_4 Depth=1
	s_or_b64 exec, exec, s[0:1]
	s_and_saveexec_b64 s[0:1], s[6:7]
	s_cbranch_execz .LBB88_3
	s_branch .LBB88_19
.LBB88_15:                              ;   in Loop: Header=BB88_4 Depth=1
	v_mov_b32_e32 v15, s27
	v_add_co_u32_e64 v14, s[8:9], s26, v4
	v_addc_co_u32_e64 v15, s[8:9], v5, v15, s[8:9]
	global_load_dwordx2 v[14:15], v[14:15], off
	s_or_b64 exec, exec, s[22:23]
	s_and_saveexec_b64 s[8:9], vcc
	s_cbranch_execz .LBB88_12
.LBB88_16:                              ;   in Loop: Header=BB88_4 Depth=1
	s_waitcnt vmcnt(0)
	v_add_f64 v[12:13], v[12:13], -s[10:11]
	global_store_dwordx2 v[4:5], v[12:13], off
	s_or_b64 exec, exec, s[8:9]
	s_and_saveexec_b64 s[8:9], s[0:1]
	s_cbranch_execz .LBB88_13
.LBB88_17:                              ;   in Loop: Header=BB88_4 Depth=1
	s_waitcnt vmcnt(0)
	v_add_f64 v[10:11], v[10:11], -s[10:11]
	global_store_dwordx2 v[6:7], v[10:11], off
	s_or_b64 exec, exec, s[8:9]
	s_and_saveexec_b64 s[0:1], s[2:3]
	s_cbranch_execz .LBB88_14
.LBB88_18:                              ;   in Loop: Header=BB88_4 Depth=1
	s_waitcnt vmcnt(0)
	v_mov_b32_e32 v13, s29
	v_add_co_u32_e32 v12, vcc, s28, v4
	v_add_f64 v[10:11], v[16:17], -s[10:11]
	v_addc_co_u32_e32 v13, vcc, v5, v13, vcc
	global_store_dwordx2 v[12:13], v[10:11], off
	s_or_b64 exec, exec, s[0:1]
	s_and_saveexec_b64 s[0:1], s[6:7]
	s_cbranch_execz .LBB88_3
.LBB88_19:                              ;   in Loop: Header=BB88_4 Depth=1
	s_waitcnt vmcnt(0)
	v_mov_b32_e32 v13, s27
	v_add_co_u32_e32 v12, vcc, s26, v4
	v_add_f64 v[10:11], v[14:15], -s[10:11]
	v_addc_co_u32_e32 v13, vcc, v5, v13, vcc
	global_store_dwordx2 v[12:13], v[10:11], off
	s_branch .LBB88_3
.LBB88_20:
	s_cbranch_execz .LBB88_22
	s_branch .LBB88_25
.LBB88_21:
.LBB88_22:
	v_mov_b32_e32 v3, 0
	v_lshlrev_b32_e32 v2, 2, v0
	s_mov_b32 s0, 0
	v_cmp_gt_i64_e32 vcc, s[12:13], v[2:3]
	s_and_saveexec_b64 s[2:3], vcc
	s_cbranch_execz .LBB88_25
; %bb.23:
	s_load_dword s1, s[4:5], 0xd44
	v_lshlrev_b32_e32 v1, 5, v0
	s_mov_b64 s[4:5], 0
	s_mov_b64 s[6:7], 0xffff
	v_mov_b32_e32 v5, s0
	s_waitcnt lgkmcnt(0)
	s_and_b32 s1, s1, 0xffff
	s_lshl_b32 s8, s1, 2
	s_add_u32 s2, s14, s16
	s_addc_u32 s3, s15, s17
	v_add_lshl_u32 v2, v0, s1, 2
	v_mov_b32_e32 v0, s3
	v_add_co_u32_e32 v1, vcc, s2, v1
	v_addc_co_u32_e32 v4, vcc, 0, v0, vcc
	v_add_co_u32_e32 v0, vcc, 16, v1
	v_addc_co_u32_e32 v1, vcc, 0, v4, vcc
	s_lshl_b32 s9, s1, 5
	v_mov_b32_e32 v4, s0
.LBB88_24:                              ; =>This Inner Loop Header: Depth=1
	global_load_dwordx4 v[6:9], v[0:1], off offset:-16
	global_load_dwordx4 v[10:13], v[0:1], off
	v_cmp_le_i64_e32 vcc, s[12:13], v[2:3]
	v_cmp_lt_u64_e64 s[0:1], s[6:7], v[2:3]
	s_or_b64 s[0:1], vcc, s[0:1]
	v_add_co_u32_e64 v2, s[2:3], s8, v2
	s_and_b64 s[0:1], exec, s[0:1]
	v_addc_co_u32_e64 v3, s[2:3], v3, v4, s[2:3]
	s_or_b64 s[4:5], s[0:1], s[4:5]
	s_waitcnt vmcnt(1)
	v_add_f64 v[6:7], v[6:7], -s[10:11]
	v_add_f64 v[8:9], v[8:9], -s[10:11]
	s_waitcnt vmcnt(0)
	v_add_f64 v[10:11], v[10:11], -s[10:11]
	v_add_f64 v[12:13], v[12:13], -s[10:11]
	global_store_dwordx4 v[0:1], v[6:9], off offset:-16
	global_store_dwordx4 v[0:1], v[10:13], off
	v_add_co_u32_e32 v0, vcc, s9, v0
	v_addc_co_u32_e32 v1, vcc, v1, v5, vcc
	s_andn2_b64 exec, exec, s[4:5]
	s_cbranch_execnz .LBB88_24
.LBB88_25:
	s_endpgm
	.section	.rodata,"a",@progbits
	.p2align	6, 0x0
	.amdhsa_kernel _ZN2at6native12_GLOBAL__N_125multi_tensor_apply_kernelINS1_18TensorListMetadataILi1EEENS1_21BinaryOpScalarFunctorIdLi1ELi1ELi0EEEJSt5minusIdEdEEEvT_T0_DpT1_
		.amdhsa_group_segment_fixed_size 0
		.amdhsa_private_segment_fixed_size 0
		.amdhsa_kernarg_size 3640
		.amdhsa_user_sgpr_count 6
		.amdhsa_user_sgpr_private_segment_buffer 1
		.amdhsa_user_sgpr_dispatch_ptr 0
		.amdhsa_user_sgpr_queue_ptr 0
		.amdhsa_user_sgpr_kernarg_segment_ptr 1
		.amdhsa_user_sgpr_dispatch_id 0
		.amdhsa_user_sgpr_flat_scratch_init 0
		.amdhsa_user_sgpr_kernarg_preload_length 0
		.amdhsa_user_sgpr_kernarg_preload_offset 0
		.amdhsa_user_sgpr_private_segment_size 0
		.amdhsa_uses_dynamic_stack 0
		.amdhsa_system_sgpr_private_segment_wavefront_offset 0
		.amdhsa_system_sgpr_workgroup_id_x 1
		.amdhsa_system_sgpr_workgroup_id_y 0
		.amdhsa_system_sgpr_workgroup_id_z 0
		.amdhsa_system_sgpr_workgroup_info 0
		.amdhsa_system_vgpr_workitem_id 0
		.amdhsa_next_free_vgpr 26
		.amdhsa_next_free_sgpr 30
		.amdhsa_accum_offset 28
		.amdhsa_reserve_vcc 1
		.amdhsa_reserve_flat_scratch 0
		.amdhsa_float_round_mode_32 0
		.amdhsa_float_round_mode_16_64 0
		.amdhsa_float_denorm_mode_32 3
		.amdhsa_float_denorm_mode_16_64 3
		.amdhsa_dx10_clamp 1
		.amdhsa_ieee_mode 1
		.amdhsa_fp16_overflow 0
		.amdhsa_tg_split 0
		.amdhsa_exception_fp_ieee_invalid_op 0
		.amdhsa_exception_fp_denorm_src 0
		.amdhsa_exception_fp_ieee_div_zero 0
		.amdhsa_exception_fp_ieee_overflow 0
		.amdhsa_exception_fp_ieee_underflow 0
		.amdhsa_exception_fp_ieee_inexact 0
		.amdhsa_exception_int_div_zero 0
	.end_amdhsa_kernel
	.section	.text._ZN2at6native12_GLOBAL__N_125multi_tensor_apply_kernelINS1_18TensorListMetadataILi1EEENS1_21BinaryOpScalarFunctorIdLi1ELi1ELi0EEEJSt5minusIdEdEEEvT_T0_DpT1_,"axG",@progbits,_ZN2at6native12_GLOBAL__N_125multi_tensor_apply_kernelINS1_18TensorListMetadataILi1EEENS1_21BinaryOpScalarFunctorIdLi1ELi1ELi0EEEJSt5minusIdEdEEEvT_T0_DpT1_,comdat
.Lfunc_end88:
	.size	_ZN2at6native12_GLOBAL__N_125multi_tensor_apply_kernelINS1_18TensorListMetadataILi1EEENS1_21BinaryOpScalarFunctorIdLi1ELi1ELi0EEEJSt5minusIdEdEEEvT_T0_DpT1_, .Lfunc_end88-_ZN2at6native12_GLOBAL__N_125multi_tensor_apply_kernelINS1_18TensorListMetadataILi1EEENS1_21BinaryOpScalarFunctorIdLi1ELi1ELi0EEEJSt5minusIdEdEEEvT_T0_DpT1_
                                        ; -- End function
	.section	.AMDGPU.csdata,"",@progbits
; Kernel info:
; codeLenInByte = 1096
; NumSgprs: 34
; NumVgprs: 26
; NumAgprs: 0
; TotalNumVgprs: 26
; ScratchSize: 0
; MemoryBound: 0
; FloatMode: 240
; IeeeMode: 1
; LDSByteSize: 0 bytes/workgroup (compile time only)
; SGPRBlocks: 4
; VGPRBlocks: 3
; NumSGPRsForWavesPerEU: 34
; NumVGPRsForWavesPerEU: 26
; AccumOffset: 28
; Occupancy: 8
; WaveLimiterHint : 0
; COMPUTE_PGM_RSRC2:SCRATCH_EN: 0
; COMPUTE_PGM_RSRC2:USER_SGPR: 6
; COMPUTE_PGM_RSRC2:TRAP_HANDLER: 0
; COMPUTE_PGM_RSRC2:TGID_X_EN: 1
; COMPUTE_PGM_RSRC2:TGID_Y_EN: 0
; COMPUTE_PGM_RSRC2:TGID_Z_EN: 0
; COMPUTE_PGM_RSRC2:TIDIG_COMP_CNT: 0
; COMPUTE_PGM_RSRC3_GFX90A:ACCUM_OFFSET: 6
; COMPUTE_PGM_RSRC3_GFX90A:TG_SPLIT: 0
	.section	.text._ZN2at6native12_GLOBAL__N_125multi_tensor_apply_kernelINS1_18TensorListMetadataILi1EEENS1_21BinaryOpScalarFunctorIfLi1ELi1ELi0EEEJSt5minusIfEfEEEvT_T0_DpT1_,"axG",@progbits,_ZN2at6native12_GLOBAL__N_125multi_tensor_apply_kernelINS1_18TensorListMetadataILi1EEENS1_21BinaryOpScalarFunctorIfLi1ELi1ELi0EEEJSt5minusIfEfEEEvT_T0_DpT1_,comdat
	.globl	_ZN2at6native12_GLOBAL__N_125multi_tensor_apply_kernelINS1_18TensorListMetadataILi1EEENS1_21BinaryOpScalarFunctorIfLi1ELi1ELi0EEEJSt5minusIfEfEEEvT_T0_DpT1_ ; -- Begin function _ZN2at6native12_GLOBAL__N_125multi_tensor_apply_kernelINS1_18TensorListMetadataILi1EEENS1_21BinaryOpScalarFunctorIfLi1ELi1ELi0EEEJSt5minusIfEfEEEvT_T0_DpT1_
	.p2align	8
	.type	_ZN2at6native12_GLOBAL__N_125multi_tensor_apply_kernelINS1_18TensorListMetadataILi1EEENS1_21BinaryOpScalarFunctorIfLi1ELi1ELi0EEEJSt5minusIfEfEEEvT_T0_DpT1_,@function
_ZN2at6native12_GLOBAL__N_125multi_tensor_apply_kernelINS1_18TensorListMetadataILi1EEENS1_21BinaryOpScalarFunctorIfLi1ELi1ELi0EEEJSt5minusIfEfEEEvT_T0_DpT1_: ; @_ZN2at6native12_GLOBAL__N_125multi_tensor_apply_kernelINS1_18TensorListMetadataILi1EEENS1_21BinaryOpScalarFunctorIfLi1ELi1ELi0EEEJSt5minusIfEfEEEvT_T0_DpT1_
; %bb.0:
	v_mov_b32_e32 v1, s6
	global_load_ubyte v1, v1, s[4:5] offset:1760
	s_add_u32 s0, s4, s6
	s_mul_hi_u32 s1, s6, 3
	s_mul_i32 s6, s6, 3
	s_addc_u32 s2, s5, 0
	s_add_u32 s0, s0, s6
	s_addc_u32 s1, s2, s1
	s_load_dword s0, s[0:1], 0x820
	s_mov_b32 s7, 0
	s_waitcnt vmcnt(0)
	v_readfirstlane_b32 s1, v1
	s_lshl_b32 s1, s1, 3
	s_load_dword s10, s[4:5], 0xd2c
	s_load_dwordx2 s[2:3], s[4:5], s1 offset:0x370
	s_load_dwordx2 s[14:15], s[4:5], s1 offset:0x0
	s_waitcnt lgkmcnt(0)
	s_ashr_i32 s1, s0, 31
	s_lshl_b64 s[16:17], s[0:1], 18
	s_lshl_b64 s[0:1], s[0:1], 16
	s_and_b32 s6, s14, 15
	s_sub_u32 s12, s2, s0
	s_subb_u32 s13, s3, s1
	s_and_b32 s0, s2, 3
	s_mov_b32 s1, s7
	s_or_b64 s[0:1], s[6:7], s[0:1]
	s_cmp_eq_u64 s[0:1], 0
	s_cbranch_scc1 .LBB89_21
; %bb.1:
	v_cmp_lt_i64_e64 s[0:1], s[12:13], 1
	s_and_b64 vcc, exec, s[0:1]
	s_cbranch_vccnz .LBB89_20
; %bb.2:
	s_load_dword s0, s[4:5], 0xd3c
	v_mov_b32_e32 v2, 0x10000
	v_mov_b32_e32 v3, 0
	v_cmp_lt_u64_e32 vcc, s[12:13], v[2:3]
	v_lshlrev_b32_e32 v1, 2, v0
	s_waitcnt lgkmcnt(0)
	s_and_b32 s3, s0, 0xffff
	s_and_b64 s[0:1], vcc, exec
	s_cselect_b32 s19, s13, 0
	s_cselect_b32 s18, s12, 0x10000
	s_lshl_b32 s6, s3, 1
	s_lshl_b32 s11, s3, 2
	s_add_u32 s7, s14, s16
	s_addc_u32 s8, s15, s17
	v_mov_b32_e32 v5, s8
	v_add_co_u32_e32 v4, vcc, s7, v1
	s_mul_i32 s0, s3, 3
	v_addc_co_u32_e32 v5, vcc, 0, v5, vcc
	v_add_co_u32_e32 v1, vcc, s0, v0
	v_addc_co_u32_e64 v10, s[0:1], 0, 0, vcc
	v_add_co_u32_e32 v11, vcc, s6, v0
	v_addc_co_u32_e64 v12, s[0:1], 0, 0, vcc
	v_add_co_u32_e32 v13, vcc, s3, v0
	v_lshlrev_b32_e32 v6, 2, v13
	s_mov_b32 s2, 0
	v_addc_co_u32_e64 v14, s[0:1], 0, 0, vcc
	v_mov_b32_e32 v7, s8
	v_add_co_u32_e32 v6, vcc, s7, v6
	s_lshl_b32 s24, s3, 4
	s_mul_i32 s25, s3, 12
	s_mov_b32 s26, s2
	s_lshl_b32 s27, s3, 3
	s_mov_b32 s28, s2
	v_addc_co_u32_e32 v7, vcc, 0, v7, vcc
	s_mov_b64 s[20:21], 0
	v_pk_mov_b32 v[8:9], s[12:13], s[12:13] op_sel:[0,1]
	v_mov_b32_e32 v15, s2
	s_branch .LBB89_4
.LBB89_3:                               ;   in Loop: Header=BB89_4 Depth=1
	s_or_b64 exec, exec, s[0:1]
	s_add_u32 s20, s20, s11
	s_addc_u32 s21, s21, 0
	v_cmp_lt_i64_e32 vcc, s[20:21], v[8:9]
	v_cmp_lt_u64_e64 s[0:1], s[20:21], v[2:3]
	s_and_b64 s[0:1], vcc, s[0:1]
	v_add_co_u32_e32 v4, vcc, s24, v4
	v_addc_co_u32_e32 v5, vcc, v5, v15, vcc
	v_add_co_u32_e32 v6, vcc, s24, v6
	v_addc_co_u32_e32 v7, vcc, v7, v15, vcc
	s_and_b64 vcc, exec, s[0:1]
	s_cbranch_vccz .LBB89_20
.LBB89_4:                               ; =>This Inner Loop Header: Depth=1
	s_waitcnt vmcnt(0)
	v_mov_b32_e32 v17, s21
	v_add_co_u32_e32 v16, vcc, s20, v0
	v_addc_co_u32_e32 v17, vcc, 0, v17, vcc
	v_cmp_gt_u64_e32 vcc, s[18:19], v[16:17]
	v_mov_b32_e32 v16, 0
	s_and_saveexec_b64 s[0:1], vcc
	s_cbranch_execz .LBB89_6
; %bb.5:                                ;   in Loop: Header=BB89_4 Depth=1
	global_load_dword v16, v[4:5], off
.LBB89_6:                               ;   in Loop: Header=BB89_4 Depth=1
	s_or_b64 exec, exec, s[0:1]
	v_mov_b32_e32 v17, s21
	v_add_co_u32_e64 v18, s[0:1], s20, v13
	v_addc_co_u32_e64 v19, s[0:1], v14, v17, s[0:1]
	v_cmp_gt_u64_e64 s[0:1], s[18:19], v[18:19]
	v_mov_b32_e32 v18, 0
	s_and_saveexec_b64 s[2:3], s[0:1]
	s_cbranch_execz .LBB89_8
; %bb.7:                                ;   in Loop: Header=BB89_4 Depth=1
	global_load_dword v18, v[6:7], off
.LBB89_8:                               ;   in Loop: Header=BB89_4 Depth=1
	s_or_b64 exec, exec, s[2:3]
	v_mov_b32_e32 v17, s21
	v_add_co_u32_e64 v20, s[2:3], s20, v11
	v_addc_co_u32_e64 v21, s[2:3], v12, v17, s[2:3]
	v_cmp_gt_u64_e64 s[2:3], s[18:19], v[20:21]
	v_mov_b32_e32 v17, 0
	v_mov_b32_e32 v19, 0
	s_and_saveexec_b64 s[8:9], s[2:3]
	s_cbranch_execz .LBB89_10
; %bb.9:                                ;   in Loop: Header=BB89_4 Depth=1
	v_mov_b32_e32 v19, s28
	v_add_co_u32_e64 v20, s[6:7], s27, v4
	v_addc_co_u32_e64 v21, s[6:7], v5, v19, s[6:7]
	global_load_dword v19, v[20:21], off
.LBB89_10:                              ;   in Loop: Header=BB89_4 Depth=1
	s_or_b64 exec, exec, s[8:9]
	v_mov_b32_e32 v21, s21
	v_add_co_u32_e64 v20, s[6:7], s20, v1
	v_addc_co_u32_e64 v21, s[6:7], v10, v21, s[6:7]
	v_cmp_gt_u64_e64 s[6:7], s[18:19], v[20:21]
	s_and_saveexec_b64 s[22:23], s[6:7]
	s_cbranch_execnz .LBB89_15
; %bb.11:                               ;   in Loop: Header=BB89_4 Depth=1
	s_or_b64 exec, exec, s[22:23]
	s_and_saveexec_b64 s[8:9], vcc
	s_cbranch_execnz .LBB89_16
.LBB89_12:                              ;   in Loop: Header=BB89_4 Depth=1
	s_or_b64 exec, exec, s[8:9]
	s_and_saveexec_b64 s[8:9], s[0:1]
	s_cbranch_execnz .LBB89_17
.LBB89_13:                              ;   in Loop: Header=BB89_4 Depth=1
	s_or_b64 exec, exec, s[8:9]
	s_and_saveexec_b64 s[0:1], s[2:3]
	s_cbranch_execnz .LBB89_18
.LBB89_14:                              ;   in Loop: Header=BB89_4 Depth=1
	s_or_b64 exec, exec, s[0:1]
	s_and_saveexec_b64 s[0:1], s[6:7]
	s_cbranch_execz .LBB89_3
	s_branch .LBB89_19
.LBB89_15:                              ;   in Loop: Header=BB89_4 Depth=1
	v_mov_b32_e32 v17, s26
	v_add_co_u32_e64 v20, s[8:9], s25, v4
	v_addc_co_u32_e64 v21, s[8:9], v5, v17, s[8:9]
	global_load_dword v17, v[20:21], off
	s_or_b64 exec, exec, s[22:23]
	s_and_saveexec_b64 s[8:9], vcc
	s_cbranch_execz .LBB89_12
.LBB89_16:                              ;   in Loop: Header=BB89_4 Depth=1
	s_waitcnt vmcnt(0)
	v_subrev_f32_e32 v16, s10, v16
	global_store_dword v[4:5], v16, off
	s_or_b64 exec, exec, s[8:9]
	s_and_saveexec_b64 s[8:9], s[0:1]
	s_cbranch_execz .LBB89_13
.LBB89_17:                              ;   in Loop: Header=BB89_4 Depth=1
	s_waitcnt vmcnt(0)
	v_subrev_f32_e32 v16, s10, v18
	global_store_dword v[6:7], v16, off
	s_or_b64 exec, exec, s[8:9]
	s_and_saveexec_b64 s[0:1], s[2:3]
	s_cbranch_execz .LBB89_14
.LBB89_18:                              ;   in Loop: Header=BB89_4 Depth=1
	s_waitcnt vmcnt(0)
	v_subrev_f32_e32 v16, s10, v19
	v_mov_b32_e32 v19, s28
	v_add_co_u32_e32 v18, vcc, s27, v4
	v_addc_co_u32_e32 v19, vcc, v5, v19, vcc
	global_store_dword v[18:19], v16, off
	s_or_b64 exec, exec, s[0:1]
	s_and_saveexec_b64 s[0:1], s[6:7]
	s_cbranch_execz .LBB89_3
.LBB89_19:                              ;   in Loop: Header=BB89_4 Depth=1
	s_waitcnt vmcnt(0)
	v_subrev_f32_e32 v18, s10, v17
	v_mov_b32_e32 v17, s26
	v_add_co_u32_e32 v16, vcc, s25, v4
	v_addc_co_u32_e32 v17, vcc, v5, v17, vcc
	global_store_dword v[16:17], v18, off
	s_branch .LBB89_3
.LBB89_20:
	s_cbranch_execz .LBB89_22
	s_branch .LBB89_25
.LBB89_21:
.LBB89_22:
	v_mov_b32_e32 v3, 0
	v_lshlrev_b32_e32 v2, 2, v0
	s_mov_b32 s0, 0
	v_cmp_gt_i64_e32 vcc, s[12:13], v[2:3]
	s_and_saveexec_b64 s[2:3], vcc
	s_cbranch_execz .LBB89_25
; %bb.23:
	s_load_dword s1, s[4:5], 0xd3c
	v_lshlrev_b32_e32 v1, 4, v0
	s_mov_b32 s11, s10
	s_mov_b64 s[4:5], 0xffff
	s_waitcnt lgkmcnt(0)
	s_and_b32 s1, s1, 0xffff
	s_add_u32 s2, s14, s16
	s_addc_u32 s3, s15, s17
	v_mov_b32_e32 v2, s3
	v_add_co_u32_e32 v1, vcc, s2, v1
	v_addc_co_u32_e32 v2, vcc, 0, v2, vcc
	v_add_co_u32_e32 v4, vcc, 8, v1
	v_addc_co_u32_e32 v5, vcc, 0, v2, vcc
	s_lshl_b32 s6, s1, 4
	v_add_lshl_u32 v2, v0, s1, 2
	s_lshl_b32 s7, s1, 2
	s_mov_b64 s[2:3], 0
	v_mov_b32_e32 v0, s0
	v_mov_b32_e32 v1, s0
.LBB89_24:                              ; =>This Inner Loop Header: Depth=1
	global_load_dwordx4 v[6:9], v[4:5], off offset:-8
	v_cmp_le_i64_e32 vcc, s[12:13], v[2:3]
	v_cmp_lt_u64_e64 s[0:1], s[4:5], v[2:3]
	s_or_b64 s[0:1], vcc, s[0:1]
	s_and_b64 s[0:1], exec, s[0:1]
	s_or_b64 s[2:3], s[0:1], s[2:3]
	s_waitcnt vmcnt(0)
	v_pk_add_f32 v[6:7], v[6:7], s[10:11] neg_lo:[0,1] neg_hi:[0,1]
	v_pk_add_f32 v[8:9], v[8:9], s[10:11] neg_lo:[0,1] neg_hi:[0,1]
	global_store_dwordx4 v[4:5], v[6:9], off offset:-8
	v_add_co_u32_e32 v4, vcc, s6, v4
	v_addc_co_u32_e32 v5, vcc, v5, v0, vcc
	v_add_co_u32_e32 v2, vcc, s7, v2
	v_addc_co_u32_e32 v3, vcc, v3, v1, vcc
	s_andn2_b64 exec, exec, s[2:3]
	s_cbranch_execnz .LBB89_24
.LBB89_25:
	s_endpgm
	.section	.rodata,"a",@progbits
	.p2align	6, 0x0
	.amdhsa_kernel _ZN2at6native12_GLOBAL__N_125multi_tensor_apply_kernelINS1_18TensorListMetadataILi1EEENS1_21BinaryOpScalarFunctorIfLi1ELi1ELi0EEEJSt5minusIfEfEEEvT_T0_DpT1_
		.amdhsa_group_segment_fixed_size 0
		.amdhsa_private_segment_fixed_size 0
		.amdhsa_kernarg_size 3632
		.amdhsa_user_sgpr_count 6
		.amdhsa_user_sgpr_private_segment_buffer 1
		.amdhsa_user_sgpr_dispatch_ptr 0
		.amdhsa_user_sgpr_queue_ptr 0
		.amdhsa_user_sgpr_kernarg_segment_ptr 1
		.amdhsa_user_sgpr_dispatch_id 0
		.amdhsa_user_sgpr_flat_scratch_init 0
		.amdhsa_user_sgpr_kernarg_preload_length 0
		.amdhsa_user_sgpr_kernarg_preload_offset 0
		.amdhsa_user_sgpr_private_segment_size 0
		.amdhsa_uses_dynamic_stack 0
		.amdhsa_system_sgpr_private_segment_wavefront_offset 0
		.amdhsa_system_sgpr_workgroup_id_x 1
		.amdhsa_system_sgpr_workgroup_id_y 0
		.amdhsa_system_sgpr_workgroup_id_z 0
		.amdhsa_system_sgpr_workgroup_info 0
		.amdhsa_system_vgpr_workitem_id 0
		.amdhsa_next_free_vgpr 22
		.amdhsa_next_free_sgpr 29
		.amdhsa_accum_offset 24
		.amdhsa_reserve_vcc 1
		.amdhsa_reserve_flat_scratch 0
		.amdhsa_float_round_mode_32 0
		.amdhsa_float_round_mode_16_64 0
		.amdhsa_float_denorm_mode_32 3
		.amdhsa_float_denorm_mode_16_64 3
		.amdhsa_dx10_clamp 1
		.amdhsa_ieee_mode 1
		.amdhsa_fp16_overflow 0
		.amdhsa_tg_split 0
		.amdhsa_exception_fp_ieee_invalid_op 0
		.amdhsa_exception_fp_denorm_src 0
		.amdhsa_exception_fp_ieee_div_zero 0
		.amdhsa_exception_fp_ieee_overflow 0
		.amdhsa_exception_fp_ieee_underflow 0
		.amdhsa_exception_fp_ieee_inexact 0
		.amdhsa_exception_int_div_zero 0
	.end_amdhsa_kernel
	.section	.text._ZN2at6native12_GLOBAL__N_125multi_tensor_apply_kernelINS1_18TensorListMetadataILi1EEENS1_21BinaryOpScalarFunctorIfLi1ELi1ELi0EEEJSt5minusIfEfEEEvT_T0_DpT1_,"axG",@progbits,_ZN2at6native12_GLOBAL__N_125multi_tensor_apply_kernelINS1_18TensorListMetadataILi1EEENS1_21BinaryOpScalarFunctorIfLi1ELi1ELi0EEEJSt5minusIfEfEEEvT_T0_DpT1_,comdat
.Lfunc_end89:
	.size	_ZN2at6native12_GLOBAL__N_125multi_tensor_apply_kernelINS1_18TensorListMetadataILi1EEENS1_21BinaryOpScalarFunctorIfLi1ELi1ELi0EEEJSt5minusIfEfEEEvT_T0_DpT1_, .Lfunc_end89-_ZN2at6native12_GLOBAL__N_125multi_tensor_apply_kernelINS1_18TensorListMetadataILi1EEENS1_21BinaryOpScalarFunctorIfLi1ELi1ELi0EEEJSt5minusIfEfEEEvT_T0_DpT1_
                                        ; -- End function
	.section	.AMDGPU.csdata,"",@progbits
; Kernel info:
; codeLenInByte = 1024
; NumSgprs: 33
; NumVgprs: 22
; NumAgprs: 0
; TotalNumVgprs: 22
; ScratchSize: 0
; MemoryBound: 0
; FloatMode: 240
; IeeeMode: 1
; LDSByteSize: 0 bytes/workgroup (compile time only)
; SGPRBlocks: 4
; VGPRBlocks: 2
; NumSGPRsForWavesPerEU: 33
; NumVGPRsForWavesPerEU: 22
; AccumOffset: 24
; Occupancy: 8
; WaveLimiterHint : 0
; COMPUTE_PGM_RSRC2:SCRATCH_EN: 0
; COMPUTE_PGM_RSRC2:USER_SGPR: 6
; COMPUTE_PGM_RSRC2:TRAP_HANDLER: 0
; COMPUTE_PGM_RSRC2:TGID_X_EN: 1
; COMPUTE_PGM_RSRC2:TGID_Y_EN: 0
; COMPUTE_PGM_RSRC2:TGID_Z_EN: 0
; COMPUTE_PGM_RSRC2:TIDIG_COMP_CNT: 0
; COMPUTE_PGM_RSRC3_GFX90A:ACCUM_OFFSET: 5
; COMPUTE_PGM_RSRC3_GFX90A:TG_SPLIT: 0
	.section	.text._ZN2at6native12_GLOBAL__N_125multi_tensor_apply_kernelINS1_18TensorListMetadataILi1EEENS1_21BinaryOpScalarFunctorIN3c107complexIdEELi1ELi1ELi0EEEJSt5minusIS8_ES8_EEEvT_T0_DpT1_,"axG",@progbits,_ZN2at6native12_GLOBAL__N_125multi_tensor_apply_kernelINS1_18TensorListMetadataILi1EEENS1_21BinaryOpScalarFunctorIN3c107complexIdEELi1ELi1ELi0EEEJSt5minusIS8_ES8_EEEvT_T0_DpT1_,comdat
	.globl	_ZN2at6native12_GLOBAL__N_125multi_tensor_apply_kernelINS1_18TensorListMetadataILi1EEENS1_21BinaryOpScalarFunctorIN3c107complexIdEELi1ELi1ELi0EEEJSt5minusIS8_ES8_EEEvT_T0_DpT1_ ; -- Begin function _ZN2at6native12_GLOBAL__N_125multi_tensor_apply_kernelINS1_18TensorListMetadataILi1EEENS1_21BinaryOpScalarFunctorIN3c107complexIdEELi1ELi1ELi0EEEJSt5minusIS8_ES8_EEEvT_T0_DpT1_
	.p2align	8
	.type	_ZN2at6native12_GLOBAL__N_125multi_tensor_apply_kernelINS1_18TensorListMetadataILi1EEENS1_21BinaryOpScalarFunctorIN3c107complexIdEELi1ELi1ELi0EEEJSt5minusIS8_ES8_EEEvT_T0_DpT1_,@function
_ZN2at6native12_GLOBAL__N_125multi_tensor_apply_kernelINS1_18TensorListMetadataILi1EEENS1_21BinaryOpScalarFunctorIN3c107complexIdEELi1ELi1ELi0EEEJSt5minusIS8_ES8_EEEvT_T0_DpT1_: ; @_ZN2at6native12_GLOBAL__N_125multi_tensor_apply_kernelINS1_18TensorListMetadataILi1EEENS1_21BinaryOpScalarFunctorIN3c107complexIdEELi1ELi1ELi0EEEJSt5minusIS8_ES8_EEEvT_T0_DpT1_
; %bb.0:
	v_mov_b32_e32 v1, s6
	global_load_ubyte v1, v1, s[4:5] offset:1760
	s_add_u32 s0, s4, s6
	s_mul_hi_u32 s1, s6, 3
	s_mul_i32 s6, s6, 3
	s_addc_u32 s2, s5, 0
	s_add_u32 s0, s0, s6
	s_addc_u32 s1, s2, s1
	s_load_dword s0, s[0:1], 0x820
	s_mov_b32 s7, 0
	s_load_dwordx4 s[12:15], s[4:5], 0xd30
	s_waitcnt vmcnt(0)
	v_readfirstlane_b32 s1, v1
	s_lshl_b32 s1, s1, 3
	s_load_dwordx2 s[16:17], s[4:5], s1 offset:0x0
	s_load_dwordx2 s[2:3], s[4:5], s1 offset:0x370
	s_waitcnt lgkmcnt(0)
	s_ashr_i32 s1, s0, 31
	s_lshl_b64 s[18:19], s[0:1], 20
	s_add_u32 s26, s16, s18
	s_addc_u32 s27, s17, s19
	s_and_b32 s6, s26, 63
	s_lshl_b64 s[0:1], s[0:1], 16
	s_sub_u32 s10, s2, s0
	s_subb_u32 s11, s3, s1
	s_and_b32 s0, s2, 3
	s_mov_b32 s1, s7
	s_or_b64 s[0:1], s[6:7], s[0:1]
	s_cmp_eq_u64 s[0:1], 0
	s_cbranch_scc1 .LBB90_21
; %bb.1:
	v_cmp_lt_i64_e64 s[0:1], s[10:11], 1
	s_and_b64 vcc, exec, s[0:1]
	s_cbranch_vccnz .LBB90_20
; %bb.2:
	s_load_dword s0, s[4:5], 0xd4c
	v_mov_b32_e32 v2, 0x10000
	v_mov_b32_e32 v3, 0
	v_cmp_lt_u64_e32 vcc, s[10:11], v[2:3]
	v_mov_b32_e32 v19, 0
	s_waitcnt lgkmcnt(0)
	s_and_b32 s2, s0, 0xffff
	s_and_b64 s[0:1], vcc, exec
	s_mul_i32 s6, s2, 3
	v_lshlrev_b32_e32 v18, 4, v0
	v_add_co_u32_e32 v23, vcc, s2, v0
	v_addc_co_u32_e64 v25, s[0:1], 0, 0, vcc
	v_mad_u64_u32 v[20:21], s[0:1], s2, 48, v[18:19]
	v_add_co_u32_e32 v19, vcc, s6, v0
	v_addc_co_u32_e64 v26, s[0:1], 0, 0, vcc
	s_cselect_b32 s21, s11, 0
	s_cselect_b32 s20, s10, 0x10000
	s_lshl_b32 s0, s2, 5
	s_lshl_b32 s3, s2, 1
	v_add_co_u32_e32 v2, vcc, s0, v18
	v_addc_co_u32_e64 v1, s[0:1], 0, 0, vcc
	v_add_co_u32_e32 v27, vcc, s3, v0
	s_lshl_b32 s28, s2, 2
	s_lshl_b32 s29, s2, 6
	v_or_b32_e32 v20, 8, v20
	v_lshlrev_b32_e32 v22, 4, v23
	v_or_b32_e32 v24, 8, v2
	v_addc_co_u32_e64 v28, s[0:1], 0, 0, vcc
	s_mov_b64 s[22:23], 0
	s_branch .LBB90_4
.LBB90_3:                               ;   in Loop: Header=BB90_4 Depth=1
	s_or_b64 exec, exec, s[0:1]
	s_add_u32 s22, s22, s28
	s_addc_u32 s23, s23, 0
	s_waitcnt vmcnt(0)
	v_pk_mov_b32 v[2:3], s[10:11], s[10:11] op_sel:[0,1]
	v_cmp_lt_i64_e32 vcc, s[22:23], v[2:3]
	v_mov_b32_e32 v2, 0x10000
	v_mov_b32_e32 v3, 0
	v_cmp_lt_u64_e64 s[0:1], s[22:23], v[2:3]
	s_and_b64 s[0:1], vcc, s[0:1]
	s_add_u32 s26, s26, s29
	s_addc_u32 s27, s27, 0
	s_and_b64 vcc, exec, s[0:1]
	s_cbranch_vccz .LBB90_20
.LBB90_4:                               ; =>This Inner Loop Header: Depth=1
	v_mov_b32_e32 v3, s23
	v_add_co_u32_e32 v2, vcc, s22, v0
	v_addc_co_u32_e32 v3, vcc, 0, v3, vcc
	v_pk_mov_b32 v[4:5], 0, 0
	v_cmp_gt_u64_e32 vcc, s[20:21], v[2:3]
	v_pk_mov_b32 v[8:9], v[4:5], v[4:5] op_sel:[0,1]
	v_pk_mov_b32 v[6:7], v[4:5], v[4:5] op_sel:[0,1]
	s_and_saveexec_b64 s[2:3], vcc
	s_cbranch_execz .LBB90_6
; %bb.5:                                ;   in Loop: Header=BB90_4 Depth=1
	v_mov_b32_e32 v3, s27
	v_add_co_u32_e64 v2, s[0:1], s26, v18
	v_addc_co_u32_e64 v3, s[0:1], 0, v3, s[0:1]
	global_load_dwordx4 v[6:9], v[2:3], off
.LBB90_6:                               ;   in Loop: Header=BB90_4 Depth=1
	s_or_b64 exec, exec, s[2:3]
	v_mov_b32_e32 v3, s23
	v_add_co_u32_e64 v2, s[0:1], s22, v23
	v_addc_co_u32_e64 v3, s[0:1], v25, v3, s[0:1]
	v_cmp_gt_u64_e64 s[0:1], s[20:21], v[2:3]
	v_pk_mov_b32 v[2:3], v[4:5], v[4:5] op_sel:[0,1]
	s_and_saveexec_b64 s[6:7], s[0:1]
	s_cbranch_execz .LBB90_8
; %bb.7:                                ;   in Loop: Header=BB90_4 Depth=1
	v_mov_b32_e32 v3, s27
	v_add_co_u32_e64 v2, s[2:3], s26, v22
	v_addc_co_u32_e64 v3, s[2:3], 0, v3, s[2:3]
	global_load_dwordx4 v[2:5], v[2:3], off
.LBB90_8:                               ;   in Loop: Header=BB90_4 Depth=1
	s_or_b64 exec, exec, s[6:7]
	v_mov_b32_e32 v11, s23
	v_add_co_u32_e64 v10, s[2:3], s22, v27
	v_addc_co_u32_e64 v11, s[2:3], v28, v11, s[2:3]
	v_pk_mov_b32 v[12:13], 0, 0
	v_cmp_gt_u64_e64 s[2:3], s[20:21], v[10:11]
	v_pk_mov_b32 v[16:17], v[12:13], v[12:13] op_sel:[0,1]
	v_pk_mov_b32 v[14:15], v[12:13], v[12:13] op_sel:[0,1]
	s_and_saveexec_b64 s[8:9], s[2:3]
	s_cbranch_execz .LBB90_10
; %bb.9:                                ;   in Loop: Header=BB90_4 Depth=1
	v_mov_b32_e32 v11, s27
	v_add_co_u32_e64 v10, s[6:7], s26, v24
	v_addc_co_u32_e64 v11, s[6:7], v11, v1, s[6:7]
	global_load_dwordx4 v[14:17], v[10:11], off offset:-8
.LBB90_10:                              ;   in Loop: Header=BB90_4 Depth=1
	s_or_b64 exec, exec, s[8:9]
	v_mov_b32_e32 v11, s23
	v_add_co_u32_e64 v10, s[6:7], s22, v19
	v_addc_co_u32_e64 v11, s[6:7], v26, v11, s[6:7]
	v_cmp_gt_u64_e64 s[6:7], s[20:21], v[10:11]
	v_pk_mov_b32 v[10:11], v[12:13], v[12:13] op_sel:[0,1]
	s_and_saveexec_b64 s[24:25], s[6:7]
	s_cbranch_execnz .LBB90_15
; %bb.11:                               ;   in Loop: Header=BB90_4 Depth=1
	s_or_b64 exec, exec, s[24:25]
	s_and_saveexec_b64 s[8:9], vcc
	s_cbranch_execnz .LBB90_16
.LBB90_12:                              ;   in Loop: Header=BB90_4 Depth=1
	s_or_b64 exec, exec, s[8:9]
	s_and_saveexec_b64 s[8:9], s[0:1]
	s_cbranch_execnz .LBB90_17
.LBB90_13:                              ;   in Loop: Header=BB90_4 Depth=1
	s_or_b64 exec, exec, s[8:9]
	s_and_saveexec_b64 s[0:1], s[2:3]
	s_cbranch_execnz .LBB90_18
.LBB90_14:                              ;   in Loop: Header=BB90_4 Depth=1
	s_or_b64 exec, exec, s[0:1]
	s_and_saveexec_b64 s[0:1], s[6:7]
	s_cbranch_execz .LBB90_3
	s_branch .LBB90_19
.LBB90_15:                              ;   in Loop: Header=BB90_4 Depth=1
	v_mov_b32_e32 v11, s27
	v_add_co_u32_e64 v10, s[8:9], s26, v20
	v_addc_co_u32_e64 v11, s[8:9], v11, v21, s[8:9]
	global_load_dwordx4 v[10:13], v[10:11], off offset:-8
	s_or_b64 exec, exec, s[24:25]
	s_and_saveexec_b64 s[8:9], vcc
	s_cbranch_execz .LBB90_12
.LBB90_16:                              ;   in Loop: Header=BB90_4 Depth=1
	v_mov_b32_e32 v29, s27
	v_add_co_u32_e32 v30, vcc, s26, v18
	v_addc_co_u32_e32 v31, vcc, 0, v29, vcc
	s_waitcnt vmcnt(0)
	v_add_f64 v[6:7], v[6:7], -s[12:13]
	v_add_f64 v[8:9], v[8:9], -s[14:15]
	global_store_dwordx4 v[30:31], v[6:9], off
	s_or_b64 exec, exec, s[8:9]
	s_and_saveexec_b64 s[8:9], s[0:1]
	s_cbranch_execz .LBB90_13
.LBB90_17:                              ;   in Loop: Header=BB90_4 Depth=1
	s_waitcnt vmcnt(0)
	v_mov_b32_e32 v7, s27
	v_add_co_u32_e32 v6, vcc, s26, v22
	v_add_f64 v[2:3], v[2:3], -s[12:13]
	v_add_f64 v[4:5], v[4:5], -s[14:15]
	v_addc_co_u32_e32 v7, vcc, 0, v7, vcc
	global_store_dwordx4 v[6:7], v[2:5], off
	s_or_b64 exec, exec, s[8:9]
	s_and_saveexec_b64 s[0:1], s[2:3]
	s_cbranch_execz .LBB90_14
.LBB90_18:                              ;   in Loop: Header=BB90_4 Depth=1
	s_waitcnt vmcnt(0)
	v_mov_b32_e32 v7, s27
	v_add_co_u32_e32 v6, vcc, s26, v24
	v_add_f64 v[2:3], v[14:15], -s[12:13]
	v_add_f64 v[4:5], v[16:17], -s[14:15]
	v_addc_co_u32_e32 v7, vcc, v7, v1, vcc
	global_store_dwordx4 v[6:7], v[2:5], off offset:-8
	s_or_b64 exec, exec, s[0:1]
	s_and_saveexec_b64 s[0:1], s[6:7]
	s_cbranch_execz .LBB90_3
.LBB90_19:                              ;   in Loop: Header=BB90_4 Depth=1
	s_waitcnt vmcnt(0)
	v_mov_b32_e32 v7, s27
	v_add_co_u32_e32 v6, vcc, s26, v20
	v_add_f64 v[2:3], v[10:11], -s[12:13]
	v_add_f64 v[4:5], v[12:13], -s[14:15]
	v_addc_co_u32_e32 v7, vcc, v7, v21, vcc
	global_store_dwordx4 v[6:7], v[2:5], off offset:-8
	s_branch .LBB90_3
.LBB90_20:
	s_cbranch_execz .LBB90_22
	s_branch .LBB90_25
.LBB90_21:
.LBB90_22:
	v_mov_b32_e32 v3, 0
	v_lshlrev_b32_e32 v2, 2, v0
	s_mov_b32 s0, 0
	v_cmp_gt_i64_e32 vcc, s[10:11], v[2:3]
	s_and_saveexec_b64 s[2:3], vcc
	s_cbranch_execz .LBB90_25
; %bb.23:
	s_load_dword s1, s[4:5], 0xd4c
	v_lshlrev_b32_e32 v1, 6, v0
	s_mov_b64 s[4:5], 0
	s_mov_b64 s[6:7], 0xffff
	v_mov_b32_e32 v5, s0
	s_waitcnt lgkmcnt(0)
	s_and_b32 s1, s1, 0xffff
	s_lshl_b32 s8, s1, 2
	s_add_u32 s2, s16, s18
	s_addc_u32 s3, s17, s19
	v_add_lshl_u32 v2, v0, s1, 2
	v_mov_b32_e32 v4, s3
	v_add_co_u32_e32 v0, vcc, s2, v1
	v_addc_co_u32_e32 v1, vcc, 0, v4, vcc
	s_lshl_b32 s9, s1, 6
	v_mov_b32_e32 v4, s0
.LBB90_24:                              ; =>This Inner Loop Header: Depth=1
	global_load_dwordx4 v[6:9], v[0:1], off
	global_load_dwordx4 v[10:13], v[0:1], off offset:16
	global_load_dwordx4 v[14:17], v[0:1], off offset:32
	global_load_dwordx4 v[18:21], v[0:1], off offset:48
	v_cmp_le_i64_e32 vcc, s[10:11], v[2:3]
	v_cmp_lt_u64_e64 s[0:1], s[6:7], v[2:3]
	s_or_b64 s[0:1], vcc, s[0:1]
	v_add_co_u32_e64 v2, s[2:3], s8, v2
	s_and_b64 s[0:1], exec, s[0:1]
	v_addc_co_u32_e64 v3, s[2:3], v3, v4, s[2:3]
	s_or_b64 s[4:5], s[0:1], s[4:5]
	s_waitcnt vmcnt(3)
	v_add_f64 v[6:7], v[6:7], -s[12:13]
	v_add_f64 v[8:9], v[8:9], -s[14:15]
	s_waitcnt vmcnt(2)
	v_add_f64 v[10:11], v[10:11], -s[12:13]
	v_add_f64 v[12:13], v[12:13], -s[14:15]
	;; [unrolled: 3-line block ×4, first 2 shown]
	global_store_dwordx4 v[0:1], v[6:9], off
	global_store_dwordx4 v[0:1], v[10:13], off offset:16
	global_store_dwordx4 v[0:1], v[14:17], off offset:32
	;; [unrolled: 1-line block ×3, first 2 shown]
	v_add_co_u32_e32 v0, vcc, s9, v0
	v_addc_co_u32_e32 v1, vcc, v1, v5, vcc
	s_andn2_b64 exec, exec, s[4:5]
	s_cbranch_execnz .LBB90_24
.LBB90_25:
	s_endpgm
	.section	.rodata,"a",@progbits
	.p2align	6, 0x0
	.amdhsa_kernel _ZN2at6native12_GLOBAL__N_125multi_tensor_apply_kernelINS1_18TensorListMetadataILi1EEENS1_21BinaryOpScalarFunctorIN3c107complexIdEELi1ELi1ELi0EEEJSt5minusIS8_ES8_EEEvT_T0_DpT1_
		.amdhsa_group_segment_fixed_size 0
		.amdhsa_private_segment_fixed_size 0
		.amdhsa_kernarg_size 3648
		.amdhsa_user_sgpr_count 6
		.amdhsa_user_sgpr_private_segment_buffer 1
		.amdhsa_user_sgpr_dispatch_ptr 0
		.amdhsa_user_sgpr_queue_ptr 0
		.amdhsa_user_sgpr_kernarg_segment_ptr 1
		.amdhsa_user_sgpr_dispatch_id 0
		.amdhsa_user_sgpr_flat_scratch_init 0
		.amdhsa_user_sgpr_kernarg_preload_length 0
		.amdhsa_user_sgpr_kernarg_preload_offset 0
		.amdhsa_user_sgpr_private_segment_size 0
		.amdhsa_uses_dynamic_stack 0
		.amdhsa_system_sgpr_private_segment_wavefront_offset 0
		.amdhsa_system_sgpr_workgroup_id_x 1
		.amdhsa_system_sgpr_workgroup_id_y 0
		.amdhsa_system_sgpr_workgroup_id_z 0
		.amdhsa_system_sgpr_workgroup_info 0
		.amdhsa_system_vgpr_workitem_id 0
		.amdhsa_next_free_vgpr 32
		.amdhsa_next_free_sgpr 30
		.amdhsa_accum_offset 32
		.amdhsa_reserve_vcc 1
		.amdhsa_reserve_flat_scratch 0
		.amdhsa_float_round_mode_32 0
		.amdhsa_float_round_mode_16_64 0
		.amdhsa_float_denorm_mode_32 3
		.amdhsa_float_denorm_mode_16_64 3
		.amdhsa_dx10_clamp 1
		.amdhsa_ieee_mode 1
		.amdhsa_fp16_overflow 0
		.amdhsa_tg_split 0
		.amdhsa_exception_fp_ieee_invalid_op 0
		.amdhsa_exception_fp_denorm_src 0
		.amdhsa_exception_fp_ieee_div_zero 0
		.amdhsa_exception_fp_ieee_overflow 0
		.amdhsa_exception_fp_ieee_underflow 0
		.amdhsa_exception_fp_ieee_inexact 0
		.amdhsa_exception_int_div_zero 0
	.end_amdhsa_kernel
	.section	.text._ZN2at6native12_GLOBAL__N_125multi_tensor_apply_kernelINS1_18TensorListMetadataILi1EEENS1_21BinaryOpScalarFunctorIN3c107complexIdEELi1ELi1ELi0EEEJSt5minusIS8_ES8_EEEvT_T0_DpT1_,"axG",@progbits,_ZN2at6native12_GLOBAL__N_125multi_tensor_apply_kernelINS1_18TensorListMetadataILi1EEENS1_21BinaryOpScalarFunctorIN3c107complexIdEELi1ELi1ELi0EEEJSt5minusIS8_ES8_EEEvT_T0_DpT1_,comdat
.Lfunc_end90:
	.size	_ZN2at6native12_GLOBAL__N_125multi_tensor_apply_kernelINS1_18TensorListMetadataILi1EEENS1_21BinaryOpScalarFunctorIN3c107complexIdEELi1ELi1ELi0EEEJSt5minusIS8_ES8_EEEvT_T0_DpT1_, .Lfunc_end90-_ZN2at6native12_GLOBAL__N_125multi_tensor_apply_kernelINS1_18TensorListMetadataILi1EEENS1_21BinaryOpScalarFunctorIN3c107complexIdEELi1ELi1ELi0EEEJSt5minusIS8_ES8_EEEvT_T0_DpT1_
                                        ; -- End function
	.section	.AMDGPU.csdata,"",@progbits
; Kernel info:
; codeLenInByte = 1280
; NumSgprs: 34
; NumVgprs: 32
; NumAgprs: 0
; TotalNumVgprs: 32
; ScratchSize: 0
; MemoryBound: 1
; FloatMode: 240
; IeeeMode: 1
; LDSByteSize: 0 bytes/workgroup (compile time only)
; SGPRBlocks: 4
; VGPRBlocks: 3
; NumSGPRsForWavesPerEU: 34
; NumVGPRsForWavesPerEU: 32
; AccumOffset: 32
; Occupancy: 8
; WaveLimiterHint : 0
; COMPUTE_PGM_RSRC2:SCRATCH_EN: 0
; COMPUTE_PGM_RSRC2:USER_SGPR: 6
; COMPUTE_PGM_RSRC2:TRAP_HANDLER: 0
; COMPUTE_PGM_RSRC2:TGID_X_EN: 1
; COMPUTE_PGM_RSRC2:TGID_Y_EN: 0
; COMPUTE_PGM_RSRC2:TGID_Z_EN: 0
; COMPUTE_PGM_RSRC2:TIDIG_COMP_CNT: 0
; COMPUTE_PGM_RSRC3_GFX90A:ACCUM_OFFSET: 7
; COMPUTE_PGM_RSRC3_GFX90A:TG_SPLIT: 0
	.section	.text._ZN2at6native12_GLOBAL__N_125multi_tensor_apply_kernelINS1_18TensorListMetadataILi1EEENS1_21BinaryOpScalarFunctorIN3c107complexIfEELi1ELi1ELi0EEEJSt5minusIS8_ES8_EEEvT_T0_DpT1_,"axG",@progbits,_ZN2at6native12_GLOBAL__N_125multi_tensor_apply_kernelINS1_18TensorListMetadataILi1EEENS1_21BinaryOpScalarFunctorIN3c107complexIfEELi1ELi1ELi0EEEJSt5minusIS8_ES8_EEEvT_T0_DpT1_,comdat
	.globl	_ZN2at6native12_GLOBAL__N_125multi_tensor_apply_kernelINS1_18TensorListMetadataILi1EEENS1_21BinaryOpScalarFunctorIN3c107complexIfEELi1ELi1ELi0EEEJSt5minusIS8_ES8_EEEvT_T0_DpT1_ ; -- Begin function _ZN2at6native12_GLOBAL__N_125multi_tensor_apply_kernelINS1_18TensorListMetadataILi1EEENS1_21BinaryOpScalarFunctorIN3c107complexIfEELi1ELi1ELi0EEEJSt5minusIS8_ES8_EEEvT_T0_DpT1_
	.p2align	8
	.type	_ZN2at6native12_GLOBAL__N_125multi_tensor_apply_kernelINS1_18TensorListMetadataILi1EEENS1_21BinaryOpScalarFunctorIN3c107complexIfEELi1ELi1ELi0EEEJSt5minusIS8_ES8_EEEvT_T0_DpT1_,@function
_ZN2at6native12_GLOBAL__N_125multi_tensor_apply_kernelINS1_18TensorListMetadataILi1EEENS1_21BinaryOpScalarFunctorIN3c107complexIfEELi1ELi1ELi0EEEJSt5minusIS8_ES8_EEEvT_T0_DpT1_: ; @_ZN2at6native12_GLOBAL__N_125multi_tensor_apply_kernelINS1_18TensorListMetadataILi1EEENS1_21BinaryOpScalarFunctorIN3c107complexIfEELi1ELi1ELi0EEEJSt5minusIS8_ES8_EEEvT_T0_DpT1_
; %bb.0:
	v_mov_b32_e32 v1, s8
	global_load_ubyte v1, v1, s[6:7] offset:1760
	s_load_dwordx2 s[2:3], s[4:5], 0x4
	s_mul_i32 s4, s8, 3
	s_mul_hi_u32 s0, s8, 3
	v_and_b32_e32 v2, 0x3ff, v0
	v_bfe_u32 v3, v0, 10, 10
	s_waitcnt lgkmcnt(0)
	s_lshr_b32 s2, s2, 16
	s_mul_i32 s10, s2, s3
	s_add_u32 s2, s6, s8
	s_addc_u32 s5, s7, 0
	s_add_u32 s4, s2, s4
	s_addc_u32 s5, s5, s0
	s_load_dword s2, s[4:5], 0x820
	s_mov_b32 s1, 0
	v_bfe_u32 v0, v0, 20, 10
	s_waitcnt vmcnt(0)
	v_readfirstlane_b32 s0, v1
	s_lshl_b32 s0, s0, 3
	s_load_dwordx2 s[8:9], s[6:7], 0xd30
	s_load_dwordx2 s[4:5], s[6:7], s0 offset:0x370
	s_load_dwordx2 s[12:13], s[6:7], s0 offset:0x0
	v_mul_lo_u32 v1, s10, v2
	v_mad_u32_u24 v1, v3, s3, v1
	s_waitcnt lgkmcnt(0)
	s_ashr_i32 s3, s2, 31
	s_lshl_b64 s[14:15], s[2:3], 19
	s_add_u32 s22, s12, s14
	s_addc_u32 s23, s13, s15
	s_and_b32 s0, s22, 31
	s_lshl_b64 s[2:3], s[2:3], 16
	s_sub_u32 s10, s4, s2
	s_subb_u32 s11, s5, s3
	s_and_b32 s2, s4, 3
	s_mov_b32 s3, s1
	s_or_b64 s[0:1], s[0:1], s[2:3]
	s_cmp_eq_u64 s[0:1], 0
	v_add_lshl_u32 v4, v1, v0, 3
	s_cbranch_scc1 .LBB91_20
; %bb.1:
	v_cmp_lt_i64_e64 s[0:1], s[10:11], 1
	s_and_b64 vcc, exec, s[0:1]
	s_cbranch_vccnz .LBB91_18
; %bb.2:
	s_load_dword s0, s[6:7], 0xd44
	v_mov_b32_e32 v6, 0x10000
	v_mov_b32_e32 v7, 0
	v_cmp_lt_u64_e32 vcc, s[10:11], v[6:7]
	v_mov_b32_e32 v1, 0
	s_waitcnt lgkmcnt(0)
	s_and_b32 s2, s0, 0xffff
	s_and_b64 s[0:1], vcc, exec
	s_mul_i32 s4, s2, 3
	s_mov_b64 s[0:1], src_shared_base
	v_lshlrev_b32_e32 v0, 3, v2
	v_add_co_u32_e32 v5, vcc, s4, v2
	v_mov_b32_e32 v3, s1
	v_mad_u64_u32 v[6:7], s[0:1], s2, 24, v[0:1]
	v_addc_co_u32_e64 v9, s[0:1], 0, 0, vcc
	s_cselect_b32 s17, s11, 0
	s_cselect_b32 s16, s10, 0x10000
	s_lshl_b32 s0, s2, 4
	s_lshl_b32 s3, s2, 1
	v_add_co_u32_e32 v24, vcc, s0, v0
	v_addc_co_u32_e64 v25, s[0:1], 0, 0, vcc
	v_add_co_u32_e32 v26, vcc, s3, v2
	v_addc_co_u32_e64 v27, s[0:1], 0, 0, vcc
	v_add_co_u32_e32 v28, vcc, s2, v2
	s_lshl_b32 s24, s2, 2
	s_lshl_b32 s25, s2, 5
	v_addc_co_u32_e64 v29, s[0:1], 0, 0, vcc
	v_lshlrev_b32_e32 v8, 3, v28
	s_mov_b64 s[18:19], 0
	v_mov_b32_e32 v10, v1
	v_mov_b32_e32 v11, v1
	v_pk_mov_b32 v[12:13], s[10:11], s[10:11] op_sel:[0,1]
	s_branch .LBB91_4
.LBB91_3:                               ;   in Loop: Header=BB91_4 Depth=1
	s_or_b64 exec, exec, s[0:1]
	s_add_u32 s18, s18, s24
	v_mov_b32_e32 v14, 0xffff
	s_addc_u32 s19, s19, 0
	v_mov_b32_e32 v15, 0
	v_cmp_ge_i64_e32 vcc, s[18:19], v[12:13]
	v_cmp_gt_u64_e64 s[0:1], s[18:19], v[14:15]
	s_or_b64 s[0:1], vcc, s[0:1]
	s_add_u32 s22, s22, s25
	s_addc_u32 s23, s23, 0
	s_and_b64 vcc, exec, s[0:1]
	s_cbranch_vccnz .LBB91_18
.LBB91_4:                               ; =>This Inner Loop Header: Depth=1
	v_mov_b32_e32 v1, s19
	v_add_co_u32_e32 v14, vcc, s18, v2
	v_addc_co_u32_e32 v15, vcc, 0, v1, vcc
	v_cmp_gt_u64_e32 vcc, s[16:17], v[14:15]
	v_mov_b32_e32 v16, 0
	v_mov_b32_e32 v17, 0
	s_and_saveexec_b64 s[2:3], vcc
	s_cbranch_execz .LBB91_6
; %bb.5:                                ;   in Loop: Header=BB91_4 Depth=1
	v_mov_b32_e32 v1, s23
	v_add_co_u32_e64 v14, s[0:1], s22, v0
	v_addc_co_u32_e64 v15, s[0:1], 0, v1, s[0:1]
	global_load_dwordx2 v[16:17], v[14:15], off
.LBB91_6:                               ;   in Loop: Header=BB91_4 Depth=1
	s_or_b64 exec, exec, s[2:3]
	v_mov_b32_e32 v1, s19
	v_add_co_u32_e64 v14, s[0:1], s18, v28
	v_addc_co_u32_e64 v15, s[0:1], v29, v1, s[0:1]
	v_cmp_gt_u64_e64 s[0:1], s[16:17], v[14:15]
	v_mov_b32_e32 v14, 0
	v_mov_b32_e32 v18, 0
	;; [unrolled: 1-line block ×3, first 2 shown]
	s_and_saveexec_b64 s[4:5], s[0:1]
	s_cbranch_execz .LBB91_8
; %bb.7:                                ;   in Loop: Header=BB91_4 Depth=1
	v_mov_b32_e32 v1, s23
	v_add_co_u32_e64 v18, s[2:3], s22, v8
	v_addc_co_u32_e64 v19, s[2:3], 0, v1, s[2:3]
	global_load_dwordx2 v[18:19], v[18:19], off
.LBB91_8:                               ;   in Loop: Header=BB91_4 Depth=1
	s_or_b64 exec, exec, s[4:5]
	v_mov_b32_e32 v1, s19
	v_add_co_u32_e64 v20, s[2:3], s18, v26
	v_addc_co_u32_e64 v21, s[2:3], v27, v1, s[2:3]
	v_cmp_gt_u64_e64 s[2:3], s[16:17], v[20:21]
	v_mov_b32_e32 v15, 0
	s_and_saveexec_b64 s[20:21], s[2:3]
	s_cbranch_execz .LBB91_10
; %bb.9:                                ;   in Loop: Header=BB91_4 Depth=1
	v_mov_b32_e32 v1, s23
	v_add_co_u32_e64 v14, s[4:5], s22, v24
	v_addc_co_u32_e64 v15, s[4:5], v1, v25, s[4:5]
	global_load_dwordx2 v[14:15], v[14:15], off
.LBB91_10:                              ;   in Loop: Header=BB91_4 Depth=1
	s_or_b64 exec, exec, s[20:21]
	v_mov_b32_e32 v1, s19
	v_add_co_u32_e64 v22, s[4:5], s18, v5
	v_addc_co_u32_e64 v23, s[4:5], v9, v1, s[4:5]
	v_mov_b32_e32 v1, s23
	v_add_co_u32_e64 v20, s[4:5], s22, v6
	v_addc_co_u32_e64 v21, s[4:5], v1, v7, s[4:5]
	v_cmp_gt_u64_e64 s[4:5], s[16:17], v[22:23]
	ds_write_b64 v4, v[10:11]
	v_cndmask_b32_e64 v23, v3, v21, s[4:5]
	v_cndmask_b32_e64 v22, v4, v20, s[4:5]
	flat_load_dwordx2 v[22:23], v[22:23]
	s_waitcnt vmcnt(0) lgkmcnt(0)
	v_pk_add_f32 v[22:23], v[22:23], s[8:9] neg_lo:[0,1] neg_hi:[0,1]
	ds_write_b64 v4, v[22:23]
	s_and_saveexec_b64 s[20:21], vcc
	s_cbranch_execnz .LBB91_14
; %bb.11:                               ;   in Loop: Header=BB91_4 Depth=1
	s_or_b64 exec, exec, s[20:21]
	s_and_saveexec_b64 s[20:21], s[0:1]
	s_cbranch_execnz .LBB91_15
.LBB91_12:                              ;   in Loop: Header=BB91_4 Depth=1
	s_or_b64 exec, exec, s[20:21]
	s_and_saveexec_b64 s[0:1], s[2:3]
	s_cbranch_execnz .LBB91_16
.LBB91_13:                              ;   in Loop: Header=BB91_4 Depth=1
	s_or_b64 exec, exec, s[0:1]
	s_and_saveexec_b64 s[0:1], s[4:5]
	s_cbranch_execz .LBB91_3
	s_branch .LBB91_17
.LBB91_14:                              ;   in Loop: Header=BB91_4 Depth=1
	v_mov_b32_e32 v1, s23
	v_add_co_u32_e32 v30, vcc, s22, v0
	v_addc_co_u32_e32 v31, vcc, 0, v1, vcc
	v_pk_add_f32 v[16:17], v[16:17], s[8:9] neg_lo:[0,1] neg_hi:[0,1]
	global_store_dwordx2 v[30:31], v[16:17], off
	s_or_b64 exec, exec, s[20:21]
	s_and_saveexec_b64 s[20:21], s[0:1]
	s_cbranch_execz .LBB91_12
.LBB91_15:                              ;   in Loop: Header=BB91_4 Depth=1
	v_pk_add_f32 v[16:17], v[18:19], s[8:9] neg_lo:[0,1] neg_hi:[0,1]
	v_mov_b32_e32 v1, s23
	v_add_co_u32_e32 v18, vcc, s22, v8
	v_addc_co_u32_e32 v19, vcc, 0, v1, vcc
	global_store_dwordx2 v[18:19], v[16:17], off
	s_or_b64 exec, exec, s[20:21]
	s_and_saveexec_b64 s[0:1], s[2:3]
	s_cbranch_execz .LBB91_13
.LBB91_16:                              ;   in Loop: Header=BB91_4 Depth=1
	v_mov_b32_e32 v1, s23
	v_add_co_u32_e32 v16, vcc, s22, v24
	v_pk_add_f32 v[14:15], v[14:15], s[8:9] neg_lo:[0,1] neg_hi:[0,1]
	v_addc_co_u32_e32 v17, vcc, v1, v25, vcc
	global_store_dwordx2 v[16:17], v[14:15], off
	s_or_b64 exec, exec, s[0:1]
	s_and_saveexec_b64 s[0:1], s[4:5]
	s_cbranch_execz .LBB91_3
.LBB91_17:                              ;   in Loop: Header=BB91_4 Depth=1
	global_store_dwordx2 v[20:21], v[22:23], off
	s_branch .LBB91_3
.LBB91_18:
	s_cbranch_execz .LBB91_21
.LBB91_19:
	s_endpgm
.LBB91_20:
.LBB91_21:
	v_mov_b32_e32 v7, 0
	v_lshlrev_b32_e32 v6, 2, v2
	s_mov_b32 s0, 0
	v_cmp_gt_i64_e32 vcc, s[10:11], v[6:7]
	s_and_saveexec_b64 s[2:3], vcc
	s_cbranch_execz .LBB91_19
; %bb.22:
	s_load_dword s1, s[6:7], 0xd44
	v_lshlrev_b32_e32 v0, 5, v2
	s_mov_b64 s[4:5], 0
	s_mov_b64 s[6:7], 0xffff
	v_mov_b32_e32 v5, s0
	s_waitcnt lgkmcnt(0)
	s_and_b32 s1, s1, 0xffff
	s_lshl_b32 s16, s1, 2
	s_add_u32 s2, s12, s14
	s_addc_u32 s3, s13, s15
	v_mov_b32_e32 v1, s3
	v_add_co_u32_e32 v0, vcc, s2, v0
	v_addc_co_u32_e32 v1, vcc, 0, v1, vcc
	v_add_co_u32_e32 v8, vcc, 16, v0
	v_add_lshl_u32 v6, v2, s1, 2
	v_addc_co_u32_e32 v9, vcc, 0, v1, vcc
	s_lshl_b32 s12, s1, 5
	v_mov_b32_e32 v10, s0
.LBB91_23:                              ; =>This Inner Loop Header: Depth=1
	global_load_dwordx4 v[0:3], v[8:9], off
	global_load_dwordx4 v[12:15], v[8:9], off offset:-16
	v_cmp_le_i64_e32 vcc, s[10:11], v[6:7]
	v_cmp_lt_u64_e64 s[0:1], s[6:7], v[6:7]
	s_or_b64 s[0:1], vcc, s[0:1]
	v_add_co_u32_e64 v6, s[2:3], s16, v6
	s_and_b64 s[0:1], exec, s[0:1]
	v_addc_co_u32_e64 v7, s[2:3], v7, v5, s[2:3]
	s_or_b64 s[4:5], s[0:1], s[4:5]
	s_waitcnt vmcnt(1)
	v_pk_add_f32 v[2:3], v[2:3], s[8:9] neg_lo:[0,1] neg_hi:[0,1]
	s_waitcnt vmcnt(0)
	v_pk_add_f32 v[12:13], v[12:13], s[8:9] neg_lo:[0,1] neg_hi:[0,1]
	v_pk_add_f32 v[14:15], v[14:15], s[8:9] neg_lo:[0,1] neg_hi:[0,1]
	;; [unrolled: 1-line block ×3, first 2 shown]
	global_store_dwordx4 v[8:9], v[12:15], off offset:-16
	global_store_dwordx4 v[8:9], v[0:3], off
	v_add_co_u32_e32 v8, vcc, s12, v8
	v_addc_co_u32_e32 v9, vcc, v9, v10, vcc
	s_andn2_b64 exec, exec, s[4:5]
	s_cbranch_execnz .LBB91_23
; %bb.24:
	s_or_b64 exec, exec, s[4:5]
	ds_write_b64 v4, v[2:3]
	s_endpgm
	.section	.rodata,"a",@progbits
	.p2align	6, 0x0
	.amdhsa_kernel _ZN2at6native12_GLOBAL__N_125multi_tensor_apply_kernelINS1_18TensorListMetadataILi1EEENS1_21BinaryOpScalarFunctorIN3c107complexIfEELi1ELi1ELi0EEEJSt5minusIS8_ES8_EEEvT_T0_DpT1_
		.amdhsa_group_segment_fixed_size 4096
		.amdhsa_private_segment_fixed_size 0
		.amdhsa_kernarg_size 3640
		.amdhsa_user_sgpr_count 8
		.amdhsa_user_sgpr_private_segment_buffer 1
		.amdhsa_user_sgpr_dispatch_ptr 1
		.amdhsa_user_sgpr_queue_ptr 0
		.amdhsa_user_sgpr_kernarg_segment_ptr 1
		.amdhsa_user_sgpr_dispatch_id 0
		.amdhsa_user_sgpr_flat_scratch_init 0
		.amdhsa_user_sgpr_kernarg_preload_length 0
		.amdhsa_user_sgpr_kernarg_preload_offset 0
		.amdhsa_user_sgpr_private_segment_size 0
		.amdhsa_uses_dynamic_stack 0
		.amdhsa_system_sgpr_private_segment_wavefront_offset 0
		.amdhsa_system_sgpr_workgroup_id_x 1
		.amdhsa_system_sgpr_workgroup_id_y 0
		.amdhsa_system_sgpr_workgroup_id_z 0
		.amdhsa_system_sgpr_workgroup_info 0
		.amdhsa_system_vgpr_workitem_id 2
		.amdhsa_next_free_vgpr 32
		.amdhsa_next_free_sgpr 26
		.amdhsa_accum_offset 32
		.amdhsa_reserve_vcc 1
		.amdhsa_reserve_flat_scratch 0
		.amdhsa_float_round_mode_32 0
		.amdhsa_float_round_mode_16_64 0
		.amdhsa_float_denorm_mode_32 3
		.amdhsa_float_denorm_mode_16_64 3
		.amdhsa_dx10_clamp 1
		.amdhsa_ieee_mode 1
		.amdhsa_fp16_overflow 0
		.amdhsa_tg_split 0
		.amdhsa_exception_fp_ieee_invalid_op 0
		.amdhsa_exception_fp_denorm_src 0
		.amdhsa_exception_fp_ieee_div_zero 0
		.amdhsa_exception_fp_ieee_overflow 0
		.amdhsa_exception_fp_ieee_underflow 0
		.amdhsa_exception_fp_ieee_inexact 0
		.amdhsa_exception_int_div_zero 0
	.end_amdhsa_kernel
	.section	.text._ZN2at6native12_GLOBAL__N_125multi_tensor_apply_kernelINS1_18TensorListMetadataILi1EEENS1_21BinaryOpScalarFunctorIN3c107complexIfEELi1ELi1ELi0EEEJSt5minusIS8_ES8_EEEvT_T0_DpT1_,"axG",@progbits,_ZN2at6native12_GLOBAL__N_125multi_tensor_apply_kernelINS1_18TensorListMetadataILi1EEENS1_21BinaryOpScalarFunctorIN3c107complexIfEELi1ELi1ELi0EEEJSt5minusIS8_ES8_EEEvT_T0_DpT1_,comdat
.Lfunc_end91:
	.size	_ZN2at6native12_GLOBAL__N_125multi_tensor_apply_kernelINS1_18TensorListMetadataILi1EEENS1_21BinaryOpScalarFunctorIN3c107complexIfEELi1ELi1ELi0EEEJSt5minusIS8_ES8_EEEvT_T0_DpT1_, .Lfunc_end91-_ZN2at6native12_GLOBAL__N_125multi_tensor_apply_kernelINS1_18TensorListMetadataILi1EEENS1_21BinaryOpScalarFunctorIN3c107complexIfEELi1ELi1ELi0EEEJSt5minusIS8_ES8_EEEvT_T0_DpT1_
                                        ; -- End function
	.section	.AMDGPU.csdata,"",@progbits
; Kernel info:
; codeLenInByte = 1212
; NumSgprs: 30
; NumVgprs: 32
; NumAgprs: 0
; TotalNumVgprs: 32
; ScratchSize: 0
; MemoryBound: 0
; FloatMode: 240
; IeeeMode: 1
; LDSByteSize: 4096 bytes/workgroup (compile time only)
; SGPRBlocks: 3
; VGPRBlocks: 3
; NumSGPRsForWavesPerEU: 30
; NumVGPRsForWavesPerEU: 32
; AccumOffset: 32
; Occupancy: 8
; WaveLimiterHint : 0
; COMPUTE_PGM_RSRC2:SCRATCH_EN: 0
; COMPUTE_PGM_RSRC2:USER_SGPR: 8
; COMPUTE_PGM_RSRC2:TRAP_HANDLER: 0
; COMPUTE_PGM_RSRC2:TGID_X_EN: 1
; COMPUTE_PGM_RSRC2:TGID_Y_EN: 0
; COMPUTE_PGM_RSRC2:TGID_Z_EN: 0
; COMPUTE_PGM_RSRC2:TIDIG_COMP_CNT: 2
; COMPUTE_PGM_RSRC3_GFX90A:ACCUM_OFFSET: 7
; COMPUTE_PGM_RSRC3_GFX90A:TG_SPLIT: 0
	.section	.text._ZN2at6native12_GLOBAL__N_125multi_tensor_apply_kernelINS1_18TensorListMetadataILi1EEENS1_21BinaryOpScalarFunctorIbLi1ELi1ELi0EEEJSt5minusIbEbEEEvT_T0_DpT1_,"axG",@progbits,_ZN2at6native12_GLOBAL__N_125multi_tensor_apply_kernelINS1_18TensorListMetadataILi1EEENS1_21BinaryOpScalarFunctorIbLi1ELi1ELi0EEEJSt5minusIbEbEEEvT_T0_DpT1_,comdat
	.globl	_ZN2at6native12_GLOBAL__N_125multi_tensor_apply_kernelINS1_18TensorListMetadataILi1EEENS1_21BinaryOpScalarFunctorIbLi1ELi1ELi0EEEJSt5minusIbEbEEEvT_T0_DpT1_ ; -- Begin function _ZN2at6native12_GLOBAL__N_125multi_tensor_apply_kernelINS1_18TensorListMetadataILi1EEENS1_21BinaryOpScalarFunctorIbLi1ELi1ELi0EEEJSt5minusIbEbEEEvT_T0_DpT1_
	.p2align	8
	.type	_ZN2at6native12_GLOBAL__N_125multi_tensor_apply_kernelINS1_18TensorListMetadataILi1EEENS1_21BinaryOpScalarFunctorIbLi1ELi1ELi0EEEJSt5minusIbEbEEEvT_T0_DpT1_,@function
_ZN2at6native12_GLOBAL__N_125multi_tensor_apply_kernelINS1_18TensorListMetadataILi1EEENS1_21BinaryOpScalarFunctorIbLi1ELi1ELi0EEEJSt5minusIbEbEEEvT_T0_DpT1_: ; @_ZN2at6native12_GLOBAL__N_125multi_tensor_apply_kernelINS1_18TensorListMetadataILi1EEENS1_21BinaryOpScalarFunctorIbLi1ELi1ELi0EEEJSt5minusIbEbEEEvT_T0_DpT1_
; %bb.0:
	v_mov_b32_e32 v1, s6
	global_load_ubyte v1, v1, s[4:5] offset:1760
	s_load_dword s0, s[4:5], 0xd28
	s_mul_i32 s2, s6, 3
	s_mul_hi_u32 s1, s6, 3
	s_waitcnt lgkmcnt(0)
	s_lshr_b32 s8, s0, 16
	s_add_u32 s0, s4, s6
	s_addc_u32 s3, s5, 0
	s_add_u32 s0, s0, s2
	s_addc_u32 s1, s3, s1
	s_load_dword s2, s[0:1], 0x820
	v_and_b32_e64 v6, s8, 1
	s_waitcnt vmcnt(0)
	v_readfirstlane_b32 s0, v1
	s_lshl_b32 s3, s0, 3
	s_load_dwordx2 s[0:1], s[4:5], s3 offset:0x0
	s_load_dwordx2 s[6:7], s[4:5], s3 offset:0x370
	s_waitcnt lgkmcnt(0)
	s_ashr_i32 s3, s2, 31
	s_lshl_b64 s[2:3], s[2:3], 16
	s_add_u32 s18, s0, s2
	s_addc_u32 s19, s1, s3
	s_sub_u32 s10, s6, s2
	s_subb_u32 s11, s7, s3
	s_or_b32 s6, s6, s18
	s_and_b32 s6, s6, 3
	s_cmp_eq_u32 s6, 0
	s_cbranch_scc1 .LBB92_21
; %bb.1:
	v_cmp_lt_i64_e64 s[6:7], s[10:11], 1
	s_and_b64 vcc, exec, s[6:7]
	s_cbranch_vccnz .LBB92_20
; %bb.2:
	s_load_dword s6, s[4:5], 0xd3c
	v_mov_b32_e32 v2, 0x10000
	v_mov_b32_e32 v3, 0
	v_cmp_lt_u64_e32 vcc, s[10:11], v[2:3]
	v_mov_b32_e32 v1, s3
	s_waitcnt lgkmcnt(0)
	s_and_b32 s8, s6, 0xffff
	s_and_b64 s[6:7], vcc, exec
	s_cselect_b32 s13, s11, 0
	s_cselect_b32 s12, s10, 0x10000
	s_lshl_b32 s9, s8, 1
	s_mul_i32 s6, s8, 3
	s_lshl_b32 s20, s8, 2
	s_add_u32 s7, s2, s6
	v_add_co_u32_e32 v4, vcc, s2, v0
	s_addc_u32 s14, s3, 0
	v_addc_co_u32_e32 v5, vcc, 0, v1, vcc
	s_add_u32 s7, s0, s7
	v_mov_b32_e32 v7, s1
	v_add_co_u32_e32 v1, vcc, s0, v4
	s_addc_u32 s14, s1, s14
	v_addc_co_u32_e32 v7, vcc, v7, v5, vcc
	s_add_u32 s2, s2, s9
	v_mov_b32_e32 v9, s14
	v_add_co_u32_e32 v8, vcc, s7, v0
	s_addc_u32 s3, s3, 0
	v_addc_co_u32_e32 v9, vcc, 0, v9, vcc
	s_add_u32 s2, s0, s2
	v_add_co_u32_e32 v10, vcc, s6, v0
	s_addc_u32 s3, s1, s3
	v_addc_co_u32_e64 v11, s[6:7], 0, 0, vcc
	v_mov_b32_e32 v13, s3
	v_add_co_u32_e32 v12, vcc, s2, v0
	v_addc_co_u32_e32 v13, vcc, 0, v13, vcc
	s_add_u32 s0, s0, s8
	v_add_co_u32_e32 v14, vcc, s9, v0
	s_addc_u32 s1, s1, 0
	v_addc_co_u32_e64 v15, s[2:3], 0, 0, vcc
	v_mov_b32_e32 v17, s1
	v_add_co_u32_e32 v16, vcc, s0, v4
	v_addc_co_u32_e32 v17, vcc, v17, v5, vcc
	v_add_co_u32_e32 v18, vcc, s8, v0
	v_addc_co_u32_e64 v19, s[0:1], 0, 0, vcc
	s_mov_b64 s[14:15], 0
	v_pk_mov_b32 v[4:5], s[10:11], s[10:11] op_sel:[0,1]
	s_branch .LBB92_4
.LBB92_3:                               ;   in Loop: Header=BB92_4 Depth=1
	s_or_b64 exec, exec, s[0:1]
	s_add_u32 s14, s14, s20
	s_addc_u32 s15, s15, 0
	v_cmp_lt_i64_e32 vcc, s[14:15], v[4:5]
	v_cmp_lt_u64_e64 s[0:1], s[14:15], v[2:3]
	s_and_b64 s[0:1], vcc, s[0:1]
	s_and_b64 vcc, exec, s[0:1]
	s_cbranch_vccz .LBB92_20
.LBB92_4:                               ; =>This Inner Loop Header: Depth=1
	s_waitcnt vmcnt(0)
	v_mov_b32_e32 v21, s15
	v_add_co_u32_e32 v20, vcc, s14, v0
	v_addc_co_u32_e32 v21, vcc, 0, v21, vcc
	v_cmp_gt_u64_e32 vcc, s[12:13], v[20:21]
	v_mov_b32_e32 v21, 0
	s_and_saveexec_b64 s[2:3], vcc
	s_cbranch_execz .LBB92_6
; %bb.5:                                ;   in Loop: Header=BB92_4 Depth=1
	v_mov_b32_e32 v21, s15
	v_add_co_u32_e64 v20, s[0:1], s14, v1
	v_addc_co_u32_e64 v21, s[0:1], v7, v21, s[0:1]
	global_load_ubyte v21, v[20:21], off
.LBB92_6:                               ;   in Loop: Header=BB92_4 Depth=1
	s_or_b64 exec, exec, s[2:3]
	v_mov_b32_e32 v20, s15
	v_add_co_u32_e64 v22, s[0:1], s14, v18
	v_addc_co_u32_e64 v23, s[0:1], v19, v20, s[0:1]
	v_cmp_gt_u64_e64 s[0:1], s[12:13], v[22:23]
	v_mov_b32_e32 v22, 0
	s_and_saveexec_b64 s[6:7], s[0:1]
	s_cbranch_execz .LBB92_8
; %bb.7:                                ;   in Loop: Header=BB92_4 Depth=1
	v_mov_b32_e32 v20, s15
	v_add_co_u32_e64 v22, s[2:3], s14, v16
	v_addc_co_u32_e64 v23, s[2:3], v17, v20, s[2:3]
	global_load_ubyte v22, v[22:23], off
.LBB92_8:                               ;   in Loop: Header=BB92_4 Depth=1
	s_or_b64 exec, exec, s[6:7]
	v_mov_b32_e32 v20, s15
	v_add_co_u32_e64 v24, s[2:3], s14, v14
	v_addc_co_u32_e64 v25, s[2:3], v15, v20, s[2:3]
	v_cmp_gt_u64_e64 s[2:3], s[12:13], v[24:25]
	v_mov_b32_e32 v20, 0
	v_mov_b32_e32 v23, 0
	s_and_saveexec_b64 s[8:9], s[2:3]
	s_cbranch_execz .LBB92_10
; %bb.9:                                ;   in Loop: Header=BB92_4 Depth=1
	v_mov_b32_e32 v23, s15
	v_add_co_u32_e64 v24, s[6:7], s14, v12
	v_addc_co_u32_e64 v25, s[6:7], v13, v23, s[6:7]
	global_load_ubyte v23, v[24:25], off
.LBB92_10:                              ;   in Loop: Header=BB92_4 Depth=1
	s_or_b64 exec, exec, s[8:9]
	v_mov_b32_e32 v25, s15
	v_add_co_u32_e64 v24, s[6:7], s14, v10
	v_addc_co_u32_e64 v25, s[6:7], v11, v25, s[6:7]
	v_cmp_gt_u64_e64 s[6:7], s[12:13], v[24:25]
	s_and_saveexec_b64 s[16:17], s[6:7]
	s_cbranch_execnz .LBB92_15
; %bb.11:                               ;   in Loop: Header=BB92_4 Depth=1
	s_or_b64 exec, exec, s[16:17]
	s_and_saveexec_b64 s[8:9], vcc
	s_cbranch_execnz .LBB92_16
.LBB92_12:                              ;   in Loop: Header=BB92_4 Depth=1
	s_or_b64 exec, exec, s[8:9]
	s_and_saveexec_b64 s[8:9], s[0:1]
	s_cbranch_execnz .LBB92_17
.LBB92_13:                              ;   in Loop: Header=BB92_4 Depth=1
	s_or_b64 exec, exec, s[8:9]
	s_and_saveexec_b64 s[0:1], s[2:3]
	s_cbranch_execnz .LBB92_18
.LBB92_14:                              ;   in Loop: Header=BB92_4 Depth=1
	s_or_b64 exec, exec, s[0:1]
	s_and_saveexec_b64 s[0:1], s[6:7]
	s_cbranch_execz .LBB92_3
	s_branch .LBB92_19
.LBB92_15:                              ;   in Loop: Header=BB92_4 Depth=1
	v_mov_b32_e32 v20, s15
	v_add_co_u32_e64 v24, s[8:9], s14, v8
	v_addc_co_u32_e64 v25, s[8:9], v9, v20, s[8:9]
	global_load_ubyte v20, v[24:25], off
	s_or_b64 exec, exec, s[16:17]
	s_and_saveexec_b64 s[8:9], vcc
	s_cbranch_execz .LBB92_12
.LBB92_16:                              ;   in Loop: Header=BB92_4 Depth=1
	s_waitcnt vmcnt(0)
	v_cmp_ne_u16_sdwa s[16:17], v21, v6 src0_sel:BYTE_0 src1_sel:DWORD
	v_mov_b32_e32 v25, s15
	v_add_co_u32_e32 v24, vcc, s14, v1
	v_cndmask_b32_e64 v21, 0, 1, s[16:17]
	v_addc_co_u32_e32 v25, vcc, v7, v25, vcc
	global_store_byte v[24:25], v21, off
	s_or_b64 exec, exec, s[8:9]
	s_and_saveexec_b64 s[8:9], s[0:1]
	s_cbranch_execz .LBB92_13
.LBB92_17:                              ;   in Loop: Header=BB92_4 Depth=1
	s_waitcnt vmcnt(0)
	v_cmp_ne_u16_sdwa s[0:1], v22, v6 src0_sel:BYTE_0 src1_sel:DWORD
	v_mov_b32_e32 v22, s15
	v_add_co_u32_e32 v24, vcc, s14, v16
	v_cndmask_b32_e64 v21, 0, 1, s[0:1]
	v_addc_co_u32_e32 v25, vcc, v17, v22, vcc
	global_store_byte v[24:25], v21, off
	s_or_b64 exec, exec, s[8:9]
	s_and_saveexec_b64 s[0:1], s[2:3]
	s_cbranch_execz .LBB92_14
.LBB92_18:                              ;   in Loop: Header=BB92_4 Depth=1
	s_waitcnt vmcnt(0)
	v_cmp_ne_u16_sdwa s[2:3], v23, v6 src0_sel:BYTE_0 src1_sel:DWORD
	v_mov_b32_e32 v23, s15
	v_add_co_u32_e32 v22, vcc, s14, v12
	v_cndmask_b32_e64 v21, 0, 1, s[2:3]
	v_addc_co_u32_e32 v23, vcc, v13, v23, vcc
	global_store_byte v[22:23], v21, off
	s_or_b64 exec, exec, s[0:1]
	s_and_saveexec_b64 s[0:1], s[6:7]
	s_cbranch_execz .LBB92_3
.LBB92_19:                              ;   in Loop: Header=BB92_4 Depth=1
	s_waitcnt vmcnt(0)
	v_cmp_ne_u16_sdwa s[2:3], v20, v6 src0_sel:BYTE_0 src1_sel:DWORD
	v_mov_b32_e32 v21, s15
	v_add_co_u32_e32 v20, vcc, s14, v8
	v_cndmask_b32_e64 v22, 0, 1, s[2:3]
	v_addc_co_u32_e32 v21, vcc, v9, v21, vcc
	global_store_byte v[20:21], v22, off
	s_branch .LBB92_3
.LBB92_20:
	s_cbranch_execz .LBB92_22
	s_branch .LBB92_25
.LBB92_21:
.LBB92_22:
	v_lshlrev_b32_e32 v0, 2, v0
	v_mov_b32_e32 v1, 0
	v_cmp_gt_i64_e32 vcc, s[10:11], v[0:1]
	s_and_saveexec_b64 s[0:1], vcc
	s_cbranch_execz .LBB92_25
; %bb.23:
	s_load_dword s0, s[4:5], 0xd3c
	s_mov_b32 s1, 0
	s_mov_b64 s[2:3], 0
	v_mov_b32_e32 v2, s19
	s_movk_i32 s6, 0xff
	s_waitcnt lgkmcnt(0)
	s_and_b32 s0, s0, 0xffff
	s_lshl_b32 s7, s0, 2
	v_mov_b32_e32 v3, s1
	s_mov_b64 s[4:5], 0xffff
.LBB92_24:                              ; =>This Inner Loop Header: Depth=1
	v_add_co_u32_e32 v4, vcc, s18, v0
	v_addc_co_u32_e32 v5, vcc, v2, v1, vcc
	global_load_dword v7, v[4:5], off
	v_add_co_u32_e32 v0, vcc, s7, v0
	v_addc_co_u32_e32 v1, vcc, v3, v1, vcc
	v_cmp_le_i64_e32 vcc, s[10:11], v[0:1]
	v_cmp_lt_u64_e64 s[0:1], s[4:5], v[0:1]
	s_or_b64 s[0:1], vcc, s[0:1]
	s_and_b64 s[0:1], exec, s[0:1]
	s_or_b64 s[2:3], s[0:1], s[2:3]
	s_waitcnt vmcnt(0)
	v_cmp_ne_u16_sdwa s[0:1], v7, v6 src0_sel:BYTE_3 src1_sel:DWORD
	v_lshrrev_b32_e32 v8, 8, v7
	v_and_b32_sdwa v9, v7, s6 dst_sel:DWORD dst_unused:UNUSED_PAD src0_sel:WORD_1 src1_sel:DWORD
	v_cndmask_b32_e64 v10, 0, 1, s[0:1]
	v_cmp_ne_u16_sdwa s[0:1], v7, v6 src0_sel:BYTE_0 src1_sel:DWORD
	v_cndmask_b32_e64 v7, 0, 1, s[0:1]
	v_cmp_ne_u16_sdwa s[0:1], v8, v6 src0_sel:BYTE_0 src1_sel:DWORD
	v_cmp_ne_u16_e32 vcc, v9, v6
	v_cndmask_b32_e64 v8, 0, 1, s[0:1]
	v_cndmask_b32_e64 v9, 0, 1, vcc
	v_lshlrev_b32_e32 v10, 24, v10
	v_lshlrev_b32_e32 v8, 8, v8
	v_lshl_or_b32 v7, v9, 16, v7
	v_or3_b32 v7, v7, v10, v8
	global_store_dword v[4:5], v7, off
	s_andn2_b64 exec, exec, s[2:3]
	s_cbranch_execnz .LBB92_24
.LBB92_25:
	s_endpgm
	.section	.rodata,"a",@progbits
	.p2align	6, 0x0
	.amdhsa_kernel _ZN2at6native12_GLOBAL__N_125multi_tensor_apply_kernelINS1_18TensorListMetadataILi1EEENS1_21BinaryOpScalarFunctorIbLi1ELi1ELi0EEEJSt5minusIbEbEEEvT_T0_DpT1_
		.amdhsa_group_segment_fixed_size 0
		.amdhsa_private_segment_fixed_size 0
		.amdhsa_kernarg_size 3632
		.amdhsa_user_sgpr_count 6
		.amdhsa_user_sgpr_private_segment_buffer 1
		.amdhsa_user_sgpr_dispatch_ptr 0
		.amdhsa_user_sgpr_queue_ptr 0
		.amdhsa_user_sgpr_kernarg_segment_ptr 1
		.amdhsa_user_sgpr_dispatch_id 0
		.amdhsa_user_sgpr_flat_scratch_init 0
		.amdhsa_user_sgpr_kernarg_preload_length 0
		.amdhsa_user_sgpr_kernarg_preload_offset 0
		.amdhsa_user_sgpr_private_segment_size 0
		.amdhsa_uses_dynamic_stack 0
		.amdhsa_system_sgpr_private_segment_wavefront_offset 0
		.amdhsa_system_sgpr_workgroup_id_x 1
		.amdhsa_system_sgpr_workgroup_id_y 0
		.amdhsa_system_sgpr_workgroup_id_z 0
		.amdhsa_system_sgpr_workgroup_info 0
		.amdhsa_system_vgpr_workitem_id 0
		.amdhsa_next_free_vgpr 26
		.amdhsa_next_free_sgpr 21
		.amdhsa_accum_offset 28
		.amdhsa_reserve_vcc 1
		.amdhsa_reserve_flat_scratch 0
		.amdhsa_float_round_mode_32 0
		.amdhsa_float_round_mode_16_64 0
		.amdhsa_float_denorm_mode_32 3
		.amdhsa_float_denorm_mode_16_64 3
		.amdhsa_dx10_clamp 1
		.amdhsa_ieee_mode 1
		.amdhsa_fp16_overflow 0
		.amdhsa_tg_split 0
		.amdhsa_exception_fp_ieee_invalid_op 0
		.amdhsa_exception_fp_denorm_src 0
		.amdhsa_exception_fp_ieee_div_zero 0
		.amdhsa_exception_fp_ieee_overflow 0
		.amdhsa_exception_fp_ieee_underflow 0
		.amdhsa_exception_fp_ieee_inexact 0
		.amdhsa_exception_int_div_zero 0
	.end_amdhsa_kernel
	.section	.text._ZN2at6native12_GLOBAL__N_125multi_tensor_apply_kernelINS1_18TensorListMetadataILi1EEENS1_21BinaryOpScalarFunctorIbLi1ELi1ELi0EEEJSt5minusIbEbEEEvT_T0_DpT1_,"axG",@progbits,_ZN2at6native12_GLOBAL__N_125multi_tensor_apply_kernelINS1_18TensorListMetadataILi1EEENS1_21BinaryOpScalarFunctorIbLi1ELi1ELi0EEEJSt5minusIbEbEEEvT_T0_DpT1_,comdat
.Lfunc_end92:
	.size	_ZN2at6native12_GLOBAL__N_125multi_tensor_apply_kernelINS1_18TensorListMetadataILi1EEENS1_21BinaryOpScalarFunctorIbLi1ELi1ELi0EEEJSt5minusIbEbEEEvT_T0_DpT1_, .Lfunc_end92-_ZN2at6native12_GLOBAL__N_125multi_tensor_apply_kernelINS1_18TensorListMetadataILi1EEENS1_21BinaryOpScalarFunctorIbLi1ELi1ELi0EEEJSt5minusIbEbEEEvT_T0_DpT1_
                                        ; -- End function
	.section	.AMDGPU.csdata,"",@progbits
; Kernel info:
; codeLenInByte = 1196
; NumSgprs: 25
; NumVgprs: 26
; NumAgprs: 0
; TotalNumVgprs: 26
; ScratchSize: 0
; MemoryBound: 0
; FloatMode: 240
; IeeeMode: 1
; LDSByteSize: 0 bytes/workgroup (compile time only)
; SGPRBlocks: 3
; VGPRBlocks: 3
; NumSGPRsForWavesPerEU: 25
; NumVGPRsForWavesPerEU: 26
; AccumOffset: 28
; Occupancy: 8
; WaveLimiterHint : 0
; COMPUTE_PGM_RSRC2:SCRATCH_EN: 0
; COMPUTE_PGM_RSRC2:USER_SGPR: 6
; COMPUTE_PGM_RSRC2:TRAP_HANDLER: 0
; COMPUTE_PGM_RSRC2:TGID_X_EN: 1
; COMPUTE_PGM_RSRC2:TGID_Y_EN: 0
; COMPUTE_PGM_RSRC2:TGID_Z_EN: 0
; COMPUTE_PGM_RSRC2:TIDIG_COMP_CNT: 0
; COMPUTE_PGM_RSRC3_GFX90A:ACCUM_OFFSET: 6
; COMPUTE_PGM_RSRC3_GFX90A:TG_SPLIT: 0
	.section	.text._ZN2at6native12_GLOBAL__N_125multi_tensor_apply_kernelINS1_18TensorListMetadataILi1EEENS1_21BinaryOpScalarFunctorIN3c104HalfELi1ELi1ELi0EEEJSt5minusIfEfEEEvT_T0_DpT1_,"axG",@progbits,_ZN2at6native12_GLOBAL__N_125multi_tensor_apply_kernelINS1_18TensorListMetadataILi1EEENS1_21BinaryOpScalarFunctorIN3c104HalfELi1ELi1ELi0EEEJSt5minusIfEfEEEvT_T0_DpT1_,comdat
	.globl	_ZN2at6native12_GLOBAL__N_125multi_tensor_apply_kernelINS1_18TensorListMetadataILi1EEENS1_21BinaryOpScalarFunctorIN3c104HalfELi1ELi1ELi0EEEJSt5minusIfEfEEEvT_T0_DpT1_ ; -- Begin function _ZN2at6native12_GLOBAL__N_125multi_tensor_apply_kernelINS1_18TensorListMetadataILi1EEENS1_21BinaryOpScalarFunctorIN3c104HalfELi1ELi1ELi0EEEJSt5minusIfEfEEEvT_T0_DpT1_
	.p2align	8
	.type	_ZN2at6native12_GLOBAL__N_125multi_tensor_apply_kernelINS1_18TensorListMetadataILi1EEENS1_21BinaryOpScalarFunctorIN3c104HalfELi1ELi1ELi0EEEJSt5minusIfEfEEEvT_T0_DpT1_,@function
_ZN2at6native12_GLOBAL__N_125multi_tensor_apply_kernelINS1_18TensorListMetadataILi1EEENS1_21BinaryOpScalarFunctorIN3c104HalfELi1ELi1ELi0EEEJSt5minusIfEfEEEvT_T0_DpT1_: ; @_ZN2at6native12_GLOBAL__N_125multi_tensor_apply_kernelINS1_18TensorListMetadataILi1EEENS1_21BinaryOpScalarFunctorIN3c104HalfELi1ELi1ELi0EEEJSt5minusIfEfEEEvT_T0_DpT1_
; %bb.0:
	v_mov_b32_e32 v1, s6
	global_load_ubyte v1, v1, s[4:5] offset:1760
	s_add_u32 s0, s4, s6
	s_mul_hi_u32 s1, s6, 3
	s_mul_i32 s6, s6, 3
	s_addc_u32 s2, s5, 0
	s_add_u32 s0, s0, s6
	s_addc_u32 s1, s2, s1
	s_load_dword s0, s[0:1], 0x820
	s_mov_b32 s7, 0
	s_waitcnt vmcnt(0)
	v_readfirstlane_b32 s1, v1
	s_lshl_b32 s1, s1, 3
	s_load_dword s22, s[4:5], 0xd2c
	s_load_dwordx2 s[2:3], s[4:5], s1 offset:0x370
	s_load_dwordx2 s[12:13], s[4:5], s1 offset:0x0
	s_waitcnt lgkmcnt(0)
	s_ashr_i32 s1, s0, 31
	s_lshl_b64 s[14:15], s[0:1], 17
	s_lshl_b64 s[0:1], s[0:1], 16
	s_and_b32 s6, s12, 7
	s_sub_u32 s10, s2, s0
	s_subb_u32 s11, s3, s1
	s_and_b32 s0, s2, 3
	s_mov_b32 s1, s7
	s_or_b64 s[0:1], s[6:7], s[0:1]
	s_cmp_eq_u64 s[0:1], 0
	s_cbranch_scc1 .LBB93_21
; %bb.1:
	v_cmp_lt_i64_e64 s[0:1], s[10:11], 1
	s_and_b64 vcc, exec, s[0:1]
	s_cbranch_vccnz .LBB93_20
; %bb.2:
	s_load_dword s0, s[4:5], 0xd3c
	v_mov_b32_e32 v2, 0x10000
	v_mov_b32_e32 v3, 0
	v_cmp_lt_u64_e32 vcc, s[10:11], v[2:3]
	v_lshlrev_b32_e32 v1, 1, v0
	s_waitcnt lgkmcnt(0)
	s_and_b32 s2, s0, 0xffff
	s_and_b64 s[0:1], vcc, exec
	s_cselect_b32 s17, s11, 0
	s_cselect_b32 s16, s10, 0x10000
	s_lshl_b32 s3, s2, 1
	s_lshl_b32 s24, s2, 2
	s_add_u32 s6, s12, s14
	s_addc_u32 s7, s13, s15
	v_mov_b32_e32 v5, s7
	v_add_co_u32_e32 v4, vcc, s6, v1
	s_mul_i32 s0, s2, 3
	v_addc_co_u32_e32 v5, vcc, 0, v5, vcc
	v_add_co_u32_e32 v1, vcc, s0, v0
	v_addc_co_u32_e64 v10, s[0:1], 0, 0, vcc
	v_add_co_u32_e32 v11, vcc, s3, v0
	v_addc_co_u32_e64 v12, s[0:1], 0, 0, vcc
	v_add_co_u32_e32 v13, vcc, s2, v0
	v_lshlrev_b32_e32 v6, 1, v13
	s_mov_b32 s23, 0
	v_addc_co_u32_e64 v14, s[0:1], 0, 0, vcc
	v_mov_b32_e32 v7, s7
	v_add_co_u32_e32 v6, vcc, s6, v6
	s_lshl_b32 s25, s2, 3
	s_mul_i32 s26, s2, 6
	s_mov_b32 s27, s23
	v_addc_co_u32_e32 v7, vcc, 0, v7, vcc
	s_mov_b64 s[18:19], 0
	v_pk_mov_b32 v[8:9], s[10:11], s[10:11] op_sel:[0,1]
	v_mov_b32_e32 v15, s23
	s_branch .LBB93_4
.LBB93_3:                               ;   in Loop: Header=BB93_4 Depth=1
	s_or_b64 exec, exec, s[0:1]
	s_add_u32 s18, s18, s24
	s_addc_u32 s19, s19, 0
	v_cmp_lt_i64_e32 vcc, s[18:19], v[8:9]
	v_cmp_lt_u64_e64 s[0:1], s[18:19], v[2:3]
	s_and_b64 s[0:1], vcc, s[0:1]
	v_add_co_u32_e32 v4, vcc, s25, v4
	v_addc_co_u32_e32 v5, vcc, v5, v15, vcc
	v_add_co_u32_e32 v6, vcc, s25, v6
	v_addc_co_u32_e32 v7, vcc, v7, v15, vcc
	s_and_b64 vcc, exec, s[0:1]
	s_cbranch_vccz .LBB93_20
.LBB93_4:                               ; =>This Inner Loop Header: Depth=1
	s_waitcnt vmcnt(0)
	v_mov_b32_e32 v17, s19
	v_add_co_u32_e32 v16, vcc, s18, v0
	v_addc_co_u32_e32 v17, vcc, 0, v17, vcc
	v_cmp_gt_u64_e32 vcc, s[16:17], v[16:17]
	v_mov_b32_e32 v16, 0
	s_and_saveexec_b64 s[0:1], vcc
	s_cbranch_execz .LBB93_6
; %bb.5:                                ;   in Loop: Header=BB93_4 Depth=1
	global_load_ushort v16, v[4:5], off
.LBB93_6:                               ;   in Loop: Header=BB93_4 Depth=1
	s_or_b64 exec, exec, s[0:1]
	v_mov_b32_e32 v17, s19
	v_add_co_u32_e64 v18, s[0:1], s18, v13
	v_addc_co_u32_e64 v19, s[0:1], v14, v17, s[0:1]
	v_cmp_gt_u64_e64 s[0:1], s[16:17], v[18:19]
	v_mov_b32_e32 v18, 0
	s_and_saveexec_b64 s[2:3], s[0:1]
	s_cbranch_execz .LBB93_8
; %bb.7:                                ;   in Loop: Header=BB93_4 Depth=1
	global_load_ushort v18, v[6:7], off
.LBB93_8:                               ;   in Loop: Header=BB93_4 Depth=1
	s_or_b64 exec, exec, s[2:3]
	v_mov_b32_e32 v17, s19
	v_add_co_u32_e64 v20, s[2:3], s18, v11
	v_addc_co_u32_e64 v21, s[2:3], v12, v17, s[2:3]
	v_cmp_gt_u64_e64 s[2:3], s[16:17], v[20:21]
	v_mov_b32_e32 v17, 0
	v_mov_b32_e32 v19, 0
	s_and_saveexec_b64 s[8:9], s[2:3]
	s_cbranch_execz .LBB93_10
; %bb.9:                                ;   in Loop: Header=BB93_4 Depth=1
	v_mov_b32_e32 v19, s23
	v_add_co_u32_e64 v20, s[6:7], s24, v4
	v_addc_co_u32_e64 v21, s[6:7], v5, v19, s[6:7]
	global_load_ushort v19, v[20:21], off
.LBB93_10:                              ;   in Loop: Header=BB93_4 Depth=1
	s_or_b64 exec, exec, s[8:9]
	v_mov_b32_e32 v21, s19
	v_add_co_u32_e64 v20, s[6:7], s18, v1
	v_addc_co_u32_e64 v21, s[6:7], v10, v21, s[6:7]
	v_cmp_gt_u64_e64 s[6:7], s[16:17], v[20:21]
	s_and_saveexec_b64 s[20:21], s[6:7]
	s_cbranch_execnz .LBB93_15
; %bb.11:                               ;   in Loop: Header=BB93_4 Depth=1
	s_or_b64 exec, exec, s[20:21]
	s_and_saveexec_b64 s[8:9], vcc
	s_cbranch_execnz .LBB93_16
.LBB93_12:                              ;   in Loop: Header=BB93_4 Depth=1
	s_or_b64 exec, exec, s[8:9]
	s_and_saveexec_b64 s[8:9], s[0:1]
	s_cbranch_execnz .LBB93_17
.LBB93_13:                              ;   in Loop: Header=BB93_4 Depth=1
	s_or_b64 exec, exec, s[8:9]
	s_and_saveexec_b64 s[0:1], s[2:3]
	s_cbranch_execnz .LBB93_18
.LBB93_14:                              ;   in Loop: Header=BB93_4 Depth=1
	s_or_b64 exec, exec, s[0:1]
	s_and_saveexec_b64 s[0:1], s[6:7]
	s_cbranch_execz .LBB93_3
	s_branch .LBB93_19
.LBB93_15:                              ;   in Loop: Header=BB93_4 Depth=1
	v_mov_b32_e32 v17, s27
	v_add_co_u32_e64 v20, s[8:9], s26, v4
	v_addc_co_u32_e64 v21, s[8:9], v5, v17, s[8:9]
	global_load_ushort v17, v[20:21], off
	s_or_b64 exec, exec, s[20:21]
	s_and_saveexec_b64 s[8:9], vcc
	s_cbranch_execz .LBB93_12
.LBB93_16:                              ;   in Loop: Header=BB93_4 Depth=1
	s_waitcnt vmcnt(0)
	v_cvt_f32_f16_e32 v16, v16
	v_subrev_f32_e32 v16, s22, v16
	v_cvt_f16_f32_e32 v16, v16
	global_store_short v[4:5], v16, off
	s_or_b64 exec, exec, s[8:9]
	s_and_saveexec_b64 s[8:9], s[0:1]
	s_cbranch_execz .LBB93_13
.LBB93_17:                              ;   in Loop: Header=BB93_4 Depth=1
	s_waitcnt vmcnt(0)
	v_cvt_f32_f16_e32 v16, v18
	v_subrev_f32_e32 v16, s22, v16
	v_cvt_f16_f32_e32 v16, v16
	global_store_short v[6:7], v16, off
	s_or_b64 exec, exec, s[8:9]
	s_and_saveexec_b64 s[0:1], s[2:3]
	s_cbranch_execz .LBB93_14
.LBB93_18:                              ;   in Loop: Header=BB93_4 Depth=1
	s_waitcnt vmcnt(0)
	v_cvt_f32_f16_e32 v16, v19
	v_mov_b32_e32 v19, s23
	v_add_co_u32_e32 v18, vcc, s24, v4
	v_subrev_f32_e32 v16, s22, v16
	v_cvt_f16_f32_e32 v16, v16
	v_addc_co_u32_e32 v19, vcc, v5, v19, vcc
	global_store_short v[18:19], v16, off
	s_or_b64 exec, exec, s[0:1]
	s_and_saveexec_b64 s[0:1], s[6:7]
	s_cbranch_execz .LBB93_3
.LBB93_19:                              ;   in Loop: Header=BB93_4 Depth=1
	s_waitcnt vmcnt(0)
	v_cvt_f32_f16_e32 v16, v17
	v_mov_b32_e32 v17, s27
	v_subrev_f32_e32 v16, s22, v16
	v_cvt_f16_f32_e32 v18, v16
	v_add_co_u32_e32 v16, vcc, s26, v4
	v_addc_co_u32_e32 v17, vcc, v5, v17, vcc
	global_store_short v[16:17], v18, off
	s_branch .LBB93_3
.LBB93_20:
	s_cbranch_execz .LBB93_22
	s_branch .LBB93_25
.LBB93_21:
.LBB93_22:
	v_mov_b32_e32 v3, 0
	v_lshlrev_b32_e32 v2, 2, v0
	s_mov_b32 s0, 0
	v_cmp_gt_i64_e32 vcc, s[10:11], v[2:3]
	s_and_saveexec_b64 s[2:3], vcc
	s_cbranch_execz .LBB93_25
; %bb.23:
	s_load_dword s1, s[4:5], 0xd3c
	v_lshlrev_b32_e32 v1, 3, v0
	s_mov_b32 s6, s22
	s_mov_b32 s7, s22
	;; [unrolled: 1-line block ×3, first 2 shown]
	s_waitcnt lgkmcnt(0)
	s_and_b32 s1, s1, 0xffff
	s_add_u32 s2, s12, s14
	s_addc_u32 s3, s13, s15
	v_mov_b32_e32 v2, s3
	v_add_co_u32_e32 v4, vcc, s2, v1
	v_addc_co_u32_e32 v5, vcc, 0, v2, vcc
	s_lshl_b32 s9, s1, 3
	v_add_lshl_u32 v2, v0, s1, 2
	s_lshl_b32 s12, s1, 2
	s_mov_b64 s[2:3], 0
	s_mov_b64 s[4:5], 0xffff
	v_mov_b32_e32 v0, s0
	v_mov_b32_e32 v1, s0
.LBB93_24:                              ; =>This Inner Loop Header: Depth=1
	global_load_dwordx2 v[6:7], v[4:5], off
	v_cmp_le_i64_e32 vcc, s[10:11], v[2:3]
	v_cmp_lt_u64_e64 s[0:1], s[4:5], v[2:3]
	s_or_b64 s[0:1], vcc, s[0:1]
	s_and_b64 s[0:1], exec, s[0:1]
	s_or_b64 s[2:3], s[0:1], s[2:3]
	s_waitcnt vmcnt(0)
	v_cvt_f32_f16_sdwa v8, v6 dst_sel:DWORD dst_unused:UNUSED_PAD src0_sel:WORD_1
	v_cvt_f32_f16_e32 v6, v6
	v_cvt_f32_f16_sdwa v9, v7 dst_sel:DWORD dst_unused:UNUSED_PAD src0_sel:WORD_1
	v_cvt_f32_f16_e32 v7, v7
	v_subrev_f32_e32 v8, s6, v8
	v_subrev_f32_e32 v6, s22, v6
	;; [unrolled: 1-line block ×4, first 2 shown]
	v_cvt_f16_f32_e32 v7, v7
	v_cvt_f16_f32_e32 v9, v9
	;; [unrolled: 1-line block ×4, first 2 shown]
	v_pack_b32_f16 v7, v7, v9
	v_pack_b32_f16 v6, v6, v8
	global_store_dwordx2 v[4:5], v[6:7], off
	v_add_co_u32_e32 v4, vcc, s9, v4
	v_addc_co_u32_e32 v5, vcc, v5, v0, vcc
	v_add_co_u32_e32 v2, vcc, s12, v2
	v_addc_co_u32_e32 v3, vcc, v3, v1, vcc
	s_andn2_b64 exec, exec, s[2:3]
	s_cbranch_execnz .LBB93_24
.LBB93_25:
	s_endpgm
	.section	.rodata,"a",@progbits
	.p2align	6, 0x0
	.amdhsa_kernel _ZN2at6native12_GLOBAL__N_125multi_tensor_apply_kernelINS1_18TensorListMetadataILi1EEENS1_21BinaryOpScalarFunctorIN3c104HalfELi1ELi1ELi0EEEJSt5minusIfEfEEEvT_T0_DpT1_
		.amdhsa_group_segment_fixed_size 0
		.amdhsa_private_segment_fixed_size 0
		.amdhsa_kernarg_size 3632
		.amdhsa_user_sgpr_count 6
		.amdhsa_user_sgpr_private_segment_buffer 1
		.amdhsa_user_sgpr_dispatch_ptr 0
		.amdhsa_user_sgpr_queue_ptr 0
		.amdhsa_user_sgpr_kernarg_segment_ptr 1
		.amdhsa_user_sgpr_dispatch_id 0
		.amdhsa_user_sgpr_flat_scratch_init 0
		.amdhsa_user_sgpr_kernarg_preload_length 0
		.amdhsa_user_sgpr_kernarg_preload_offset 0
		.amdhsa_user_sgpr_private_segment_size 0
		.amdhsa_uses_dynamic_stack 0
		.amdhsa_system_sgpr_private_segment_wavefront_offset 0
		.amdhsa_system_sgpr_workgroup_id_x 1
		.amdhsa_system_sgpr_workgroup_id_y 0
		.amdhsa_system_sgpr_workgroup_id_z 0
		.amdhsa_system_sgpr_workgroup_info 0
		.amdhsa_system_vgpr_workitem_id 0
		.amdhsa_next_free_vgpr 22
		.amdhsa_next_free_sgpr 28
		.amdhsa_accum_offset 24
		.amdhsa_reserve_vcc 1
		.amdhsa_reserve_flat_scratch 0
		.amdhsa_float_round_mode_32 0
		.amdhsa_float_round_mode_16_64 0
		.amdhsa_float_denorm_mode_32 3
		.amdhsa_float_denorm_mode_16_64 3
		.amdhsa_dx10_clamp 1
		.amdhsa_ieee_mode 1
		.amdhsa_fp16_overflow 0
		.amdhsa_tg_split 0
		.amdhsa_exception_fp_ieee_invalid_op 0
		.amdhsa_exception_fp_denorm_src 0
		.amdhsa_exception_fp_ieee_div_zero 0
		.amdhsa_exception_fp_ieee_overflow 0
		.amdhsa_exception_fp_ieee_underflow 0
		.amdhsa_exception_fp_ieee_inexact 0
		.amdhsa_exception_int_div_zero 0
	.end_amdhsa_kernel
	.section	.text._ZN2at6native12_GLOBAL__N_125multi_tensor_apply_kernelINS1_18TensorListMetadataILi1EEENS1_21BinaryOpScalarFunctorIN3c104HalfELi1ELi1ELi0EEEJSt5minusIfEfEEEvT_T0_DpT1_,"axG",@progbits,_ZN2at6native12_GLOBAL__N_125multi_tensor_apply_kernelINS1_18TensorListMetadataILi1EEENS1_21BinaryOpScalarFunctorIN3c104HalfELi1ELi1ELi0EEEJSt5minusIfEfEEEvT_T0_DpT1_,comdat
.Lfunc_end93:
	.size	_ZN2at6native12_GLOBAL__N_125multi_tensor_apply_kernelINS1_18TensorListMetadataILi1EEENS1_21BinaryOpScalarFunctorIN3c104HalfELi1ELi1ELi0EEEJSt5minusIfEfEEEvT_T0_DpT1_, .Lfunc_end93-_ZN2at6native12_GLOBAL__N_125multi_tensor_apply_kernelINS1_18TensorListMetadataILi1EEENS1_21BinaryOpScalarFunctorIN3c104HalfELi1ELi1ELi0EEEJSt5minusIfEfEEEvT_T0_DpT1_
                                        ; -- End function
	.section	.AMDGPU.csdata,"",@progbits
; Kernel info:
; codeLenInByte = 1104
; NumSgprs: 32
; NumVgprs: 22
; NumAgprs: 0
; TotalNumVgprs: 22
; ScratchSize: 0
; MemoryBound: 0
; FloatMode: 240
; IeeeMode: 1
; LDSByteSize: 0 bytes/workgroup (compile time only)
; SGPRBlocks: 3
; VGPRBlocks: 2
; NumSGPRsForWavesPerEU: 32
; NumVGPRsForWavesPerEU: 22
; AccumOffset: 24
; Occupancy: 8
; WaveLimiterHint : 0
; COMPUTE_PGM_RSRC2:SCRATCH_EN: 0
; COMPUTE_PGM_RSRC2:USER_SGPR: 6
; COMPUTE_PGM_RSRC2:TRAP_HANDLER: 0
; COMPUTE_PGM_RSRC2:TGID_X_EN: 1
; COMPUTE_PGM_RSRC2:TGID_Y_EN: 0
; COMPUTE_PGM_RSRC2:TGID_Z_EN: 0
; COMPUTE_PGM_RSRC2:TIDIG_COMP_CNT: 0
; COMPUTE_PGM_RSRC3_GFX90A:ACCUM_OFFSET: 5
; COMPUTE_PGM_RSRC3_GFX90A:TG_SPLIT: 0
	.section	.text._ZN2at6native12_GLOBAL__N_125multi_tensor_apply_kernelINS1_18TensorListMetadataILi1EEENS1_21BinaryOpScalarFunctorIN3c108BFloat16ELi1ELi1ELi0EEEJSt5minusIfEfEEEvT_T0_DpT1_,"axG",@progbits,_ZN2at6native12_GLOBAL__N_125multi_tensor_apply_kernelINS1_18TensorListMetadataILi1EEENS1_21BinaryOpScalarFunctorIN3c108BFloat16ELi1ELi1ELi0EEEJSt5minusIfEfEEEvT_T0_DpT1_,comdat
	.globl	_ZN2at6native12_GLOBAL__N_125multi_tensor_apply_kernelINS1_18TensorListMetadataILi1EEENS1_21BinaryOpScalarFunctorIN3c108BFloat16ELi1ELi1ELi0EEEJSt5minusIfEfEEEvT_T0_DpT1_ ; -- Begin function _ZN2at6native12_GLOBAL__N_125multi_tensor_apply_kernelINS1_18TensorListMetadataILi1EEENS1_21BinaryOpScalarFunctorIN3c108BFloat16ELi1ELi1ELi0EEEJSt5minusIfEfEEEvT_T0_DpT1_
	.p2align	8
	.type	_ZN2at6native12_GLOBAL__N_125multi_tensor_apply_kernelINS1_18TensorListMetadataILi1EEENS1_21BinaryOpScalarFunctorIN3c108BFloat16ELi1ELi1ELi0EEEJSt5minusIfEfEEEvT_T0_DpT1_,@function
_ZN2at6native12_GLOBAL__N_125multi_tensor_apply_kernelINS1_18TensorListMetadataILi1EEENS1_21BinaryOpScalarFunctorIN3c108BFloat16ELi1ELi1ELi0EEEJSt5minusIfEfEEEvT_T0_DpT1_: ; @_ZN2at6native12_GLOBAL__N_125multi_tensor_apply_kernelINS1_18TensorListMetadataILi1EEENS1_21BinaryOpScalarFunctorIN3c108BFloat16ELi1ELi1ELi0EEEJSt5minusIfEfEEEvT_T0_DpT1_
; %bb.0:
	v_mov_b32_e32 v1, s6
	global_load_ubyte v1, v1, s[4:5] offset:1760
	s_add_u32 s0, s4, s6
	s_mul_hi_u32 s1, s6, 3
	s_mul_i32 s6, s6, 3
	s_addc_u32 s2, s5, 0
	s_add_u32 s0, s0, s6
	s_addc_u32 s1, s2, s1
	s_load_dword s0, s[0:1], 0x820
	s_mov_b32 s7, 0
	s_waitcnt vmcnt(0)
	v_readfirstlane_b32 s1, v1
	s_lshl_b32 s1, s1, 3
	s_load_dword s22, s[4:5], 0xd2c
	s_load_dwordx2 s[2:3], s[4:5], s1 offset:0x370
	s_load_dwordx2 s[12:13], s[4:5], s1 offset:0x0
	s_waitcnt lgkmcnt(0)
	s_ashr_i32 s1, s0, 31
	s_lshl_b64 s[14:15], s[0:1], 17
	s_lshl_b64 s[0:1], s[0:1], 16
	s_and_b32 s6, s12, 7
	s_sub_u32 s10, s2, s0
	s_subb_u32 s11, s3, s1
	s_and_b32 s0, s2, 3
	s_mov_b32 s1, s7
	s_or_b64 s[0:1], s[6:7], s[0:1]
	s_cmp_eq_u64 s[0:1], 0
	s_cbranch_scc1 .LBB94_21
; %bb.1:
	v_cmp_lt_i64_e64 s[0:1], s[10:11], 1
	s_and_b64 vcc, exec, s[0:1]
	s_cbranch_vccnz .LBB94_20
; %bb.2:
	s_load_dword s0, s[4:5], 0xd3c
	v_mov_b32_e32 v2, 0x10000
	v_mov_b32_e32 v3, 0
	v_cmp_lt_u64_e32 vcc, s[10:11], v[2:3]
	v_lshlrev_b32_e32 v1, 1, v0
	s_waitcnt lgkmcnt(0)
	s_and_b32 s2, s0, 0xffff
	s_and_b64 s[0:1], vcc, exec
	s_cselect_b32 s17, s11, 0
	s_cselect_b32 s16, s10, 0x10000
	s_lshl_b32 s3, s2, 1
	s_lshl_b32 s24, s2, 2
	s_add_u32 s6, s12, s14
	s_addc_u32 s7, s13, s15
	v_mov_b32_e32 v5, s7
	v_add_co_u32_e32 v4, vcc, s6, v1
	s_mul_i32 s0, s2, 3
	v_addc_co_u32_e32 v5, vcc, 0, v5, vcc
	v_add_co_u32_e32 v1, vcc, s0, v0
	v_addc_co_u32_e64 v10, s[0:1], 0, 0, vcc
	v_add_co_u32_e32 v11, vcc, s3, v0
	v_addc_co_u32_e64 v12, s[0:1], 0, 0, vcc
	v_add_co_u32_e32 v13, vcc, s2, v0
	v_lshlrev_b32_e32 v6, 1, v13
	s_mov_b32 s23, 0
	v_addc_co_u32_e64 v14, s[0:1], 0, 0, vcc
	v_mov_b32_e32 v7, s7
	v_add_co_u32_e32 v6, vcc, s6, v6
	s_lshl_b32 s25, s2, 3
	s_mul_i32 s26, s2, 6
	s_mov_b32 s27, s23
	v_addc_co_u32_e32 v7, vcc, 0, v7, vcc
	s_mov_b64 s[18:19], 0
	s_movk_i32 s28, 0x7fff
	v_pk_mov_b32 v[8:9], s[10:11], s[10:11] op_sel:[0,1]
	v_mov_b32_e32 v15, s23
	v_mov_b32_e32 v16, 0x7fc0
	s_branch .LBB94_4
.LBB94_3:                               ;   in Loop: Header=BB94_4 Depth=1
	s_or_b64 exec, exec, s[0:1]
	s_add_u32 s18, s18, s24
	s_addc_u32 s19, s19, 0
	v_cmp_lt_i64_e32 vcc, s[18:19], v[8:9]
	v_cmp_lt_u64_e64 s[0:1], s[18:19], v[2:3]
	s_and_b64 s[0:1], vcc, s[0:1]
	v_add_co_u32_e32 v4, vcc, s25, v4
	v_addc_co_u32_e32 v5, vcc, v5, v15, vcc
	v_add_co_u32_e32 v6, vcc, s25, v6
	v_addc_co_u32_e32 v7, vcc, v7, v15, vcc
	s_and_b64 vcc, exec, s[0:1]
	s_cbranch_vccz .LBB94_20
.LBB94_4:                               ; =>This Inner Loop Header: Depth=1
	s_waitcnt vmcnt(0)
	v_mov_b32_e32 v17, s19
	v_add_co_u32_e32 v18, vcc, s18, v0
	v_addc_co_u32_e32 v19, vcc, 0, v17, vcc
	v_cmp_gt_u64_e32 vcc, s[16:17], v[18:19]
	v_mov_b32_e32 v18, 0
	s_and_saveexec_b64 s[0:1], vcc
	s_cbranch_execz .LBB94_6
; %bb.5:                                ;   in Loop: Header=BB94_4 Depth=1
	global_load_ushort v18, v[4:5], off
.LBB94_6:                               ;   in Loop: Header=BB94_4 Depth=1
	s_or_b64 exec, exec, s[0:1]
	v_mov_b32_e32 v17, s19
	v_add_co_u32_e64 v20, s[0:1], s18, v13
	v_addc_co_u32_e64 v21, s[0:1], v14, v17, s[0:1]
	v_cmp_gt_u64_e64 s[0:1], s[16:17], v[20:21]
	v_mov_b32_e32 v19, 0
	s_and_saveexec_b64 s[2:3], s[0:1]
	s_cbranch_execz .LBB94_8
; %bb.7:                                ;   in Loop: Header=BB94_4 Depth=1
	global_load_ushort v19, v[6:7], off
.LBB94_8:                               ;   in Loop: Header=BB94_4 Depth=1
	s_or_b64 exec, exec, s[2:3]
	v_mov_b32_e32 v17, s19
	v_add_co_u32_e64 v20, s[2:3], s18, v11
	v_addc_co_u32_e64 v21, s[2:3], v12, v17, s[2:3]
	v_cmp_gt_u64_e64 s[2:3], s[16:17], v[20:21]
	v_mov_b32_e32 v17, 0
	v_mov_b32_e32 v20, 0
	s_and_saveexec_b64 s[8:9], s[2:3]
	s_cbranch_execz .LBB94_10
; %bb.9:                                ;   in Loop: Header=BB94_4 Depth=1
	v_mov_b32_e32 v21, s23
	v_add_co_u32_e64 v20, s[6:7], s24, v4
	v_addc_co_u32_e64 v21, s[6:7], v5, v21, s[6:7]
	global_load_ushort v20, v[20:21], off
.LBB94_10:                              ;   in Loop: Header=BB94_4 Depth=1
	s_or_b64 exec, exec, s[8:9]
	v_mov_b32_e32 v21, s19
	v_add_co_u32_e64 v22, s[6:7], s18, v1
	v_addc_co_u32_e64 v23, s[6:7], v10, v21, s[6:7]
	v_cmp_gt_u64_e64 s[6:7], s[16:17], v[22:23]
	s_and_saveexec_b64 s[20:21], s[6:7]
	s_cbranch_execnz .LBB94_15
; %bb.11:                               ;   in Loop: Header=BB94_4 Depth=1
	s_or_b64 exec, exec, s[20:21]
	s_and_saveexec_b64 s[8:9], vcc
	s_cbranch_execnz .LBB94_16
.LBB94_12:                              ;   in Loop: Header=BB94_4 Depth=1
	s_or_b64 exec, exec, s[8:9]
	s_and_saveexec_b64 s[8:9], s[0:1]
	s_cbranch_execnz .LBB94_17
.LBB94_13:                              ;   in Loop: Header=BB94_4 Depth=1
	s_or_b64 exec, exec, s[8:9]
	s_and_saveexec_b64 s[0:1], s[2:3]
	s_cbranch_execnz .LBB94_18
.LBB94_14:                              ;   in Loop: Header=BB94_4 Depth=1
	s_or_b64 exec, exec, s[0:1]
	s_and_saveexec_b64 s[0:1], s[6:7]
	s_cbranch_execz .LBB94_3
	s_branch .LBB94_19
.LBB94_15:                              ;   in Loop: Header=BB94_4 Depth=1
	v_mov_b32_e32 v17, s27
	v_add_co_u32_e64 v22, s[8:9], s26, v4
	v_addc_co_u32_e64 v23, s[8:9], v5, v17, s[8:9]
	global_load_ushort v17, v[22:23], off
	s_or_b64 exec, exec, s[20:21]
	s_and_saveexec_b64 s[8:9], vcc
	s_cbranch_execz .LBB94_12
.LBB94_16:                              ;   in Loop: Header=BB94_4 Depth=1
	s_waitcnt vmcnt(0)
	v_lshlrev_b32_e32 v18, 16, v18
	v_subrev_f32_e32 v18, s22, v18
	v_bfe_u32 v21, v18, 16, 1
	v_add3_u32 v21, v18, v21, s28
	v_lshrrev_b32_e32 v21, 16, v21
	v_cmp_o_f32_e32 vcc, v18, v18
	v_cndmask_b32_e32 v18, v16, v21, vcc
	global_store_short v[4:5], v18, off
	s_or_b64 exec, exec, s[8:9]
	s_and_saveexec_b64 s[8:9], s[0:1]
	s_cbranch_execz .LBB94_13
.LBB94_17:                              ;   in Loop: Header=BB94_4 Depth=1
	s_waitcnt vmcnt(0)
	v_lshlrev_b32_e32 v18, 16, v19
	v_subrev_f32_e32 v18, s22, v18
	v_bfe_u32 v19, v18, 16, 1
	v_add3_u32 v19, v18, v19, s28
	v_lshrrev_b32_e32 v19, 16, v19
	v_cmp_o_f32_e32 vcc, v18, v18
	v_cndmask_b32_e32 v18, v16, v19, vcc
	global_store_short v[6:7], v18, off
	s_or_b64 exec, exec, s[8:9]
	s_and_saveexec_b64 s[0:1], s[2:3]
	s_cbranch_execz .LBB94_14
.LBB94_18:                              ;   in Loop: Header=BB94_4 Depth=1
	s_waitcnt vmcnt(0)
	v_lshlrev_b32_e32 v18, 16, v20
	v_subrev_f32_e32 v18, s22, v18
	v_bfe_u32 v19, v18, 16, 1
	v_add3_u32 v19, v18, v19, s28
	v_lshrrev_b32_e32 v19, 16, v19
	v_cmp_o_f32_e32 vcc, v18, v18
	v_cndmask_b32_e32 v20, v16, v19, vcc
	v_mov_b32_e32 v19, s23
	v_add_co_u32_e32 v18, vcc, s24, v4
	v_addc_co_u32_e32 v19, vcc, v5, v19, vcc
	global_store_short v[18:19], v20, off
	s_or_b64 exec, exec, s[0:1]
	s_and_saveexec_b64 s[0:1], s[6:7]
	s_cbranch_execz .LBB94_3
.LBB94_19:                              ;   in Loop: Header=BB94_4 Depth=1
	s_waitcnt vmcnt(0)
	v_lshlrev_b32_e32 v17, 16, v17
	v_subrev_f32_e32 v17, s22, v17
	v_bfe_u32 v18, v17, 16, 1
	v_add3_u32 v18, v17, v18, s28
	v_lshrrev_b32_e32 v18, 16, v18
	v_cmp_o_f32_e32 vcc, v17, v17
	v_cndmask_b32_e32 v17, v16, v18, vcc
	v_mov_b32_e32 v19, s27
	v_add_co_u32_e32 v18, vcc, s26, v4
	v_addc_co_u32_e32 v19, vcc, v5, v19, vcc
	global_store_short v[18:19], v17, off
	s_branch .LBB94_3
.LBB94_20:
	s_cbranch_execz .LBB94_22
	s_branch .LBB94_25
.LBB94_21:
.LBB94_22:
	v_mov_b32_e32 v3, 0
	v_lshlrev_b32_e32 v2, 2, v0
	s_mov_b32 s0, 0
	v_cmp_gt_i64_e32 vcc, s[10:11], v[2:3]
	s_and_saveexec_b64 s[2:3], vcc
	s_cbranch_execz .LBB94_25
; %bb.23:
	s_load_dword s1, s[4:5], 0xd3c
	v_lshlrev_b32_e32 v1, 3, v0
	s_movk_i32 s8, 0x7fff
	s_mov_b64 s[4:5], 0xffff
	v_mov_b32_e32 v6, s0
	s_waitcnt lgkmcnt(0)
	s_and_b32 s1, s1, 0xffff
	s_add_u32 s2, s12, s14
	s_addc_u32 s3, s13, s15
	v_mov_b32_e32 v2, s3
	v_add_co_u32_e32 v4, vcc, s2, v1
	v_addc_co_u32_e32 v5, vcc, 0, v2, vcc
	s_lshl_b32 s6, s1, 3
	v_add_lshl_u32 v2, v0, s1, 2
	s_lshl_b32 s7, s1, 2
	s_mov_b64 s[2:3], 0
	v_mov_b32_e32 v0, 0x7fc00000
	v_mov_b32_e32 v1, 0x7fc0
	;; [unrolled: 1-line block ×3, first 2 shown]
.LBB94_24:                              ; =>This Inner Loop Header: Depth=1
	global_load_dwordx2 v[8:9], v[4:5], off
	v_cmp_le_i64_e32 vcc, s[10:11], v[2:3]
	v_cmp_lt_u64_e64 s[0:1], s[4:5], v[2:3]
	s_or_b64 s[0:1], vcc, s[0:1]
	s_and_b64 s[0:1], exec, s[0:1]
	s_or_b64 s[2:3], s[0:1], s[2:3]
	s_waitcnt vmcnt(0)
	v_lshlrev_b32_e32 v10, 16, v8
	v_and_b32_e32 v11, 0xffff0000, v8
	v_alignbit_b32 v8, v9, v8, 16
	v_and_b32_e32 v9, 0xffff0000, v9
	v_subrev_f32_e32 v9, s22, v9
	v_subrev_f32_e32 v11, s22, v11
	v_bfe_u32 v14, v9, 16, 1
	v_subrev_f32_e32 v10, s22, v10
	v_and_b32_e32 v8, 0xffff0000, v8
	v_bfe_u32 v13, v11, 16, 1
	v_add3_u32 v14, v9, v14, s8
	v_bfe_u32 v12, v10, 16, 1
	v_subrev_f32_e32 v8, s22, v8
	v_add3_u32 v13, v11, v13, s8
	v_and_b32_e32 v14, 0xffff0000, v14
	v_cmp_o_f32_e32 vcc, v9, v9
	v_add3_u32 v12, v10, v12, s8
	v_bfe_u32 v15, v8, 16, 1
	v_and_b32_e32 v13, 0xffff0000, v13
	v_cndmask_b32_e32 v9, v0, v14, vcc
	v_cmp_o_f32_e32 vcc, v11, v11
	v_lshrrev_b32_e32 v12, 16, v12
	v_add3_u32 v15, v8, v15, s8
	v_cndmask_b32_e32 v11, v0, v13, vcc
	v_cmp_o_f32_e32 vcc, v10, v10
	v_lshrrev_b32_e32 v15, 16, v15
	v_cndmask_b32_e32 v10, v1, v12, vcc
	v_cmp_o_f32_e32 vcc, v8, v8
	v_cndmask_b32_e32 v8, v1, v15, vcc
	v_or_b32_e32 v10, v10, v11
	v_or3_b32 v9, 0, v8, v9
	v_or3_b32 v8, v10, 0, 0
	global_store_dwordx2 v[4:5], v[8:9], off
	v_add_co_u32_e32 v4, vcc, s6, v4
	v_addc_co_u32_e32 v5, vcc, v5, v6, vcc
	v_add_co_u32_e32 v2, vcc, s7, v2
	v_addc_co_u32_e32 v3, vcc, v3, v7, vcc
	s_andn2_b64 exec, exec, s[2:3]
	s_cbranch_execnz .LBB94_24
.LBB94_25:
	s_endpgm
	.section	.rodata,"a",@progbits
	.p2align	6, 0x0
	.amdhsa_kernel _ZN2at6native12_GLOBAL__N_125multi_tensor_apply_kernelINS1_18TensorListMetadataILi1EEENS1_21BinaryOpScalarFunctorIN3c108BFloat16ELi1ELi1ELi0EEEJSt5minusIfEfEEEvT_T0_DpT1_
		.amdhsa_group_segment_fixed_size 0
		.amdhsa_private_segment_fixed_size 0
		.amdhsa_kernarg_size 3632
		.amdhsa_user_sgpr_count 6
		.amdhsa_user_sgpr_private_segment_buffer 1
		.amdhsa_user_sgpr_dispatch_ptr 0
		.amdhsa_user_sgpr_queue_ptr 0
		.amdhsa_user_sgpr_kernarg_segment_ptr 1
		.amdhsa_user_sgpr_dispatch_id 0
		.amdhsa_user_sgpr_flat_scratch_init 0
		.amdhsa_user_sgpr_kernarg_preload_length 0
		.amdhsa_user_sgpr_kernarg_preload_offset 0
		.amdhsa_user_sgpr_private_segment_size 0
		.amdhsa_uses_dynamic_stack 0
		.amdhsa_system_sgpr_private_segment_wavefront_offset 0
		.amdhsa_system_sgpr_workgroup_id_x 1
		.amdhsa_system_sgpr_workgroup_id_y 0
		.amdhsa_system_sgpr_workgroup_id_z 0
		.amdhsa_system_sgpr_workgroup_info 0
		.amdhsa_system_vgpr_workitem_id 0
		.amdhsa_next_free_vgpr 24
		.amdhsa_next_free_sgpr 29
		.amdhsa_accum_offset 24
		.amdhsa_reserve_vcc 1
		.amdhsa_reserve_flat_scratch 0
		.amdhsa_float_round_mode_32 0
		.amdhsa_float_round_mode_16_64 0
		.amdhsa_float_denorm_mode_32 3
		.amdhsa_float_denorm_mode_16_64 3
		.amdhsa_dx10_clamp 1
		.amdhsa_ieee_mode 1
		.amdhsa_fp16_overflow 0
		.amdhsa_tg_split 0
		.amdhsa_exception_fp_ieee_invalid_op 0
		.amdhsa_exception_fp_denorm_src 0
		.amdhsa_exception_fp_ieee_div_zero 0
		.amdhsa_exception_fp_ieee_overflow 0
		.amdhsa_exception_fp_ieee_underflow 0
		.amdhsa_exception_fp_ieee_inexact 0
		.amdhsa_exception_int_div_zero 0
	.end_amdhsa_kernel
	.section	.text._ZN2at6native12_GLOBAL__N_125multi_tensor_apply_kernelINS1_18TensorListMetadataILi1EEENS1_21BinaryOpScalarFunctorIN3c108BFloat16ELi1ELi1ELi0EEEJSt5minusIfEfEEEvT_T0_DpT1_,"axG",@progbits,_ZN2at6native12_GLOBAL__N_125multi_tensor_apply_kernelINS1_18TensorListMetadataILi1EEENS1_21BinaryOpScalarFunctorIN3c108BFloat16ELi1ELi1ELi0EEEJSt5minusIfEfEEEvT_T0_DpT1_,comdat
.Lfunc_end94:
	.size	_ZN2at6native12_GLOBAL__N_125multi_tensor_apply_kernelINS1_18TensorListMetadataILi1EEENS1_21BinaryOpScalarFunctorIN3c108BFloat16ELi1ELi1ELi0EEEJSt5minusIfEfEEEvT_T0_DpT1_, .Lfunc_end94-_ZN2at6native12_GLOBAL__N_125multi_tensor_apply_kernelINS1_18TensorListMetadataILi1EEENS1_21BinaryOpScalarFunctorIN3c108BFloat16ELi1ELi1ELi0EEEJSt5minusIfEfEEEvT_T0_DpT1_
                                        ; -- End function
	.section	.AMDGPU.csdata,"",@progbits
; Kernel info:
; codeLenInByte = 1340
; NumSgprs: 33
; NumVgprs: 24
; NumAgprs: 0
; TotalNumVgprs: 24
; ScratchSize: 0
; MemoryBound: 0
; FloatMode: 240
; IeeeMode: 1
; LDSByteSize: 0 bytes/workgroup (compile time only)
; SGPRBlocks: 4
; VGPRBlocks: 2
; NumSGPRsForWavesPerEU: 33
; NumVGPRsForWavesPerEU: 24
; AccumOffset: 24
; Occupancy: 8
; WaveLimiterHint : 0
; COMPUTE_PGM_RSRC2:SCRATCH_EN: 0
; COMPUTE_PGM_RSRC2:USER_SGPR: 6
; COMPUTE_PGM_RSRC2:TRAP_HANDLER: 0
; COMPUTE_PGM_RSRC2:TGID_X_EN: 1
; COMPUTE_PGM_RSRC2:TGID_Y_EN: 0
; COMPUTE_PGM_RSRC2:TGID_Z_EN: 0
; COMPUTE_PGM_RSRC2:TIDIG_COMP_CNT: 0
; COMPUTE_PGM_RSRC3_GFX90A:ACCUM_OFFSET: 5
; COMPUTE_PGM_RSRC3_GFX90A:TG_SPLIT: 0
	.section	.text._ZN2at6native12_GLOBAL__N_125multi_tensor_apply_kernelINS1_18TensorListMetadataILi2EEENS1_21BinaryOpScalarFunctorIhLi2ELi1ELi1EEEJSt5minusIhEhEEEvT_T0_DpT1_,"axG",@progbits,_ZN2at6native12_GLOBAL__N_125multi_tensor_apply_kernelINS1_18TensorListMetadataILi2EEENS1_21BinaryOpScalarFunctorIhLi2ELi1ELi1EEEJSt5minusIhEhEEEvT_T0_DpT1_,comdat
	.globl	_ZN2at6native12_GLOBAL__N_125multi_tensor_apply_kernelINS1_18TensorListMetadataILi2EEENS1_21BinaryOpScalarFunctorIhLi2ELi1ELi1EEEJSt5minusIhEhEEEvT_T0_DpT1_ ; -- Begin function _ZN2at6native12_GLOBAL__N_125multi_tensor_apply_kernelINS1_18TensorListMetadataILi2EEENS1_21BinaryOpScalarFunctorIhLi2ELi1ELi1EEEJSt5minusIhEhEEEvT_T0_DpT1_
	.p2align	8
	.type	_ZN2at6native12_GLOBAL__N_125multi_tensor_apply_kernelINS1_18TensorListMetadataILi2EEENS1_21BinaryOpScalarFunctorIhLi2ELi1ELi1EEEJSt5minusIhEhEEEvT_T0_DpT1_,@function
_ZN2at6native12_GLOBAL__N_125multi_tensor_apply_kernelINS1_18TensorListMetadataILi2EEENS1_21BinaryOpScalarFunctorIhLi2ELi1ELi1EEEJSt5minusIhEhEEEvT_T0_DpT1_: ; @_ZN2at6native12_GLOBAL__N_125multi_tensor_apply_kernelINS1_18TensorListMetadataILi2EEENS1_21BinaryOpScalarFunctorIhLi2ELi1ELi1EEEJSt5minusIhEhEEEvT_T0_DpT1_
; %bb.0:
	v_mov_b32_e32 v1, s6
	global_load_ubyte v1, v1, s[4:5] offset:1536
	s_add_u32 s0, s4, s6
	s_mul_hi_u32 s1, s6, 3
	s_mul_i32 s6, s6, 3
	s_addc_u32 s2, s5, 0
	s_add_u32 s0, s0, s6
	s_addc_u32 s1, s2, s1
	s_load_dword s6, s[0:1], 0x740
	s_waitcnt vmcnt(0)
	v_readfirstlane_b32 s0, v1
	s_lshl_b32 s7, s0, 3
	s_load_dwordx2 s[0:1], s[4:5], s7 offset:0x0
	s_load_dword s21, s[4:5], 0xc48
	s_load_dwordx2 s[8:9], s[4:5], s7 offset:0x400
	s_load_dwordx2 s[2:3], s[4:5], s7 offset:0x200
	s_waitcnt lgkmcnt(0)
	s_ashr_i32 s7, s6, 31
	s_lshl_b64 s[6:7], s[6:7], 16
	s_add_u32 s10, s0, s6
	s_addc_u32 s11, s1, s7
	s_add_u32 s20, s2, s6
	s_addc_u32 s22, s3, s7
	s_or_b64 s[12:13], s[8:9], s[10:11]
	s_or_b32 s12, s20, s12
	s_and_b32 s14, s12, 3
	s_sub_u32 s12, s8, s6
	s_subb_u32 s13, s9, s7
	s_cmp_eq_u32 s14, 0
	s_mov_b64 s[8:9], -1
	s_cbranch_scc1 .LBB95_21
; %bb.1:
	v_cmp_lt_i64_e64 s[8:9], s[12:13], 1
	s_and_b64 vcc, exec, s[8:9]
	s_cbranch_vccnz .LBB95_20
; %bb.2:
	s_load_dword s8, s[4:5], 0xc5c
	v_mov_b32_e32 v2, 0x10000
	v_mov_b32_e32 v3, 0
	v_cmp_lt_u64_e32 vcc, s[12:13], v[2:3]
	v_mov_b32_e32 v1, s7
	s_waitcnt lgkmcnt(0)
	s_and_b32 s16, s8, 0xffff
	s_and_b64 s[8:9], vcc, exec
	v_add_co_u32_e32 v2, vcc, s6, v0
	v_addc_co_u32_e32 v3, vcc, 0, v1, vcc
	v_mov_b32_e32 v20, s1
	v_add_co_u32_e32 v1, vcc, s0, v2
	s_cselect_b32 s15, s13, 0
	s_cselect_b32 s14, s12, 0x10000
	s_lshl_b32 s17, s16, 1
	s_mul_i32 s8, s16, 3
	s_lshl_b32 s23, s16, 2
	v_addc_co_u32_e32 v4, vcc, v20, v3, vcc
	v_mov_b32_e32 v22, s3
	v_add_co_u32_e32 v5, vcc, s2, v2
	s_add_u32 s1, s6, s8
	v_addc_co_u32_e32 v6, vcc, v22, v3, vcc
	s_addc_u32 s3, s7, 0
	v_mov_b32_e32 v7, s3
	v_add_co_u32_e32 v9, vcc, s1, v0
	v_addc_co_u32_e32 v10, vcc, 0, v7, vcc
	v_add_co_u32_e32 v7, vcc, s0, v9
	v_addc_co_u32_e32 v8, vcc, v20, v10, vcc
	;; [unrolled: 2-line block ×3, first 2 shown]
	s_add_u32 s1, s6, s17
	v_add_co_u32_e32 v11, vcc, s8, v0
	s_addc_u32 s3, s7, 0
	v_addc_co_u32_e64 v12, s[8:9], 0, 0, vcc
	v_mov_b32_e32 v13, s3
	v_add_co_u32_e32 v15, vcc, s1, v0
	v_addc_co_u32_e32 v16, vcc, 0, v13, vcc
	v_add_co_u32_e32 v13, vcc, s0, v15
	v_addc_co_u32_e32 v14, vcc, v20, v16, vcc
	;; [unrolled: 2-line block ×3, first 2 shown]
	v_add_co_u32_e32 v17, vcc, s17, v0
	v_addc_co_u32_e64 v18, s[6:7], 0, 0, vcc
	v_add_co_u32_e32 v2, vcc, s16, v2
	v_addc_co_u32_e32 v3, vcc, 0, v3, vcc
	v_add_co_u32_e32 v19, vcc, s0, v2
	v_addc_co_u32_e32 v20, vcc, v20, v3, vcc
	;; [unrolled: 2-line block ×3, first 2 shown]
	v_add_co_u32_e32 v23, vcc, s16, v0
	v_addc_co_u32_e64 v24, s[0:1], 0, 0, vcc
	s_mov_b64 s[16:17], 0
	s_lshr_b32 s24, s21, 16
	v_pk_mov_b32 v[2:3], s[12:13], s[12:13] op_sel:[0,1]
	s_branch .LBB95_4
.LBB95_3:                               ;   in Loop: Header=BB95_4 Depth=1
	s_or_b64 exec, exec, s[0:1]
	s_add_u32 s16, s16, s23
	s_waitcnt vmcnt(0)
	v_mov_b32_e32 v26, 0x10000
	s_addc_u32 s17, s17, 0
	v_mov_b32_e32 v27, 0
	v_cmp_lt_i64_e32 vcc, s[16:17], v[2:3]
	v_cmp_lt_u64_e64 s[0:1], s[16:17], v[26:27]
	s_and_b64 s[0:1], vcc, s[0:1]
	s_and_b64 vcc, exec, s[0:1]
	s_cbranch_vccz .LBB95_20
.LBB95_4:                               ; =>This Inner Loop Header: Depth=1
	v_mov_b32_e32 v25, s17
	v_add_co_u32_e32 v26, vcc, s16, v0
	v_addc_co_u32_e32 v27, vcc, 0, v25, vcc
	v_cmp_gt_u64_e32 vcc, s[14:15], v[26:27]
	v_mov_b32_e32 v25, 0
	s_and_saveexec_b64 s[2:3], vcc
	s_cbranch_execz .LBB95_6
; %bb.5:                                ;   in Loop: Header=BB95_4 Depth=1
	v_mov_b32_e32 v25, s17
	v_add_co_u32_e64 v26, s[0:1], s16, v1
	v_addc_co_u32_e64 v27, s[0:1], v4, v25, s[0:1]
	global_load_ubyte v25, v[26:27], off
.LBB95_6:                               ;   in Loop: Header=BB95_4 Depth=1
	s_or_b64 exec, exec, s[2:3]
	v_mov_b32_e32 v27, s17
	v_add_co_u32_e64 v26, s[0:1], s16, v23
	v_addc_co_u32_e64 v27, s[0:1], v24, v27, s[0:1]
	v_cmp_gt_u64_e64 s[0:1], s[14:15], v[26:27]
	v_mov_b32_e32 v27, 0
	s_and_saveexec_b64 s[6:7], s[0:1]
	s_cbranch_execz .LBB95_8
; %bb.7:                                ;   in Loop: Header=BB95_4 Depth=1
	v_mov_b32_e32 v27, s17
	v_add_co_u32_e64 v26, s[2:3], s16, v19
	v_addc_co_u32_e64 v27, s[2:3], v20, v27, s[2:3]
	global_load_ubyte v27, v[26:27], off
.LBB95_8:                               ;   in Loop: Header=BB95_4 Depth=1
	s_or_b64 exec, exec, s[6:7]
	v_mov_b32_e32 v26, s17
	v_add_co_u32_e64 v28, s[2:3], s16, v17
	v_addc_co_u32_e64 v29, s[2:3], v18, v26, s[2:3]
	v_cmp_gt_u64_e64 s[2:3], s[14:15], v[28:29]
	v_mov_b32_e32 v26, 0
	v_mov_b32_e32 v28, 0
	s_and_saveexec_b64 s[8:9], s[2:3]
	s_cbranch_execz .LBB95_10
; %bb.9:                                ;   in Loop: Header=BB95_4 Depth=1
	v_mov_b32_e32 v29, s17
	v_add_co_u32_e64 v28, s[6:7], s16, v13
	v_addc_co_u32_e64 v29, s[6:7], v14, v29, s[6:7]
	global_load_ubyte v28, v[28:29], off
.LBB95_10:                              ;   in Loop: Header=BB95_4 Depth=1
	s_or_b64 exec, exec, s[8:9]
	v_mov_b32_e32 v29, s17
	v_add_co_u32_e64 v30, s[6:7], s16, v11
	v_addc_co_u32_e64 v31, s[6:7], v12, v29, s[6:7]
	v_cmp_gt_u64_e64 s[6:7], s[14:15], v[30:31]
	s_and_saveexec_b64 s[18:19], s[6:7]
	s_cbranch_execnz .LBB95_15
; %bb.11:                               ;   in Loop: Header=BB95_4 Depth=1
	s_or_b64 exec, exec, s[18:19]
	s_and_saveexec_b64 s[8:9], vcc
	s_cbranch_execnz .LBB95_16
.LBB95_12:                              ;   in Loop: Header=BB95_4 Depth=1
	s_or_b64 exec, exec, s[8:9]
	s_and_saveexec_b64 s[8:9], s[0:1]
	s_cbranch_execnz .LBB95_17
.LBB95_13:                              ;   in Loop: Header=BB95_4 Depth=1
	s_or_b64 exec, exec, s[8:9]
	s_and_saveexec_b64 s[0:1], s[2:3]
	s_cbranch_execnz .LBB95_18
.LBB95_14:                              ;   in Loop: Header=BB95_4 Depth=1
	s_or_b64 exec, exec, s[0:1]
	s_and_saveexec_b64 s[0:1], s[6:7]
	s_cbranch_execz .LBB95_3
	s_branch .LBB95_19
.LBB95_15:                              ;   in Loop: Header=BB95_4 Depth=1
	v_mov_b32_e32 v26, s17
	v_add_co_u32_e64 v30, s[8:9], s16, v7
	v_addc_co_u32_e64 v31, s[8:9], v8, v26, s[8:9]
	global_load_ubyte v26, v[30:31], off
	s_or_b64 exec, exec, s[18:19]
	s_and_saveexec_b64 s[8:9], vcc
	s_cbranch_execz .LBB95_12
.LBB95_16:                              ;   in Loop: Header=BB95_4 Depth=1
	v_mov_b32_e32 v29, s17
	v_add_co_u32_e32 v30, vcc, s16, v5
	s_waitcnt vmcnt(0)
	v_subrev_u16_e32 v25, s24, v25
	v_addc_co_u32_e32 v31, vcc, v6, v29, vcc
	global_store_byte v[30:31], v25, off
	s_or_b64 exec, exec, s[8:9]
	s_and_saveexec_b64 s[8:9], s[0:1]
	s_cbranch_execz .LBB95_13
.LBB95_17:                              ;   in Loop: Header=BB95_4 Depth=1
	s_waitcnt vmcnt(0)
	v_subrev_u16_e32 v25, s24, v27
	v_mov_b32_e32 v27, s17
	v_add_co_u32_e32 v30, vcc, s16, v21
	v_addc_co_u32_e32 v31, vcc, v22, v27, vcc
	global_store_byte v[30:31], v25, off
	s_or_b64 exec, exec, s[8:9]
	s_and_saveexec_b64 s[0:1], s[2:3]
	s_cbranch_execz .LBB95_14
.LBB95_18:                              ;   in Loop: Header=BB95_4 Depth=1
	s_waitcnt vmcnt(0)
	v_subrev_u16_e32 v25, s24, v28
	v_mov_b32_e32 v27, s17
	v_add_co_u32_e32 v28, vcc, s16, v15
	v_addc_co_u32_e32 v29, vcc, v16, v27, vcc
	global_store_byte v[28:29], v25, off
	s_or_b64 exec, exec, s[0:1]
	s_and_saveexec_b64 s[0:1], s[6:7]
	s_cbranch_execz .LBB95_3
.LBB95_19:                              ;   in Loop: Header=BB95_4 Depth=1
	s_waitcnt vmcnt(0)
	v_subrev_u16_e32 v25, s24, v26
	v_mov_b32_e32 v27, s17
	v_add_co_u32_e32 v26, vcc, s16, v9
	v_addc_co_u32_e32 v27, vcc, v10, v27, vcc
	global_store_byte v[26:27], v25, off
	s_branch .LBB95_3
.LBB95_20:
	s_mov_b64 s[8:9], 0
.LBB95_21:
	s_andn2_b64 vcc, exec, s[8:9]
	s_cbranch_vccnz .LBB95_25
; %bb.22:
	v_lshlrev_b32_e32 v0, 2, v0
	v_mov_b32_e32 v1, 0
	v_cmp_gt_i64_e32 vcc, s[12:13], v[0:1]
	s_and_saveexec_b64 s[0:1], vcc
	s_cbranch_execz .LBB95_25
; %bb.23:
	s_load_dword s0, s[4:5], 0xc5c
	s_mov_b32 s1, 0
	s_mov_b64 s[2:3], 0
	s_lshr_b32 s6, s21, 16
	v_mov_b32_e32 v2, s11
	s_waitcnt lgkmcnt(0)
	s_and_b32 s0, s0, 0xffff
	s_lshl_b32 s7, s0, 2
	v_mov_b32_e32 v3, s22
	v_mov_b32_e32 v4, s1
	s_mov_b64 s[4:5], 0xffff
	v_mov_b32_e32 v5, 8
.LBB95_24:                              ; =>This Inner Loop Header: Depth=1
	v_add_co_u32_e32 v6, vcc, s10, v0
	v_addc_co_u32_e32 v7, vcc, v2, v1, vcc
	global_load_dword v8, v[6:7], off
	v_add_co_u32_e32 v6, vcc, s20, v0
	v_addc_co_u32_e32 v7, vcc, v3, v1, vcc
	v_add_co_u32_e32 v0, vcc, s7, v0
	v_addc_co_u32_e32 v1, vcc, v4, v1, vcc
	v_cmp_le_i64_e32 vcc, s[12:13], v[0:1]
	v_cmp_lt_u64_e64 s[0:1], s[4:5], v[0:1]
	s_or_b64 s[0:1], vcc, s[0:1]
	s_and_b64 s[0:1], exec, s[0:1]
	s_or_b64 s[2:3], s[0:1], s[2:3]
	s_waitcnt vmcnt(0)
	v_sub_u16_sdwa v11, v8, s6 dst_sel:DWORD dst_unused:UNUSED_PAD src0_sel:WORD_1 src1_sel:DWORD
	v_lshrrev_b32_e32 v10, 8, v8
	v_and_b32_e32 v11, 0xff, v11
	v_subrev_u16_e32 v9, s6, v8
	v_sub_u16_sdwa v8, v8, s6 dst_sel:DWORD dst_unused:UNUSED_PAD src0_sel:BYTE_3 src1_sel:DWORD
	v_subrev_u16_e32 v10, s6, v10
	v_lshlrev_b32_e32 v11, 16, v11
	v_and_b32_e32 v9, 0xff, v9
	v_lshlrev_b32_sdwa v10, v5, v10 dst_sel:DWORD dst_unused:UNUSED_PAD src0_sel:DWORD src1_sel:BYTE_0
	v_lshl_or_b32 v8, v8, 24, v11
	v_or3_b32 v8, v8, v10, v9
	global_store_dword v[6:7], v8, off
	s_andn2_b64 exec, exec, s[2:3]
	s_cbranch_execnz .LBB95_24
.LBB95_25:
	s_endpgm
	.section	.rodata,"a",@progbits
	.p2align	6, 0x0
	.amdhsa_kernel _ZN2at6native12_GLOBAL__N_125multi_tensor_apply_kernelINS1_18TensorListMetadataILi2EEENS1_21BinaryOpScalarFunctorIhLi2ELi1ELi1EEEJSt5minusIhEhEEEvT_T0_DpT1_
		.amdhsa_group_segment_fixed_size 0
		.amdhsa_private_segment_fixed_size 0
		.amdhsa_kernarg_size 3408
		.amdhsa_user_sgpr_count 6
		.amdhsa_user_sgpr_private_segment_buffer 1
		.amdhsa_user_sgpr_dispatch_ptr 0
		.amdhsa_user_sgpr_queue_ptr 0
		.amdhsa_user_sgpr_kernarg_segment_ptr 1
		.amdhsa_user_sgpr_dispatch_id 0
		.amdhsa_user_sgpr_flat_scratch_init 0
		.amdhsa_user_sgpr_kernarg_preload_length 0
		.amdhsa_user_sgpr_kernarg_preload_offset 0
		.amdhsa_user_sgpr_private_segment_size 0
		.amdhsa_uses_dynamic_stack 0
		.amdhsa_system_sgpr_private_segment_wavefront_offset 0
		.amdhsa_system_sgpr_workgroup_id_x 1
		.amdhsa_system_sgpr_workgroup_id_y 0
		.amdhsa_system_sgpr_workgroup_id_z 0
		.amdhsa_system_sgpr_workgroup_info 0
		.amdhsa_system_vgpr_workitem_id 0
		.amdhsa_next_free_vgpr 32
		.amdhsa_next_free_sgpr 25
		.amdhsa_accum_offset 32
		.amdhsa_reserve_vcc 1
		.amdhsa_reserve_flat_scratch 0
		.amdhsa_float_round_mode_32 0
		.amdhsa_float_round_mode_16_64 0
		.amdhsa_float_denorm_mode_32 3
		.amdhsa_float_denorm_mode_16_64 3
		.amdhsa_dx10_clamp 1
		.amdhsa_ieee_mode 1
		.amdhsa_fp16_overflow 0
		.amdhsa_tg_split 0
		.amdhsa_exception_fp_ieee_invalid_op 0
		.amdhsa_exception_fp_denorm_src 0
		.amdhsa_exception_fp_ieee_div_zero 0
		.amdhsa_exception_fp_ieee_overflow 0
		.amdhsa_exception_fp_ieee_underflow 0
		.amdhsa_exception_fp_ieee_inexact 0
		.amdhsa_exception_int_div_zero 0
	.end_amdhsa_kernel
	.section	.text._ZN2at6native12_GLOBAL__N_125multi_tensor_apply_kernelINS1_18TensorListMetadataILi2EEENS1_21BinaryOpScalarFunctorIhLi2ELi1ELi1EEEJSt5minusIhEhEEEvT_T0_DpT1_,"axG",@progbits,_ZN2at6native12_GLOBAL__N_125multi_tensor_apply_kernelINS1_18TensorListMetadataILi2EEENS1_21BinaryOpScalarFunctorIhLi2ELi1ELi1EEEJSt5minusIhEhEEEvT_T0_DpT1_,comdat
.Lfunc_end95:
	.size	_ZN2at6native12_GLOBAL__N_125multi_tensor_apply_kernelINS1_18TensorListMetadataILi2EEENS1_21BinaryOpScalarFunctorIhLi2ELi1ELi1EEEJSt5minusIhEhEEEvT_T0_DpT1_, .Lfunc_end95-_ZN2at6native12_GLOBAL__N_125multi_tensor_apply_kernelINS1_18TensorListMetadataILi2EEENS1_21BinaryOpScalarFunctorIhLi2ELi1ELi1EEEJSt5minusIhEhEEEvT_T0_DpT1_
                                        ; -- End function
	.section	.AMDGPU.csdata,"",@progbits
; Kernel info:
; codeLenInByte = 1200
; NumSgprs: 29
; NumVgprs: 32
; NumAgprs: 0
; TotalNumVgprs: 32
; ScratchSize: 0
; MemoryBound: 0
; FloatMode: 240
; IeeeMode: 1
; LDSByteSize: 0 bytes/workgroup (compile time only)
; SGPRBlocks: 3
; VGPRBlocks: 3
; NumSGPRsForWavesPerEU: 29
; NumVGPRsForWavesPerEU: 32
; AccumOffset: 32
; Occupancy: 8
; WaveLimiterHint : 0
; COMPUTE_PGM_RSRC2:SCRATCH_EN: 0
; COMPUTE_PGM_RSRC2:USER_SGPR: 6
; COMPUTE_PGM_RSRC2:TRAP_HANDLER: 0
; COMPUTE_PGM_RSRC2:TGID_X_EN: 1
; COMPUTE_PGM_RSRC2:TGID_Y_EN: 0
; COMPUTE_PGM_RSRC2:TGID_Z_EN: 0
; COMPUTE_PGM_RSRC2:TIDIG_COMP_CNT: 0
; COMPUTE_PGM_RSRC3_GFX90A:ACCUM_OFFSET: 7
; COMPUTE_PGM_RSRC3_GFX90A:TG_SPLIT: 0
	.section	.text._ZN2at6native12_GLOBAL__N_125multi_tensor_apply_kernelINS1_18TensorListMetadataILi2EEENS1_21BinaryOpScalarFunctorIaLi2ELi1ELi1EEEJSt5minusIaEaEEEvT_T0_DpT1_,"axG",@progbits,_ZN2at6native12_GLOBAL__N_125multi_tensor_apply_kernelINS1_18TensorListMetadataILi2EEENS1_21BinaryOpScalarFunctorIaLi2ELi1ELi1EEEJSt5minusIaEaEEEvT_T0_DpT1_,comdat
	.globl	_ZN2at6native12_GLOBAL__N_125multi_tensor_apply_kernelINS1_18TensorListMetadataILi2EEENS1_21BinaryOpScalarFunctorIaLi2ELi1ELi1EEEJSt5minusIaEaEEEvT_T0_DpT1_ ; -- Begin function _ZN2at6native12_GLOBAL__N_125multi_tensor_apply_kernelINS1_18TensorListMetadataILi2EEENS1_21BinaryOpScalarFunctorIaLi2ELi1ELi1EEEJSt5minusIaEaEEEvT_T0_DpT1_
	.p2align	8
	.type	_ZN2at6native12_GLOBAL__N_125multi_tensor_apply_kernelINS1_18TensorListMetadataILi2EEENS1_21BinaryOpScalarFunctorIaLi2ELi1ELi1EEEJSt5minusIaEaEEEvT_T0_DpT1_,@function
_ZN2at6native12_GLOBAL__N_125multi_tensor_apply_kernelINS1_18TensorListMetadataILi2EEENS1_21BinaryOpScalarFunctorIaLi2ELi1ELi1EEEJSt5minusIaEaEEEvT_T0_DpT1_: ; @_ZN2at6native12_GLOBAL__N_125multi_tensor_apply_kernelINS1_18TensorListMetadataILi2EEENS1_21BinaryOpScalarFunctorIaLi2ELi1ELi1EEEJSt5minusIaEaEEEvT_T0_DpT1_
; %bb.0:
	v_mov_b32_e32 v1, s6
	global_load_ubyte v1, v1, s[4:5] offset:1536
	s_add_u32 s0, s4, s6
	s_mul_hi_u32 s1, s6, 3
	s_mul_i32 s6, s6, 3
	s_addc_u32 s2, s5, 0
	s_add_u32 s0, s0, s6
	s_addc_u32 s1, s2, s1
	s_load_dword s6, s[0:1], 0x740
	s_waitcnt vmcnt(0)
	v_readfirstlane_b32 s0, v1
	s_lshl_b32 s7, s0, 3
	s_load_dwordx2 s[0:1], s[4:5], s7 offset:0x0
	s_load_dword s21, s[4:5], 0xc48
	s_load_dwordx2 s[8:9], s[4:5], s7 offset:0x400
	s_load_dwordx2 s[2:3], s[4:5], s7 offset:0x200
	s_waitcnt lgkmcnt(0)
	s_ashr_i32 s7, s6, 31
	s_lshl_b64 s[6:7], s[6:7], 16
	s_add_u32 s10, s0, s6
	s_addc_u32 s11, s1, s7
	s_add_u32 s20, s2, s6
	s_addc_u32 s22, s3, s7
	s_or_b64 s[12:13], s[8:9], s[10:11]
	s_or_b32 s12, s20, s12
	s_and_b32 s14, s12, 3
	s_sub_u32 s12, s8, s6
	s_subb_u32 s13, s9, s7
	s_cmp_eq_u32 s14, 0
	s_mov_b64 s[8:9], -1
	s_cbranch_scc1 .LBB96_21
; %bb.1:
	v_cmp_lt_i64_e64 s[8:9], s[12:13], 1
	s_and_b64 vcc, exec, s[8:9]
	s_cbranch_vccnz .LBB96_20
; %bb.2:
	s_load_dword s8, s[4:5], 0xc5c
	v_mov_b32_e32 v2, 0x10000
	v_mov_b32_e32 v3, 0
	v_cmp_lt_u64_e32 vcc, s[12:13], v[2:3]
	v_mov_b32_e32 v1, s7
	s_waitcnt lgkmcnt(0)
	s_and_b32 s16, s8, 0xffff
	s_and_b64 s[8:9], vcc, exec
	v_add_co_u32_e32 v2, vcc, s6, v0
	v_addc_co_u32_e32 v3, vcc, 0, v1, vcc
	v_mov_b32_e32 v20, s1
	v_add_co_u32_e32 v1, vcc, s0, v2
	s_cselect_b32 s15, s13, 0
	s_cselect_b32 s14, s12, 0x10000
	s_lshl_b32 s17, s16, 1
	s_mul_i32 s8, s16, 3
	s_lshl_b32 s23, s16, 2
	v_addc_co_u32_e32 v4, vcc, v20, v3, vcc
	v_mov_b32_e32 v22, s3
	v_add_co_u32_e32 v5, vcc, s2, v2
	s_add_u32 s1, s6, s8
	v_addc_co_u32_e32 v6, vcc, v22, v3, vcc
	s_addc_u32 s3, s7, 0
	v_mov_b32_e32 v7, s3
	v_add_co_u32_e32 v9, vcc, s1, v0
	v_addc_co_u32_e32 v10, vcc, 0, v7, vcc
	v_add_co_u32_e32 v7, vcc, s0, v9
	v_addc_co_u32_e32 v8, vcc, v20, v10, vcc
	;; [unrolled: 2-line block ×3, first 2 shown]
	s_add_u32 s1, s6, s17
	v_add_co_u32_e32 v11, vcc, s8, v0
	s_addc_u32 s3, s7, 0
	v_addc_co_u32_e64 v12, s[8:9], 0, 0, vcc
	v_mov_b32_e32 v13, s3
	v_add_co_u32_e32 v15, vcc, s1, v0
	v_addc_co_u32_e32 v16, vcc, 0, v13, vcc
	v_add_co_u32_e32 v13, vcc, s0, v15
	v_addc_co_u32_e32 v14, vcc, v20, v16, vcc
	v_add_co_u32_e32 v15, vcc, s2, v15
	v_addc_co_u32_e32 v16, vcc, v22, v16, vcc
	v_add_co_u32_e32 v17, vcc, s17, v0
	v_addc_co_u32_e64 v18, s[6:7], 0, 0, vcc
	v_add_co_u32_e32 v2, vcc, s16, v2
	v_addc_co_u32_e32 v3, vcc, 0, v3, vcc
	v_add_co_u32_e32 v19, vcc, s0, v2
	v_addc_co_u32_e32 v20, vcc, v20, v3, vcc
	;; [unrolled: 2-line block ×3, first 2 shown]
	v_add_co_u32_e32 v23, vcc, s16, v0
	v_addc_co_u32_e64 v24, s[0:1], 0, 0, vcc
	s_mov_b64 s[16:17], 0
	s_lshr_b32 s24, s21, 16
	v_pk_mov_b32 v[2:3], s[12:13], s[12:13] op_sel:[0,1]
	s_branch .LBB96_4
.LBB96_3:                               ;   in Loop: Header=BB96_4 Depth=1
	s_or_b64 exec, exec, s[0:1]
	s_add_u32 s16, s16, s23
	s_waitcnt vmcnt(0)
	v_mov_b32_e32 v26, 0x10000
	s_addc_u32 s17, s17, 0
	v_mov_b32_e32 v27, 0
	v_cmp_lt_i64_e32 vcc, s[16:17], v[2:3]
	v_cmp_lt_u64_e64 s[0:1], s[16:17], v[26:27]
	s_and_b64 s[0:1], vcc, s[0:1]
	s_and_b64 vcc, exec, s[0:1]
	s_cbranch_vccz .LBB96_20
.LBB96_4:                               ; =>This Inner Loop Header: Depth=1
	v_mov_b32_e32 v25, s17
	v_add_co_u32_e32 v26, vcc, s16, v0
	v_addc_co_u32_e32 v27, vcc, 0, v25, vcc
	v_cmp_gt_u64_e32 vcc, s[14:15], v[26:27]
	v_mov_b32_e32 v25, 0
	s_and_saveexec_b64 s[2:3], vcc
	s_cbranch_execz .LBB96_6
; %bb.5:                                ;   in Loop: Header=BB96_4 Depth=1
	v_mov_b32_e32 v25, s17
	v_add_co_u32_e64 v26, s[0:1], s16, v1
	v_addc_co_u32_e64 v27, s[0:1], v4, v25, s[0:1]
	global_load_ubyte v25, v[26:27], off
.LBB96_6:                               ;   in Loop: Header=BB96_4 Depth=1
	s_or_b64 exec, exec, s[2:3]
	v_mov_b32_e32 v27, s17
	v_add_co_u32_e64 v26, s[0:1], s16, v23
	v_addc_co_u32_e64 v27, s[0:1], v24, v27, s[0:1]
	v_cmp_gt_u64_e64 s[0:1], s[14:15], v[26:27]
	v_mov_b32_e32 v27, 0
	s_and_saveexec_b64 s[6:7], s[0:1]
	s_cbranch_execz .LBB96_8
; %bb.7:                                ;   in Loop: Header=BB96_4 Depth=1
	v_mov_b32_e32 v27, s17
	v_add_co_u32_e64 v26, s[2:3], s16, v19
	v_addc_co_u32_e64 v27, s[2:3], v20, v27, s[2:3]
	global_load_ubyte v27, v[26:27], off
.LBB96_8:                               ;   in Loop: Header=BB96_4 Depth=1
	s_or_b64 exec, exec, s[6:7]
	v_mov_b32_e32 v26, s17
	v_add_co_u32_e64 v28, s[2:3], s16, v17
	v_addc_co_u32_e64 v29, s[2:3], v18, v26, s[2:3]
	v_cmp_gt_u64_e64 s[2:3], s[14:15], v[28:29]
	v_mov_b32_e32 v26, 0
	v_mov_b32_e32 v28, 0
	s_and_saveexec_b64 s[8:9], s[2:3]
	s_cbranch_execz .LBB96_10
; %bb.9:                                ;   in Loop: Header=BB96_4 Depth=1
	v_mov_b32_e32 v29, s17
	v_add_co_u32_e64 v28, s[6:7], s16, v13
	v_addc_co_u32_e64 v29, s[6:7], v14, v29, s[6:7]
	global_load_ubyte v28, v[28:29], off
.LBB96_10:                              ;   in Loop: Header=BB96_4 Depth=1
	s_or_b64 exec, exec, s[8:9]
	v_mov_b32_e32 v29, s17
	v_add_co_u32_e64 v30, s[6:7], s16, v11
	v_addc_co_u32_e64 v31, s[6:7], v12, v29, s[6:7]
	v_cmp_gt_u64_e64 s[6:7], s[14:15], v[30:31]
	s_and_saveexec_b64 s[18:19], s[6:7]
	s_cbranch_execnz .LBB96_15
; %bb.11:                               ;   in Loop: Header=BB96_4 Depth=1
	s_or_b64 exec, exec, s[18:19]
	s_and_saveexec_b64 s[8:9], vcc
	s_cbranch_execnz .LBB96_16
.LBB96_12:                              ;   in Loop: Header=BB96_4 Depth=1
	s_or_b64 exec, exec, s[8:9]
	s_and_saveexec_b64 s[8:9], s[0:1]
	s_cbranch_execnz .LBB96_17
.LBB96_13:                              ;   in Loop: Header=BB96_4 Depth=1
	s_or_b64 exec, exec, s[8:9]
	s_and_saveexec_b64 s[0:1], s[2:3]
	s_cbranch_execnz .LBB96_18
.LBB96_14:                              ;   in Loop: Header=BB96_4 Depth=1
	s_or_b64 exec, exec, s[0:1]
	s_and_saveexec_b64 s[0:1], s[6:7]
	s_cbranch_execz .LBB96_3
	s_branch .LBB96_19
.LBB96_15:                              ;   in Loop: Header=BB96_4 Depth=1
	v_mov_b32_e32 v26, s17
	v_add_co_u32_e64 v30, s[8:9], s16, v7
	v_addc_co_u32_e64 v31, s[8:9], v8, v26, s[8:9]
	global_load_ubyte v26, v[30:31], off
	s_or_b64 exec, exec, s[18:19]
	s_and_saveexec_b64 s[8:9], vcc
	s_cbranch_execz .LBB96_12
.LBB96_16:                              ;   in Loop: Header=BB96_4 Depth=1
	v_mov_b32_e32 v29, s17
	v_add_co_u32_e32 v30, vcc, s16, v5
	s_waitcnt vmcnt(0)
	v_subrev_u16_e32 v25, s24, v25
	v_addc_co_u32_e32 v31, vcc, v6, v29, vcc
	global_store_byte v[30:31], v25, off
	s_or_b64 exec, exec, s[8:9]
	s_and_saveexec_b64 s[8:9], s[0:1]
	s_cbranch_execz .LBB96_13
.LBB96_17:                              ;   in Loop: Header=BB96_4 Depth=1
	s_waitcnt vmcnt(0)
	v_subrev_u16_e32 v25, s24, v27
	v_mov_b32_e32 v27, s17
	v_add_co_u32_e32 v30, vcc, s16, v21
	v_addc_co_u32_e32 v31, vcc, v22, v27, vcc
	global_store_byte v[30:31], v25, off
	s_or_b64 exec, exec, s[8:9]
	s_and_saveexec_b64 s[0:1], s[2:3]
	s_cbranch_execz .LBB96_14
.LBB96_18:                              ;   in Loop: Header=BB96_4 Depth=1
	s_waitcnt vmcnt(0)
	v_subrev_u16_e32 v25, s24, v28
	v_mov_b32_e32 v27, s17
	v_add_co_u32_e32 v28, vcc, s16, v15
	v_addc_co_u32_e32 v29, vcc, v16, v27, vcc
	global_store_byte v[28:29], v25, off
	s_or_b64 exec, exec, s[0:1]
	s_and_saveexec_b64 s[0:1], s[6:7]
	s_cbranch_execz .LBB96_3
.LBB96_19:                              ;   in Loop: Header=BB96_4 Depth=1
	s_waitcnt vmcnt(0)
	v_subrev_u16_e32 v25, s24, v26
	v_mov_b32_e32 v27, s17
	v_add_co_u32_e32 v26, vcc, s16, v9
	v_addc_co_u32_e32 v27, vcc, v10, v27, vcc
	global_store_byte v[26:27], v25, off
	s_branch .LBB96_3
.LBB96_20:
	s_mov_b64 s[8:9], 0
.LBB96_21:
	s_andn2_b64 vcc, exec, s[8:9]
	s_cbranch_vccnz .LBB96_25
; %bb.22:
	v_lshlrev_b32_e32 v0, 2, v0
	v_mov_b32_e32 v1, 0
	v_cmp_gt_i64_e32 vcc, s[12:13], v[0:1]
	s_and_saveexec_b64 s[0:1], vcc
	s_cbranch_execz .LBB96_25
; %bb.23:
	s_load_dword s0, s[4:5], 0xc5c
	s_mov_b32 s1, 0
	s_mov_b64 s[2:3], 0
	s_lshr_b32 s6, s21, 16
	v_mov_b32_e32 v2, s11
	s_waitcnt lgkmcnt(0)
	s_and_b32 s0, s0, 0xffff
	s_lshl_b32 s7, s0, 2
	v_mov_b32_e32 v3, s22
	v_mov_b32_e32 v4, s1
	s_mov_b64 s[4:5], 0xffff
	v_mov_b32_e32 v5, 8
.LBB96_24:                              ; =>This Inner Loop Header: Depth=1
	v_add_co_u32_e32 v6, vcc, s10, v0
	v_addc_co_u32_e32 v7, vcc, v2, v1, vcc
	global_load_dword v8, v[6:7], off
	v_add_co_u32_e32 v6, vcc, s20, v0
	v_addc_co_u32_e32 v7, vcc, v3, v1, vcc
	v_add_co_u32_e32 v0, vcc, s7, v0
	v_addc_co_u32_e32 v1, vcc, v4, v1, vcc
	v_cmp_le_i64_e32 vcc, s[12:13], v[0:1]
	v_cmp_lt_u64_e64 s[0:1], s[4:5], v[0:1]
	s_or_b64 s[0:1], vcc, s[0:1]
	s_and_b64 s[0:1], exec, s[0:1]
	s_or_b64 s[2:3], s[0:1], s[2:3]
	s_waitcnt vmcnt(0)
	v_sub_u16_sdwa v11, v8, s6 dst_sel:DWORD dst_unused:UNUSED_PAD src0_sel:WORD_1 src1_sel:DWORD
	v_lshrrev_b32_e32 v10, 8, v8
	v_and_b32_e32 v11, 0xff, v11
	v_subrev_u16_e32 v9, s6, v8
	v_sub_u16_sdwa v8, v8, s6 dst_sel:DWORD dst_unused:UNUSED_PAD src0_sel:BYTE_3 src1_sel:DWORD
	v_subrev_u16_e32 v10, s6, v10
	v_lshlrev_b32_e32 v11, 16, v11
	v_and_b32_e32 v9, 0xff, v9
	v_lshlrev_b32_sdwa v10, v5, v10 dst_sel:DWORD dst_unused:UNUSED_PAD src0_sel:DWORD src1_sel:BYTE_0
	v_lshl_or_b32 v8, v8, 24, v11
	v_or3_b32 v8, v8, v10, v9
	global_store_dword v[6:7], v8, off
	s_andn2_b64 exec, exec, s[2:3]
	s_cbranch_execnz .LBB96_24
.LBB96_25:
	s_endpgm
	.section	.rodata,"a",@progbits
	.p2align	6, 0x0
	.amdhsa_kernel _ZN2at6native12_GLOBAL__N_125multi_tensor_apply_kernelINS1_18TensorListMetadataILi2EEENS1_21BinaryOpScalarFunctorIaLi2ELi1ELi1EEEJSt5minusIaEaEEEvT_T0_DpT1_
		.amdhsa_group_segment_fixed_size 0
		.amdhsa_private_segment_fixed_size 0
		.amdhsa_kernarg_size 3408
		.amdhsa_user_sgpr_count 6
		.amdhsa_user_sgpr_private_segment_buffer 1
		.amdhsa_user_sgpr_dispatch_ptr 0
		.amdhsa_user_sgpr_queue_ptr 0
		.amdhsa_user_sgpr_kernarg_segment_ptr 1
		.amdhsa_user_sgpr_dispatch_id 0
		.amdhsa_user_sgpr_flat_scratch_init 0
		.amdhsa_user_sgpr_kernarg_preload_length 0
		.amdhsa_user_sgpr_kernarg_preload_offset 0
		.amdhsa_user_sgpr_private_segment_size 0
		.amdhsa_uses_dynamic_stack 0
		.amdhsa_system_sgpr_private_segment_wavefront_offset 0
		.amdhsa_system_sgpr_workgroup_id_x 1
		.amdhsa_system_sgpr_workgroup_id_y 0
		.amdhsa_system_sgpr_workgroup_id_z 0
		.amdhsa_system_sgpr_workgroup_info 0
		.amdhsa_system_vgpr_workitem_id 0
		.amdhsa_next_free_vgpr 32
		.amdhsa_next_free_sgpr 25
		.amdhsa_accum_offset 32
		.amdhsa_reserve_vcc 1
		.amdhsa_reserve_flat_scratch 0
		.amdhsa_float_round_mode_32 0
		.amdhsa_float_round_mode_16_64 0
		.amdhsa_float_denorm_mode_32 3
		.amdhsa_float_denorm_mode_16_64 3
		.amdhsa_dx10_clamp 1
		.amdhsa_ieee_mode 1
		.amdhsa_fp16_overflow 0
		.amdhsa_tg_split 0
		.amdhsa_exception_fp_ieee_invalid_op 0
		.amdhsa_exception_fp_denorm_src 0
		.amdhsa_exception_fp_ieee_div_zero 0
		.amdhsa_exception_fp_ieee_overflow 0
		.amdhsa_exception_fp_ieee_underflow 0
		.amdhsa_exception_fp_ieee_inexact 0
		.amdhsa_exception_int_div_zero 0
	.end_amdhsa_kernel
	.section	.text._ZN2at6native12_GLOBAL__N_125multi_tensor_apply_kernelINS1_18TensorListMetadataILi2EEENS1_21BinaryOpScalarFunctorIaLi2ELi1ELi1EEEJSt5minusIaEaEEEvT_T0_DpT1_,"axG",@progbits,_ZN2at6native12_GLOBAL__N_125multi_tensor_apply_kernelINS1_18TensorListMetadataILi2EEENS1_21BinaryOpScalarFunctorIaLi2ELi1ELi1EEEJSt5minusIaEaEEEvT_T0_DpT1_,comdat
.Lfunc_end96:
	.size	_ZN2at6native12_GLOBAL__N_125multi_tensor_apply_kernelINS1_18TensorListMetadataILi2EEENS1_21BinaryOpScalarFunctorIaLi2ELi1ELi1EEEJSt5minusIaEaEEEvT_T0_DpT1_, .Lfunc_end96-_ZN2at6native12_GLOBAL__N_125multi_tensor_apply_kernelINS1_18TensorListMetadataILi2EEENS1_21BinaryOpScalarFunctorIaLi2ELi1ELi1EEEJSt5minusIaEaEEEvT_T0_DpT1_
                                        ; -- End function
	.section	.AMDGPU.csdata,"",@progbits
; Kernel info:
; codeLenInByte = 1200
; NumSgprs: 29
; NumVgprs: 32
; NumAgprs: 0
; TotalNumVgprs: 32
; ScratchSize: 0
; MemoryBound: 0
; FloatMode: 240
; IeeeMode: 1
; LDSByteSize: 0 bytes/workgroup (compile time only)
; SGPRBlocks: 3
; VGPRBlocks: 3
; NumSGPRsForWavesPerEU: 29
; NumVGPRsForWavesPerEU: 32
; AccumOffset: 32
; Occupancy: 8
; WaveLimiterHint : 0
; COMPUTE_PGM_RSRC2:SCRATCH_EN: 0
; COMPUTE_PGM_RSRC2:USER_SGPR: 6
; COMPUTE_PGM_RSRC2:TRAP_HANDLER: 0
; COMPUTE_PGM_RSRC2:TGID_X_EN: 1
; COMPUTE_PGM_RSRC2:TGID_Y_EN: 0
; COMPUTE_PGM_RSRC2:TGID_Z_EN: 0
; COMPUTE_PGM_RSRC2:TIDIG_COMP_CNT: 0
; COMPUTE_PGM_RSRC3_GFX90A:ACCUM_OFFSET: 7
; COMPUTE_PGM_RSRC3_GFX90A:TG_SPLIT: 0
	.section	.text._ZN2at6native12_GLOBAL__N_125multi_tensor_apply_kernelINS1_18TensorListMetadataILi2EEENS1_21BinaryOpScalarFunctorIiLi2ELi1ELi1EEEJSt5minusIiEiEEEvT_T0_DpT1_,"axG",@progbits,_ZN2at6native12_GLOBAL__N_125multi_tensor_apply_kernelINS1_18TensorListMetadataILi2EEENS1_21BinaryOpScalarFunctorIiLi2ELi1ELi1EEEJSt5minusIiEiEEEvT_T0_DpT1_,comdat
	.globl	_ZN2at6native12_GLOBAL__N_125multi_tensor_apply_kernelINS1_18TensorListMetadataILi2EEENS1_21BinaryOpScalarFunctorIiLi2ELi1ELi1EEEJSt5minusIiEiEEEvT_T0_DpT1_ ; -- Begin function _ZN2at6native12_GLOBAL__N_125multi_tensor_apply_kernelINS1_18TensorListMetadataILi2EEENS1_21BinaryOpScalarFunctorIiLi2ELi1ELi1EEEJSt5minusIiEiEEEvT_T0_DpT1_
	.p2align	8
	.type	_ZN2at6native12_GLOBAL__N_125multi_tensor_apply_kernelINS1_18TensorListMetadataILi2EEENS1_21BinaryOpScalarFunctorIiLi2ELi1ELi1EEEJSt5minusIiEiEEEvT_T0_DpT1_,@function
_ZN2at6native12_GLOBAL__N_125multi_tensor_apply_kernelINS1_18TensorListMetadataILi2EEENS1_21BinaryOpScalarFunctorIiLi2ELi1ELi1EEEJSt5minusIiEiEEEvT_T0_DpT1_: ; @_ZN2at6native12_GLOBAL__N_125multi_tensor_apply_kernelINS1_18TensorListMetadataILi2EEENS1_21BinaryOpScalarFunctorIiLi2ELi1ELi1EEEJSt5minusIiEiEEEvT_T0_DpT1_
; %bb.0:
	v_mov_b32_e32 v1, s6
	global_load_ubyte v1, v1, s[4:5] offset:1536
	s_add_u32 s0, s4, s6
	s_mul_hi_u32 s2, s6, 3
	s_mul_i32 s6, s6, 3
	s_addc_u32 s7, s5, 0
	s_add_u32 s6, s0, s6
	s_addc_u32 s7, s7, s2
	s_load_dword s6, s[6:7], 0x740
	s_mov_b32 s1, 0
	s_mov_b32 s15, s1
	;; [unrolled: 1-line block ×3, first 2 shown]
	s_waitcnt lgkmcnt(0)
	s_ashr_i32 s7, s6, 31
	s_lshl_b64 s[16:17], s[6:7], 18
	s_waitcnt vmcnt(0)
	v_readfirstlane_b32 s0, v1
	s_lshl_b32 s0, s0, 3
	s_load_dwordx2 s[10:11], s[4:5], s0 offset:0x0
	s_load_dword s24, s[4:5], 0xc4c
	s_load_dwordx2 s[8:9], s[4:5], s0 offset:0x400
	s_load_dwordx2 s[12:13], s[4:5], s0 offset:0x200
	s_waitcnt lgkmcnt(0)
	s_and_b32 s0, s10, 15
	s_and_b32 s14, s8, 3
	;; [unrolled: 1-line block ×3, first 2 shown]
	s_or_b64 s[0:1], s[0:1], s[14:15]
	s_or_b64 s[0:1], s[2:3], s[0:1]
	s_lshl_b64 s[2:3], s[6:7], 16
	s_sub_u32 s14, s8, s2
	s_subb_u32 s15, s9, s3
	s_cmp_eq_u64 s[0:1], 0
	s_mov_b64 s[0:1], -1
	s_cbranch_scc1 .LBB97_21
; %bb.1:
	v_cmp_lt_i64_e64 s[0:1], s[14:15], 1
	s_and_b64 vcc, exec, s[0:1]
	s_cbranch_vccnz .LBB97_20
; %bb.2:
	s_load_dword s0, s[4:5], 0xc5c
	v_mov_b32_e32 v2, 0x10000
	v_mov_b32_e32 v3, 0
	v_cmp_lt_u64_e32 vcc, s[14:15], v[2:3]
	v_lshlrev_b32_e32 v10, 2, v0
	s_waitcnt lgkmcnt(0)
	s_and_b32 s2, s0, 0xffff
	s_and_b64 s[0:1], vcc, exec
	v_mov_b32_e32 v13, s11
	v_add_co_u32_e32 v2, vcc, s10, v10
	v_addc_co_u32_e32 v1, vcc, 0, v13, vcc
	v_mov_b32_e32 v11, 0
	v_mov_b32_e32 v15, s13
	v_add_co_u32_e32 v4, vcc, s12, v10
	v_addc_co_u32_e32 v3, vcc, 0, v15, vcc
	v_mad_u64_u32 v[8:9], s[0:1], s2, 12, v[10:11]
	v_add_co_u32_e32 v6, vcc, s10, v8
	v_addc_co_u32_e32 v5, vcc, v13, v9, vcc
	v_add_co_u32_e32 v8, vcc, s12, v8
	s_mul_i32 s6, s2, 3
	v_addc_co_u32_e32 v7, vcc, v15, v9, vcc
	v_add_co_u32_e32 v17, vcc, s6, v0
	v_addc_co_u32_e64 v18, s[0:1], 0, 0, vcc
	s_cselect_b32 s19, s15, 0
	s_cselect_b32 s18, s14, 0x10000
	s_lshl_b32 s0, s2, 3
	v_add_co_u32_e32 v11, vcc, s0, v10
	v_addc_co_u32_e64 v14, s[0:1], 0, 0, vcc
	v_add_co_u32_e32 v10, vcc, s10, v11
	v_addc_co_u32_e32 v9, vcc, v13, v14, vcc
	v_add_co_u32_e32 v12, vcc, s12, v11
	s_lshl_b32 s3, s2, 1
	v_addc_co_u32_e32 v11, vcc, v15, v14, vcc
	v_add_co_u32_e32 v19, vcc, s3, v0
	v_addc_co_u32_e64 v20, s[0:1], 0, 0, vcc
	v_add_co_u32_e32 v21, vcc, s2, v0
	v_lshlrev_b32_e32 v16, 2, v21
	v_addc_co_u32_e64 v22, s[0:1], 0, 0, vcc
	v_add_co_u32_e32 v14, vcc, s10, v16
	v_addc_co_u32_e32 v13, vcc, 0, v13, vcc
	v_add_co_u32_e32 v16, vcc, s12, v16
	s_mov_b32 s25, 0
	s_lshl_b32 s26, s2, 2
	s_lshl_b32 s27, s2, 4
	v_addc_co_u32_e32 v15, vcc, 0, v15, vcc
	s_mov_b64 s[20:21], 0
	s_branch .LBB97_4
.LBB97_3:                               ;   in Loop: Header=BB97_4 Depth=1
	s_or_b64 exec, exec, s[0:1]
	s_add_u32 s20, s20, s26
	s_addc_u32 s21, s21, 0
	s_waitcnt vmcnt(0)
	v_pk_mov_b32 v[24:25], s[14:15], s[14:15] op_sel:[0,1]
	v_cmp_lt_i64_e32 vcc, s[20:21], v[24:25]
	v_mov_b32_e32 v24, 0x10000
	v_mov_b32_e32 v25, 0
	v_cmp_lt_u64_e64 s[0:1], s[20:21], v[24:25]
	s_and_b64 s[0:1], vcc, s[0:1]
	v_mov_b32_e32 v23, s25
	v_add_co_u32_e32 v2, vcc, s27, v2
	v_addc_co_u32_e32 v1, vcc, v1, v23, vcc
	v_add_co_u32_e32 v4, vcc, s27, v4
	v_addc_co_u32_e32 v3, vcc, v3, v23, vcc
	;; [unrolled: 2-line block ×8, first 2 shown]
	s_and_b64 vcc, exec, s[0:1]
	s_cbranch_vccz .LBB97_20
.LBB97_4:                               ; =>This Inner Loop Header: Depth=1
	v_mov_b32_e32 v23, s21
	v_add_co_u32_e32 v24, vcc, s20, v0
	v_addc_co_u32_e32 v25, vcc, 0, v23, vcc
	v_cmp_gt_u64_e32 vcc, s[18:19], v[24:25]
	v_mov_b32_e32 v23, 0
	s_and_saveexec_b64 s[2:3], vcc
	s_cbranch_execz .LBB97_6
; %bb.5:                                ;   in Loop: Header=BB97_4 Depth=1
	v_mov_b32_e32 v23, s17
	v_add_co_u32_e64 v24, s[0:1], s16, v2
	v_addc_co_u32_e64 v25, s[0:1], v1, v23, s[0:1]
	global_load_dword v23, v[24:25], off
.LBB97_6:                               ;   in Loop: Header=BB97_4 Depth=1
	s_or_b64 exec, exec, s[2:3]
	v_mov_b32_e32 v25, s21
	v_add_co_u32_e64 v24, s[0:1], s20, v21
	v_addc_co_u32_e64 v25, s[0:1], v22, v25, s[0:1]
	v_cmp_gt_u64_e64 s[0:1], s[18:19], v[24:25]
	v_mov_b32_e32 v25, 0
	s_and_saveexec_b64 s[6:7], s[0:1]
	s_cbranch_execz .LBB97_8
; %bb.7:                                ;   in Loop: Header=BB97_4 Depth=1
	v_mov_b32_e32 v25, s17
	v_add_co_u32_e64 v24, s[2:3], s16, v14
	v_addc_co_u32_e64 v25, s[2:3], v13, v25, s[2:3]
	global_load_dword v25, v[24:25], off
.LBB97_8:                               ;   in Loop: Header=BB97_4 Depth=1
	s_or_b64 exec, exec, s[6:7]
	v_mov_b32_e32 v24, s21
	v_add_co_u32_e64 v26, s[2:3], s20, v19
	v_addc_co_u32_e64 v27, s[2:3], v20, v24, s[2:3]
	v_cmp_gt_u64_e64 s[2:3], s[18:19], v[26:27]
	v_mov_b32_e32 v24, 0
	v_mov_b32_e32 v26, 0
	s_and_saveexec_b64 s[8:9], s[2:3]
	s_cbranch_execz .LBB97_10
; %bb.9:                                ;   in Loop: Header=BB97_4 Depth=1
	v_mov_b32_e32 v27, s17
	v_add_co_u32_e64 v26, s[6:7], s16, v10
	v_addc_co_u32_e64 v27, s[6:7], v9, v27, s[6:7]
	global_load_dword v26, v[26:27], off
.LBB97_10:                              ;   in Loop: Header=BB97_4 Depth=1
	s_or_b64 exec, exec, s[8:9]
	v_mov_b32_e32 v27, s21
	v_add_co_u32_e64 v28, s[6:7], s20, v17
	v_addc_co_u32_e64 v29, s[6:7], v18, v27, s[6:7]
	v_cmp_gt_u64_e64 s[6:7], s[18:19], v[28:29]
	s_and_saveexec_b64 s[22:23], s[6:7]
	s_cbranch_execnz .LBB97_15
; %bb.11:                               ;   in Loop: Header=BB97_4 Depth=1
	s_or_b64 exec, exec, s[22:23]
	s_and_saveexec_b64 s[8:9], vcc
	s_cbranch_execnz .LBB97_16
.LBB97_12:                              ;   in Loop: Header=BB97_4 Depth=1
	s_or_b64 exec, exec, s[8:9]
	s_and_saveexec_b64 s[8:9], s[0:1]
	s_cbranch_execnz .LBB97_17
.LBB97_13:                              ;   in Loop: Header=BB97_4 Depth=1
	s_or_b64 exec, exec, s[8:9]
	s_and_saveexec_b64 s[0:1], s[2:3]
	s_cbranch_execnz .LBB97_18
.LBB97_14:                              ;   in Loop: Header=BB97_4 Depth=1
	s_or_b64 exec, exec, s[0:1]
	s_and_saveexec_b64 s[0:1], s[6:7]
	s_cbranch_execz .LBB97_3
	s_branch .LBB97_19
.LBB97_15:                              ;   in Loop: Header=BB97_4 Depth=1
	v_mov_b32_e32 v24, s17
	v_add_co_u32_e64 v28, s[8:9], s16, v6
	v_addc_co_u32_e64 v29, s[8:9], v5, v24, s[8:9]
	global_load_dword v24, v[28:29], off
	s_or_b64 exec, exec, s[22:23]
	s_and_saveexec_b64 s[8:9], vcc
	s_cbranch_execz .LBB97_12
.LBB97_16:                              ;   in Loop: Header=BB97_4 Depth=1
	v_mov_b32_e32 v27, s17
	v_add_co_u32_e32 v28, vcc, s16, v4
	s_waitcnt vmcnt(0)
	v_subrev_u32_e32 v23, s24, v23
	v_addc_co_u32_e32 v29, vcc, v3, v27, vcc
	global_store_dword v[28:29], v23, off
	s_or_b64 exec, exec, s[8:9]
	s_and_saveexec_b64 s[8:9], s[0:1]
	s_cbranch_execz .LBB97_13
.LBB97_17:                              ;   in Loop: Header=BB97_4 Depth=1
	s_waitcnt vmcnt(0)
	v_subrev_u32_e32 v23, s24, v25
	v_mov_b32_e32 v25, s17
	v_add_co_u32_e32 v28, vcc, s16, v16
	v_addc_co_u32_e32 v29, vcc, v15, v25, vcc
	global_store_dword v[28:29], v23, off
	s_or_b64 exec, exec, s[8:9]
	s_and_saveexec_b64 s[0:1], s[2:3]
	s_cbranch_execz .LBB97_14
.LBB97_18:                              ;   in Loop: Header=BB97_4 Depth=1
	s_waitcnt vmcnt(0)
	v_subrev_u32_e32 v23, s24, v26
	v_mov_b32_e32 v25, s17
	v_add_co_u32_e32 v26, vcc, s16, v12
	v_addc_co_u32_e32 v27, vcc, v11, v25, vcc
	global_store_dword v[26:27], v23, off
	s_or_b64 exec, exec, s[0:1]
	s_and_saveexec_b64 s[0:1], s[6:7]
	s_cbranch_execz .LBB97_3
.LBB97_19:                              ;   in Loop: Header=BB97_4 Depth=1
	s_waitcnt vmcnt(0)
	v_subrev_u32_e32 v23, s24, v24
	v_mov_b32_e32 v25, s17
	v_add_co_u32_e32 v24, vcc, s16, v8
	v_addc_co_u32_e32 v25, vcc, v7, v25, vcc
	global_store_dword v[24:25], v23, off
	s_branch .LBB97_3
.LBB97_20:
	s_mov_b64 s[0:1], 0
.LBB97_21:
	s_andn2_b64 vcc, exec, s[0:1]
	s_cbranch_vccnz .LBB97_25
; %bb.22:
	v_mov_b32_e32 v3, 0
	v_lshlrev_b32_e32 v2, 2, v0
	s_mov_b32 s0, 0
	v_cmp_gt_i64_e32 vcc, s[14:15], v[2:3]
	s_and_saveexec_b64 s[2:3], vcc
	s_cbranch_execz .LBB97_25
; %bb.23:
	s_load_dword s1, s[4:5], 0xc5c
	v_lshlrev_b32_e32 v1, 4, v0
	v_mov_b32_e32 v4, s17
	s_mov_b32 s8, s24
	s_mov_b64 s[4:5], 0
	s_waitcnt lgkmcnt(0)
	s_and_b32 s1, s1, 0xffff
	v_add_lshl_u32 v2, v0, s1, 2
	v_add_co_u32_e32 v0, vcc, s16, v1
	v_addc_co_u32_e32 v1, vcc, 0, v4, vcc
	v_add_co_u32_e32 v0, vcc, 8, v0
	s_lshl_b32 s9, s1, 2
	v_addc_co_u32_e32 v1, vcc, 0, v1, vcc
	s_lshl_b32 s16, s1, 4
	v_mov_b32_e32 v4, s11
	v_mov_b32_e32 v5, s13
	s_mov_b64 s[6:7], 0xffff
	v_mov_b32_e32 v6, s0
	v_mov_b32_e32 v7, s0
.LBB97_24:                              ; =>This Inner Loop Header: Depth=1
	v_add_co_u32_e32 v8, vcc, s10, v0
	v_addc_co_u32_e32 v9, vcc, v4, v1, vcc
	global_load_dwordx4 v[8:11], v[8:9], off offset:-8
	v_add_co_u32_e32 v12, vcc, s12, v0
	v_addc_co_u32_e32 v13, vcc, v5, v1, vcc
	v_cmp_le_i64_e32 vcc, s[14:15], v[2:3]
	v_cmp_lt_u64_e64 s[0:1], s[6:7], v[2:3]
	v_add_co_u32_e64 v2, s[2:3], s9, v2
	v_addc_co_u32_e64 v3, s[2:3], v3, v6, s[2:3]
	s_or_b64 s[0:1], vcc, s[0:1]
	v_add_co_u32_e64 v0, s[2:3], s16, v0
	s_and_b64 s[0:1], exec, s[0:1]
	v_addc_co_u32_e64 v1, s[2:3], v1, v7, s[2:3]
	s_or_b64 s[4:5], s[0:1], s[4:5]
	s_waitcnt vmcnt(0)
	v_subrev_u32_e32 v9, s8, v9
	v_subrev_u32_e32 v8, s24, v8
	;; [unrolled: 1-line block ×4, first 2 shown]
	global_store_dwordx4 v[12:13], v[8:11], off offset:-8
	s_andn2_b64 exec, exec, s[4:5]
	s_cbranch_execnz .LBB97_24
.LBB97_25:
	s_endpgm
	.section	.rodata,"a",@progbits
	.p2align	6, 0x0
	.amdhsa_kernel _ZN2at6native12_GLOBAL__N_125multi_tensor_apply_kernelINS1_18TensorListMetadataILi2EEENS1_21BinaryOpScalarFunctorIiLi2ELi1ELi1EEEJSt5minusIiEiEEEvT_T0_DpT1_
		.amdhsa_group_segment_fixed_size 0
		.amdhsa_private_segment_fixed_size 0
		.amdhsa_kernarg_size 3408
		.amdhsa_user_sgpr_count 6
		.amdhsa_user_sgpr_private_segment_buffer 1
		.amdhsa_user_sgpr_dispatch_ptr 0
		.amdhsa_user_sgpr_queue_ptr 0
		.amdhsa_user_sgpr_kernarg_segment_ptr 1
		.amdhsa_user_sgpr_dispatch_id 0
		.amdhsa_user_sgpr_flat_scratch_init 0
		.amdhsa_user_sgpr_kernarg_preload_length 0
		.amdhsa_user_sgpr_kernarg_preload_offset 0
		.amdhsa_user_sgpr_private_segment_size 0
		.amdhsa_uses_dynamic_stack 0
		.amdhsa_system_sgpr_private_segment_wavefront_offset 0
		.amdhsa_system_sgpr_workgroup_id_x 1
		.amdhsa_system_sgpr_workgroup_id_y 0
		.amdhsa_system_sgpr_workgroup_id_z 0
		.amdhsa_system_sgpr_workgroup_info 0
		.amdhsa_system_vgpr_workitem_id 0
		.amdhsa_next_free_vgpr 30
		.amdhsa_next_free_sgpr 28
		.amdhsa_accum_offset 32
		.amdhsa_reserve_vcc 1
		.amdhsa_reserve_flat_scratch 0
		.amdhsa_float_round_mode_32 0
		.amdhsa_float_round_mode_16_64 0
		.amdhsa_float_denorm_mode_32 3
		.amdhsa_float_denorm_mode_16_64 3
		.amdhsa_dx10_clamp 1
		.amdhsa_ieee_mode 1
		.amdhsa_fp16_overflow 0
		.amdhsa_tg_split 0
		.amdhsa_exception_fp_ieee_invalid_op 0
		.amdhsa_exception_fp_denorm_src 0
		.amdhsa_exception_fp_ieee_div_zero 0
		.amdhsa_exception_fp_ieee_overflow 0
		.amdhsa_exception_fp_ieee_underflow 0
		.amdhsa_exception_fp_ieee_inexact 0
		.amdhsa_exception_int_div_zero 0
	.end_amdhsa_kernel
	.section	.text._ZN2at6native12_GLOBAL__N_125multi_tensor_apply_kernelINS1_18TensorListMetadataILi2EEENS1_21BinaryOpScalarFunctorIiLi2ELi1ELi1EEEJSt5minusIiEiEEEvT_T0_DpT1_,"axG",@progbits,_ZN2at6native12_GLOBAL__N_125multi_tensor_apply_kernelINS1_18TensorListMetadataILi2EEENS1_21BinaryOpScalarFunctorIiLi2ELi1ELi1EEEJSt5minusIiEiEEEvT_T0_DpT1_,comdat
.Lfunc_end97:
	.size	_ZN2at6native12_GLOBAL__N_125multi_tensor_apply_kernelINS1_18TensorListMetadataILi2EEENS1_21BinaryOpScalarFunctorIiLi2ELi1ELi1EEEJSt5minusIiEiEEEvT_T0_DpT1_, .Lfunc_end97-_ZN2at6native12_GLOBAL__N_125multi_tensor_apply_kernelINS1_18TensorListMetadataILi2EEENS1_21BinaryOpScalarFunctorIiLi2ELi1ELi1EEEJSt5minusIiEiEEEvT_T0_DpT1_
                                        ; -- End function
	.section	.AMDGPU.csdata,"",@progbits
; Kernel info:
; codeLenInByte = 1264
; NumSgprs: 32
; NumVgprs: 30
; NumAgprs: 0
; TotalNumVgprs: 30
; ScratchSize: 0
; MemoryBound: 0
; FloatMode: 240
; IeeeMode: 1
; LDSByteSize: 0 bytes/workgroup (compile time only)
; SGPRBlocks: 3
; VGPRBlocks: 3
; NumSGPRsForWavesPerEU: 32
; NumVGPRsForWavesPerEU: 30
; AccumOffset: 32
; Occupancy: 8
; WaveLimiterHint : 0
; COMPUTE_PGM_RSRC2:SCRATCH_EN: 0
; COMPUTE_PGM_RSRC2:USER_SGPR: 6
; COMPUTE_PGM_RSRC2:TRAP_HANDLER: 0
; COMPUTE_PGM_RSRC2:TGID_X_EN: 1
; COMPUTE_PGM_RSRC2:TGID_Y_EN: 0
; COMPUTE_PGM_RSRC2:TGID_Z_EN: 0
; COMPUTE_PGM_RSRC2:TIDIG_COMP_CNT: 0
; COMPUTE_PGM_RSRC3_GFX90A:ACCUM_OFFSET: 7
; COMPUTE_PGM_RSRC3_GFX90A:TG_SPLIT: 0
	.section	.text._ZN2at6native12_GLOBAL__N_125multi_tensor_apply_kernelINS1_18TensorListMetadataILi2EEENS1_21BinaryOpScalarFunctorIlLi2ELi1ELi1EEEJSt5minusIlElEEEvT_T0_DpT1_,"axG",@progbits,_ZN2at6native12_GLOBAL__N_125multi_tensor_apply_kernelINS1_18TensorListMetadataILi2EEENS1_21BinaryOpScalarFunctorIlLi2ELi1ELi1EEEJSt5minusIlElEEEvT_T0_DpT1_,comdat
	.globl	_ZN2at6native12_GLOBAL__N_125multi_tensor_apply_kernelINS1_18TensorListMetadataILi2EEENS1_21BinaryOpScalarFunctorIlLi2ELi1ELi1EEEJSt5minusIlElEEEvT_T0_DpT1_ ; -- Begin function _ZN2at6native12_GLOBAL__N_125multi_tensor_apply_kernelINS1_18TensorListMetadataILi2EEENS1_21BinaryOpScalarFunctorIlLi2ELi1ELi1EEEJSt5minusIlElEEEvT_T0_DpT1_
	.p2align	8
	.type	_ZN2at6native12_GLOBAL__N_125multi_tensor_apply_kernelINS1_18TensorListMetadataILi2EEENS1_21BinaryOpScalarFunctorIlLi2ELi1ELi1EEEJSt5minusIlElEEEvT_T0_DpT1_,@function
_ZN2at6native12_GLOBAL__N_125multi_tensor_apply_kernelINS1_18TensorListMetadataILi2EEENS1_21BinaryOpScalarFunctorIlLi2ELi1ELi1EEEJSt5minusIlElEEEvT_T0_DpT1_: ; @_ZN2at6native12_GLOBAL__N_125multi_tensor_apply_kernelINS1_18TensorListMetadataILi2EEENS1_21BinaryOpScalarFunctorIlLi2ELi1ELi1EEEJSt5minusIlElEEEvT_T0_DpT1_
; %bb.0:
	v_mov_b32_e32 v1, s6
	global_load_ubyte v1, v1, s[4:5] offset:1536
	s_add_u32 s0, s4, s6
	s_mul_hi_u32 s1, s6, 3
	s_mul_i32 s6, s6, 3
	s_addc_u32 s2, s5, 0
	s_add_u32 s0, s0, s6
	s_addc_u32 s1, s2, s1
	s_load_dword s6, s[0:1], 0x740
	s_mov_b32 s9, 0
	s_mov_b32 s17, s9
	;; [unrolled: 1-line block ×3, first 2 shown]
	s_waitcnt lgkmcnt(0)
	s_ashr_i32 s7, s6, 31
	s_lshl_b64 s[14:15], s[6:7], 19
	s_waitcnt vmcnt(0)
	v_readfirstlane_b32 s0, v1
	s_lshl_b32 s8, s0, 3
	s_load_dwordx2 s[2:3], s[4:5], s8 offset:0x0
	s_load_dwordx2 s[10:11], s[4:5], 0xc50
	s_load_dwordx2 s[18:19], s[4:5], s8 offset:0x400
	s_load_dwordx2 s[0:1], s[4:5], s8 offset:0x200
	s_waitcnt lgkmcnt(0)
	s_add_u32 s22, s2, s14
	s_addc_u32 s23, s3, s15
	s_and_b32 s8, s22, 31
	s_add_u32 s24, s0, s14
	s_addc_u32 s25, s1, s15
	s_and_b32 s16, s18, 3
	s_and_b32 s12, s24, 31
	s_or_b64 s[8:9], s[8:9], s[16:17]
	s_or_b64 s[8:9], s[12:13], s[8:9]
	s_lshl_b64 s[6:7], s[6:7], 16
	s_sub_u32 s12, s18, s6
	s_subb_u32 s13, s19, s7
	s_cmp_eq_u64 s[8:9], 0
	s_mov_b64 s[6:7], -1
	s_cbranch_scc1 .LBB98_21
; %bb.1:
	v_cmp_lt_i64_e64 s[6:7], s[12:13], 1
	s_and_b64 vcc, exec, s[6:7]
	s_cbranch_vccnz .LBB98_20
; %bb.2:
	s_load_dword s6, s[4:5], 0xc64
	v_mov_b32_e32 v2, 0x10000
	v_mov_b32_e32 v3, 0
	v_cmp_lt_u64_e32 vcc, s[12:13], v[2:3]
	v_lshlrev_b32_e32 v10, 3, v0
	s_waitcnt lgkmcnt(0)
	s_and_b32 s8, s6, 0xffff
	s_and_b64 s[6:7], vcc, exec
	v_mov_b32_e32 v13, s3
	v_add_co_u32_e32 v2, vcc, s2, v10
	v_addc_co_u32_e32 v1, vcc, 0, v13, vcc
	v_mov_b32_e32 v11, 0
	v_mov_b32_e32 v15, s1
	v_add_co_u32_e32 v4, vcc, s0, v10
	v_addc_co_u32_e32 v3, vcc, 0, v15, vcc
	v_mad_u64_u32 v[8:9], s[6:7], s8, 24, v[10:11]
	v_add_co_u32_e32 v6, vcc, s2, v8
	v_addc_co_u32_e32 v5, vcc, v13, v9, vcc
	v_add_co_u32_e32 v8, vcc, s0, v8
	s_mul_i32 s18, s8, 3
	v_addc_co_u32_e32 v7, vcc, v15, v9, vcc
	s_cselect_b32 s17, s13, 0
	s_cselect_b32 s16, s12, 0x10000
	v_add_co_u32_e32 v17, vcc, s18, v0
	s_lshl_b32 s1, s8, 4
	v_addc_co_u32_e64 v26, s[6:7], 0, 0, vcc
	v_add_co_u32_e32 v11, vcc, s1, v10
	v_addc_co_u32_e64 v14, s[6:7], 0, 0, vcc
	v_add_co_u32_e32 v10, vcc, s2, v11
	v_addc_co_u32_e32 v9, vcc, v13, v14, vcc
	v_add_co_u32_e32 v12, vcc, s0, v11
	s_lshl_b32 s9, s8, 1
	v_addc_co_u32_e32 v11, vcc, v15, v14, vcc
	v_add_co_u32_e32 v27, vcc, s9, v0
	v_addc_co_u32_e64 v28, s[6:7], 0, 0, vcc
	v_add_co_u32_e32 v29, vcc, s8, v0
	v_lshlrev_b32_e32 v16, 3, v29
	v_addc_co_u32_e64 v30, s[6:7], 0, 0, vcc
	v_add_co_u32_e32 v14, vcc, s2, v16
	v_addc_co_u32_e32 v13, vcc, 0, v13, vcc
	v_add_co_u32_e32 v16, vcc, s0, v16
	s_mov_b32 s26, 0
	s_lshl_b32 s27, s8, 2
	s_lshl_b32 s28, s8, 5
	v_addc_co_u32_e32 v15, vcc, 0, v15, vcc
	s_mov_b64 s[18:19], 0
	s_branch .LBB98_4
.LBB98_3:                               ;   in Loop: Header=BB98_4 Depth=1
	s_or_b64 exec, exec, s[0:1]
	s_add_u32 s18, s18, s27
	s_addc_u32 s19, s19, 0
	s_waitcnt vmcnt(0)
	v_pk_mov_b32 v[18:19], s[12:13], s[12:13] op_sel:[0,1]
	v_cmp_lt_i64_e32 vcc, s[18:19], v[18:19]
	v_mov_b32_e32 v18, 0x10000
	v_mov_b32_e32 v19, 0
	v_cmp_lt_u64_e64 s[0:1], s[18:19], v[18:19]
	s_and_b64 s[0:1], vcc, s[0:1]
	v_mov_b32_e32 v18, s26
	v_add_co_u32_e32 v2, vcc, s28, v2
	v_addc_co_u32_e32 v1, vcc, v1, v18, vcc
	v_add_co_u32_e32 v4, vcc, s28, v4
	v_addc_co_u32_e32 v3, vcc, v3, v18, vcc
	;; [unrolled: 2-line block ×8, first 2 shown]
	s_and_b64 vcc, exec, s[0:1]
	s_cbranch_vccz .LBB98_20
.LBB98_4:                               ; =>This Inner Loop Header: Depth=1
	v_mov_b32_e32 v19, s19
	v_add_co_u32_e32 v18, vcc, s18, v0
	v_addc_co_u32_e32 v19, vcc, 0, v19, vcc
	v_cmp_gt_u64_e32 vcc, s[16:17], v[18:19]
	v_pk_mov_b32 v[18:19], 0, 0
	v_pk_mov_b32 v[22:23], v[18:19], v[18:19] op_sel:[0,1]
	s_and_saveexec_b64 s[2:3], vcc
	s_cbranch_execz .LBB98_6
; %bb.5:                                ;   in Loop: Header=BB98_4 Depth=1
	v_mov_b32_e32 v21, s15
	v_add_co_u32_e64 v20, s[0:1], s14, v2
	v_addc_co_u32_e64 v21, s[0:1], v1, v21, s[0:1]
	global_load_dwordx2 v[22:23], v[20:21], off
.LBB98_6:                               ;   in Loop: Header=BB98_4 Depth=1
	s_or_b64 exec, exec, s[2:3]
	v_mov_b32_e32 v21, s19
	v_add_co_u32_e64 v20, s[0:1], s18, v29
	v_addc_co_u32_e64 v21, s[0:1], v30, v21, s[0:1]
	v_cmp_gt_u64_e64 s[0:1], s[16:17], v[20:21]
	s_and_saveexec_b64 s[6:7], s[0:1]
	s_cbranch_execz .LBB98_8
; %bb.7:                                ;   in Loop: Header=BB98_4 Depth=1
	v_mov_b32_e32 v19, s15
	v_add_co_u32_e64 v18, s[2:3], s14, v14
	v_addc_co_u32_e64 v19, s[2:3], v13, v19, s[2:3]
	global_load_dwordx2 v[18:19], v[18:19], off
.LBB98_8:                               ;   in Loop: Header=BB98_4 Depth=1
	s_or_b64 exec, exec, s[6:7]
	v_mov_b32_e32 v21, s19
	v_add_co_u32_e64 v20, s[2:3], s18, v27
	v_addc_co_u32_e64 v21, s[2:3], v28, v21, s[2:3]
	v_cmp_gt_u64_e64 s[2:3], s[16:17], v[20:21]
	v_pk_mov_b32 v[20:21], 0, 0
	v_pk_mov_b32 v[24:25], v[20:21], v[20:21] op_sel:[0,1]
	s_and_saveexec_b64 s[8:9], s[2:3]
	s_cbranch_execz .LBB98_10
; %bb.9:                                ;   in Loop: Header=BB98_4 Depth=1
	v_mov_b32_e32 v25, s15
	v_add_co_u32_e64 v24, s[6:7], s14, v10
	v_addc_co_u32_e64 v25, s[6:7], v9, v25, s[6:7]
	global_load_dwordx2 v[24:25], v[24:25], off
.LBB98_10:                              ;   in Loop: Header=BB98_4 Depth=1
	s_or_b64 exec, exec, s[8:9]
	v_mov_b32_e32 v31, s19
	v_add_co_u32_e64 v32, s[6:7], s18, v17
	v_addc_co_u32_e64 v33, s[6:7], v26, v31, s[6:7]
	v_cmp_gt_u64_e64 s[6:7], s[16:17], v[32:33]
	s_and_saveexec_b64 s[20:21], s[6:7]
	s_cbranch_execnz .LBB98_15
; %bb.11:                               ;   in Loop: Header=BB98_4 Depth=1
	s_or_b64 exec, exec, s[20:21]
	s_and_saveexec_b64 s[8:9], vcc
	s_cbranch_execnz .LBB98_16
.LBB98_12:                              ;   in Loop: Header=BB98_4 Depth=1
	s_or_b64 exec, exec, s[8:9]
	s_and_saveexec_b64 s[8:9], s[0:1]
	s_cbranch_execnz .LBB98_17
.LBB98_13:                              ;   in Loop: Header=BB98_4 Depth=1
	s_or_b64 exec, exec, s[8:9]
	s_and_saveexec_b64 s[0:1], s[2:3]
	s_cbranch_execnz .LBB98_18
.LBB98_14:                              ;   in Loop: Header=BB98_4 Depth=1
	s_or_b64 exec, exec, s[0:1]
	s_and_saveexec_b64 s[0:1], s[6:7]
	s_cbranch_execz .LBB98_3
	s_branch .LBB98_19
.LBB98_15:                              ;   in Loop: Header=BB98_4 Depth=1
	v_mov_b32_e32 v21, s15
	v_add_co_u32_e64 v20, s[8:9], s14, v6
	v_addc_co_u32_e64 v21, s[8:9], v5, v21, s[8:9]
	global_load_dwordx2 v[20:21], v[20:21], off
	s_or_b64 exec, exec, s[20:21]
	s_and_saveexec_b64 s[8:9], vcc
	s_cbranch_execz .LBB98_12
.LBB98_16:                              ;   in Loop: Header=BB98_4 Depth=1
	v_mov_b32_e32 v31, s11
	s_waitcnt vmcnt(0)
	v_subrev_co_u32_e32 v22, vcc, s10, v22
	v_subb_co_u32_e32 v23, vcc, v23, v31, vcc
	v_mov_b32_e32 v31, s15
	v_add_co_u32_e32 v32, vcc, s14, v4
	v_addc_co_u32_e32 v33, vcc, v3, v31, vcc
	global_store_dwordx2 v[32:33], v[22:23], off
	s_or_b64 exec, exec, s[8:9]
	s_and_saveexec_b64 s[8:9], s[0:1]
	s_cbranch_execz .LBB98_13
.LBB98_17:                              ;   in Loop: Header=BB98_4 Depth=1
	s_waitcnt vmcnt(0)
	v_mov_b32_e32 v22, s11
	v_subrev_co_u32_e32 v18, vcc, s10, v18
	v_subb_co_u32_e32 v19, vcc, v19, v22, vcc
	v_mov_b32_e32 v23, s15
	v_add_co_u32_e32 v22, vcc, s14, v16
	v_addc_co_u32_e32 v23, vcc, v15, v23, vcc
	global_store_dwordx2 v[22:23], v[18:19], off
	s_or_b64 exec, exec, s[8:9]
	s_and_saveexec_b64 s[0:1], s[2:3]
	s_cbranch_execz .LBB98_14
.LBB98_18:                              ;   in Loop: Header=BB98_4 Depth=1
	s_waitcnt vmcnt(0)
	v_mov_b32_e32 v19, s11
	v_subrev_co_u32_e32 v18, vcc, s10, v24
	v_subb_co_u32_e32 v19, vcc, v25, v19, vcc
	v_mov_b32_e32 v23, s15
	v_add_co_u32_e32 v22, vcc, s14, v12
	v_addc_co_u32_e32 v23, vcc, v11, v23, vcc
	global_store_dwordx2 v[22:23], v[18:19], off
	s_or_b64 exec, exec, s[0:1]
	s_and_saveexec_b64 s[0:1], s[6:7]
	s_cbranch_execz .LBB98_3
.LBB98_19:                              ;   in Loop: Header=BB98_4 Depth=1
	s_waitcnt vmcnt(0)
	v_mov_b32_e32 v19, s11
	v_subrev_co_u32_e32 v18, vcc, s10, v20
	v_subb_co_u32_e32 v19, vcc, v21, v19, vcc
	v_mov_b32_e32 v21, s15
	v_add_co_u32_e32 v20, vcc, s14, v8
	v_addc_co_u32_e32 v21, vcc, v7, v21, vcc
	global_store_dwordx2 v[20:21], v[18:19], off
	s_branch .LBB98_3
.LBB98_20:
	s_mov_b64 s[6:7], 0
.LBB98_21:
	s_andn2_b64 vcc, exec, s[6:7]
	s_cbranch_vccnz .LBB98_25
; %bb.22:
	v_mov_b32_e32 v3, 0
	v_lshlrev_b32_e32 v2, 2, v0
	s_mov_b32 s0, 0
	v_cmp_gt_i64_e32 vcc, s[12:13], v[2:3]
	s_and_saveexec_b64 s[2:3], vcc
	s_cbranch_execz .LBB98_25
; %bb.23:
	s_load_dword s1, s[4:5], 0xc64
	v_lshlrev_b32_e32 v4, 5, v0
	s_mov_b64 s[4:5], 0
	s_mov_b64 s[6:7], 0xffff
	v_mov_b32_e32 v1, s0
	s_waitcnt lgkmcnt(0)
	s_and_b32 s1, s1, 0xffff
	v_add_lshl_u32 v2, v0, s1, 2
	s_lshl_b32 s8, s1, 2
	s_lshl_b32 s9, s1, 5
	v_mov_b32_e32 v0, s11
.LBB98_24:                              ; =>This Inner Loop Header: Depth=1
	v_mov_b32_e32 v5, s23
	v_add_co_u32_e32 v14, vcc, s22, v4
	v_addc_co_u32_e32 v15, vcc, 0, v5, vcc
	global_load_dwordx4 v[6:9], v[14:15], off
	global_load_dwordx4 v[10:13], v[14:15], off offset:16
	v_cmp_le_i64_e32 vcc, s[12:13], v[2:3]
	v_cmp_lt_u64_e64 s[0:1], s[6:7], v[2:3]
	s_or_b64 s[0:1], vcc, s[0:1]
	v_add_co_u32_e64 v2, s[2:3], s8, v2
	s_add_u32 s22, s22, s9
	v_addc_co_u32_e64 v3, s[2:3], v3, v1, s[2:3]
	s_addc_u32 s23, s23, 0
	v_add_co_u32_e64 v14, s[2:3], s24, v4
	s_add_u32 s24, s24, s9
	v_mov_b32_e32 v5, s25
	s_addc_u32 s25, s25, 0
	s_and_b64 s[0:1], exec, s[0:1]
	v_addc_co_u32_e64 v15, s[2:3], 0, v5, s[2:3]
	s_or_b64 s[4:5], s[0:1], s[4:5]
	s_waitcnt vmcnt(1)
	v_subrev_co_u32_e32 v6, vcc, s10, v6
	v_subb_co_u32_e32 v7, vcc, v7, v0, vcc
	v_subrev_co_u32_e32 v8, vcc, s10, v8
	v_subb_co_u32_e32 v9, vcc, v9, v0, vcc
	s_waitcnt vmcnt(0)
	v_subrev_co_u32_e32 v10, vcc, s10, v10
	v_subb_co_u32_e32 v11, vcc, v11, v0, vcc
	v_subrev_co_u32_e32 v12, vcc, s10, v12
	v_subb_co_u32_e32 v13, vcc, v13, v0, vcc
	global_store_dwordx4 v[14:15], v[6:9], off
	global_store_dwordx4 v[14:15], v[10:13], off offset:16
	s_andn2_b64 exec, exec, s[4:5]
	s_cbranch_execnz .LBB98_24
.LBB98_25:
	s_endpgm
	.section	.rodata,"a",@progbits
	.p2align	6, 0x0
	.amdhsa_kernel _ZN2at6native12_GLOBAL__N_125multi_tensor_apply_kernelINS1_18TensorListMetadataILi2EEENS1_21BinaryOpScalarFunctorIlLi2ELi1ELi1EEEJSt5minusIlElEEEvT_T0_DpT1_
		.amdhsa_group_segment_fixed_size 0
		.amdhsa_private_segment_fixed_size 0
		.amdhsa_kernarg_size 3416
		.amdhsa_user_sgpr_count 6
		.amdhsa_user_sgpr_private_segment_buffer 1
		.amdhsa_user_sgpr_dispatch_ptr 0
		.amdhsa_user_sgpr_queue_ptr 0
		.amdhsa_user_sgpr_kernarg_segment_ptr 1
		.amdhsa_user_sgpr_dispatch_id 0
		.amdhsa_user_sgpr_flat_scratch_init 0
		.amdhsa_user_sgpr_kernarg_preload_length 0
		.amdhsa_user_sgpr_kernarg_preload_offset 0
		.amdhsa_user_sgpr_private_segment_size 0
		.amdhsa_uses_dynamic_stack 0
		.amdhsa_system_sgpr_private_segment_wavefront_offset 0
		.amdhsa_system_sgpr_workgroup_id_x 1
		.amdhsa_system_sgpr_workgroup_id_y 0
		.amdhsa_system_sgpr_workgroup_id_z 0
		.amdhsa_system_sgpr_workgroup_info 0
		.amdhsa_system_vgpr_workitem_id 0
		.amdhsa_next_free_vgpr 34
		.amdhsa_next_free_sgpr 29
		.amdhsa_accum_offset 36
		.amdhsa_reserve_vcc 1
		.amdhsa_reserve_flat_scratch 0
		.amdhsa_float_round_mode_32 0
		.amdhsa_float_round_mode_16_64 0
		.amdhsa_float_denorm_mode_32 3
		.amdhsa_float_denorm_mode_16_64 3
		.amdhsa_dx10_clamp 1
		.amdhsa_ieee_mode 1
		.amdhsa_fp16_overflow 0
		.amdhsa_tg_split 0
		.amdhsa_exception_fp_ieee_invalid_op 0
		.amdhsa_exception_fp_denorm_src 0
		.amdhsa_exception_fp_ieee_div_zero 0
		.amdhsa_exception_fp_ieee_overflow 0
		.amdhsa_exception_fp_ieee_underflow 0
		.amdhsa_exception_fp_ieee_inexact 0
		.amdhsa_exception_int_div_zero 0
	.end_amdhsa_kernel
	.section	.text._ZN2at6native12_GLOBAL__N_125multi_tensor_apply_kernelINS1_18TensorListMetadataILi2EEENS1_21BinaryOpScalarFunctorIlLi2ELi1ELi1EEEJSt5minusIlElEEEvT_T0_DpT1_,"axG",@progbits,_ZN2at6native12_GLOBAL__N_125multi_tensor_apply_kernelINS1_18TensorListMetadataILi2EEENS1_21BinaryOpScalarFunctorIlLi2ELi1ELi1EEEJSt5minusIlElEEEvT_T0_DpT1_,comdat
.Lfunc_end98:
	.size	_ZN2at6native12_GLOBAL__N_125multi_tensor_apply_kernelINS1_18TensorListMetadataILi2EEENS1_21BinaryOpScalarFunctorIlLi2ELi1ELi1EEEJSt5minusIlElEEEvT_T0_DpT1_, .Lfunc_end98-_ZN2at6native12_GLOBAL__N_125multi_tensor_apply_kernelINS1_18TensorListMetadataILi2EEENS1_21BinaryOpScalarFunctorIlLi2ELi1ELi1EEEJSt5minusIlElEEEvT_T0_DpT1_
                                        ; -- End function
	.section	.AMDGPU.csdata,"",@progbits
; Kernel info:
; codeLenInByte = 1348
; NumSgprs: 33
; NumVgprs: 34
; NumAgprs: 0
; TotalNumVgprs: 34
; ScratchSize: 0
; MemoryBound: 0
; FloatMode: 240
; IeeeMode: 1
; LDSByteSize: 0 bytes/workgroup (compile time only)
; SGPRBlocks: 4
; VGPRBlocks: 4
; NumSGPRsForWavesPerEU: 33
; NumVGPRsForWavesPerEU: 34
; AccumOffset: 36
; Occupancy: 8
; WaveLimiterHint : 0
; COMPUTE_PGM_RSRC2:SCRATCH_EN: 0
; COMPUTE_PGM_RSRC2:USER_SGPR: 6
; COMPUTE_PGM_RSRC2:TRAP_HANDLER: 0
; COMPUTE_PGM_RSRC2:TGID_X_EN: 1
; COMPUTE_PGM_RSRC2:TGID_Y_EN: 0
; COMPUTE_PGM_RSRC2:TGID_Z_EN: 0
; COMPUTE_PGM_RSRC2:TIDIG_COMP_CNT: 0
; COMPUTE_PGM_RSRC3_GFX90A:ACCUM_OFFSET: 8
; COMPUTE_PGM_RSRC3_GFX90A:TG_SPLIT: 0
	.section	.text._ZN2at6native12_GLOBAL__N_125multi_tensor_apply_kernelINS1_18TensorListMetadataILi2EEENS1_21BinaryOpScalarFunctorIsLi2ELi1ELi1EEEJSt5minusIsEsEEEvT_T0_DpT1_,"axG",@progbits,_ZN2at6native12_GLOBAL__N_125multi_tensor_apply_kernelINS1_18TensorListMetadataILi2EEENS1_21BinaryOpScalarFunctorIsLi2ELi1ELi1EEEJSt5minusIsEsEEEvT_T0_DpT1_,comdat
	.globl	_ZN2at6native12_GLOBAL__N_125multi_tensor_apply_kernelINS1_18TensorListMetadataILi2EEENS1_21BinaryOpScalarFunctorIsLi2ELi1ELi1EEEJSt5minusIsEsEEEvT_T0_DpT1_ ; -- Begin function _ZN2at6native12_GLOBAL__N_125multi_tensor_apply_kernelINS1_18TensorListMetadataILi2EEENS1_21BinaryOpScalarFunctorIsLi2ELi1ELi1EEEJSt5minusIsEsEEEvT_T0_DpT1_
	.p2align	8
	.type	_ZN2at6native12_GLOBAL__N_125multi_tensor_apply_kernelINS1_18TensorListMetadataILi2EEENS1_21BinaryOpScalarFunctorIsLi2ELi1ELi1EEEJSt5minusIsEsEEEvT_T0_DpT1_,@function
_ZN2at6native12_GLOBAL__N_125multi_tensor_apply_kernelINS1_18TensorListMetadataILi2EEENS1_21BinaryOpScalarFunctorIsLi2ELi1ELi1EEEJSt5minusIsEsEEEvT_T0_DpT1_: ; @_ZN2at6native12_GLOBAL__N_125multi_tensor_apply_kernelINS1_18TensorListMetadataILi2EEENS1_21BinaryOpScalarFunctorIsLi2ELi1ELi1EEEJSt5minusIsEsEEEvT_T0_DpT1_
; %bb.0:
	v_mov_b32_e32 v1, s6
	global_load_ubyte v1, v1, s[4:5] offset:1536
	s_load_dword s0, s[4:5], 0xc48
	s_mul_i32 s7, s6, 3
	s_mul_hi_u32 s2, s6, 3
	s_mov_b32 s1, 0
	s_mov_b32 s3, s1
	s_waitcnt lgkmcnt(0)
	s_lshr_b32 s24, s0, 16
	s_add_u32 s0, s4, s6
	s_addc_u32 s8, s5, 0
	s_add_u32 s6, s0, s7
	s_addc_u32 s7, s8, s2
	s_waitcnt vmcnt(0)
	v_readfirstlane_b32 s0, v1
	s_lshl_b32 s0, s0, 3
	s_load_dword s8, s[6:7], 0x740
	s_load_dwordx2 s[10:11], s[4:5], s0 offset:0x0
	s_load_dwordx2 s[14:15], s[4:5], s0 offset:0x400
	;; [unrolled: 1-line block ×3, first 2 shown]
	s_mov_b32 s7, s1
	s_waitcnt lgkmcnt(0)
	s_ashr_i32 s9, s8, 31
	s_and_b32 s0, s10, 7
	s_and_b32 s6, s14, 3
	;; [unrolled: 1-line block ×3, first 2 shown]
	s_or_b64 s[0:1], s[0:1], s[6:7]
	s_lshl_b64 s[16:17], s[8:9], 17
	s_or_b64 s[0:1], s[2:3], s[0:1]
	s_lshl_b64 s[2:3], s[8:9], 16
	s_sub_u32 s14, s14, s2
	s_subb_u32 s15, s15, s3
	s_cmp_eq_u64 s[0:1], 0
	s_mov_b64 s[0:1], -1
	s_cbranch_scc1 .LBB99_21
; %bb.1:
	v_cmp_lt_i64_e64 s[0:1], s[14:15], 1
	s_and_b64 vcc, exec, s[0:1]
	s_cbranch_vccnz .LBB99_20
; %bb.2:
	s_load_dword s0, s[4:5], 0xc5c
	v_mov_b32_e32 v2, 0x10000
	v_mov_b32_e32 v3, 0
	v_cmp_lt_u64_e32 vcc, s[14:15], v[2:3]
	v_lshlrev_b32_e32 v10, 1, v0
	s_waitcnt lgkmcnt(0)
	s_and_b32 s2, s0, 0xffff
	s_and_b64 s[0:1], vcc, exec
	v_mov_b32_e32 v13, s11
	v_add_co_u32_e32 v2, vcc, s10, v10
	v_addc_co_u32_e32 v1, vcc, 0, v13, vcc
	v_mov_b32_e32 v11, 0
	v_mov_b32_e32 v15, s13
	v_add_co_u32_e32 v4, vcc, s12, v10
	v_addc_co_u32_e32 v3, vcc, 0, v15, vcc
	v_mad_u64_u32 v[8:9], s[0:1], s2, 6, v[10:11]
	v_add_co_u32_e32 v6, vcc, s10, v8
	v_addc_co_u32_e32 v5, vcc, v13, v9, vcc
	v_add_co_u32_e32 v8, vcc, s12, v8
	s_mul_i32 s6, s2, 3
	v_addc_co_u32_e32 v7, vcc, v15, v9, vcc
	s_cselect_b32 s19, s15, 0
	s_cselect_b32 s18, s14, 0x10000
	s_lshl_b32 s26, s2, 2
	v_add_co_u32_e32 v17, vcc, s6, v0
	v_addc_co_u32_e64 v18, s[0:1], 0, 0, vcc
	v_add_co_u32_e32 v11, vcc, s26, v10
	v_addc_co_u32_e64 v14, s[0:1], 0, 0, vcc
	v_add_co_u32_e32 v10, vcc, s10, v11
	v_addc_co_u32_e32 v9, vcc, v13, v14, vcc
	v_add_co_u32_e32 v12, vcc, s12, v11
	s_lshl_b32 s3, s2, 1
	v_addc_co_u32_e32 v11, vcc, v15, v14, vcc
	v_add_co_u32_e32 v19, vcc, s3, v0
	v_addc_co_u32_e64 v20, s[0:1], 0, 0, vcc
	v_add_co_u32_e32 v21, vcc, s2, v0
	v_lshlrev_b32_e32 v16, 1, v21
	v_addc_co_u32_e64 v22, s[0:1], 0, 0, vcc
	v_add_co_u32_e32 v14, vcc, s10, v16
	v_addc_co_u32_e32 v13, vcc, 0, v13, vcc
	v_add_co_u32_e32 v16, vcc, s12, v16
	s_mov_b32 s25, 0
	s_lshl_b32 s27, s2, 3
	v_addc_co_u32_e32 v15, vcc, 0, v15, vcc
	s_mov_b64 s[20:21], 0
	s_branch .LBB99_4
.LBB99_3:                               ;   in Loop: Header=BB99_4 Depth=1
	s_or_b64 exec, exec, s[0:1]
	s_add_u32 s20, s20, s26
	s_addc_u32 s21, s21, 0
	s_waitcnt vmcnt(0)
	v_pk_mov_b32 v[24:25], s[14:15], s[14:15] op_sel:[0,1]
	v_cmp_lt_i64_e32 vcc, s[20:21], v[24:25]
	v_mov_b32_e32 v24, 0x10000
	v_mov_b32_e32 v25, 0
	v_cmp_lt_u64_e64 s[0:1], s[20:21], v[24:25]
	s_and_b64 s[0:1], vcc, s[0:1]
	v_mov_b32_e32 v23, s25
	v_add_co_u32_e32 v2, vcc, s27, v2
	v_addc_co_u32_e32 v1, vcc, v1, v23, vcc
	v_add_co_u32_e32 v4, vcc, s27, v4
	v_addc_co_u32_e32 v3, vcc, v3, v23, vcc
	;; [unrolled: 2-line block ×8, first 2 shown]
	s_and_b64 vcc, exec, s[0:1]
	s_cbranch_vccz .LBB99_20
.LBB99_4:                               ; =>This Inner Loop Header: Depth=1
	v_mov_b32_e32 v23, s21
	v_add_co_u32_e32 v24, vcc, s20, v0
	v_addc_co_u32_e32 v25, vcc, 0, v23, vcc
	v_cmp_gt_u64_e32 vcc, s[18:19], v[24:25]
	v_mov_b32_e32 v23, 0
	s_and_saveexec_b64 s[2:3], vcc
	s_cbranch_execz .LBB99_6
; %bb.5:                                ;   in Loop: Header=BB99_4 Depth=1
	v_mov_b32_e32 v23, s17
	v_add_co_u32_e64 v24, s[0:1], s16, v2
	v_addc_co_u32_e64 v25, s[0:1], v1, v23, s[0:1]
	global_load_ushort v23, v[24:25], off
.LBB99_6:                               ;   in Loop: Header=BB99_4 Depth=1
	s_or_b64 exec, exec, s[2:3]
	v_mov_b32_e32 v25, s21
	v_add_co_u32_e64 v24, s[0:1], s20, v21
	v_addc_co_u32_e64 v25, s[0:1], v22, v25, s[0:1]
	v_cmp_gt_u64_e64 s[0:1], s[18:19], v[24:25]
	v_mov_b32_e32 v25, 0
	s_and_saveexec_b64 s[6:7], s[0:1]
	s_cbranch_execz .LBB99_8
; %bb.7:                                ;   in Loop: Header=BB99_4 Depth=1
	v_mov_b32_e32 v25, s17
	v_add_co_u32_e64 v24, s[2:3], s16, v14
	v_addc_co_u32_e64 v25, s[2:3], v13, v25, s[2:3]
	global_load_ushort v25, v[24:25], off
.LBB99_8:                               ;   in Loop: Header=BB99_4 Depth=1
	s_or_b64 exec, exec, s[6:7]
	v_mov_b32_e32 v24, s21
	v_add_co_u32_e64 v26, s[2:3], s20, v19
	v_addc_co_u32_e64 v27, s[2:3], v20, v24, s[2:3]
	v_cmp_gt_u64_e64 s[2:3], s[18:19], v[26:27]
	v_mov_b32_e32 v24, 0
	v_mov_b32_e32 v26, 0
	s_and_saveexec_b64 s[8:9], s[2:3]
	s_cbranch_execz .LBB99_10
; %bb.9:                                ;   in Loop: Header=BB99_4 Depth=1
	v_mov_b32_e32 v27, s17
	v_add_co_u32_e64 v26, s[6:7], s16, v10
	v_addc_co_u32_e64 v27, s[6:7], v9, v27, s[6:7]
	global_load_ushort v26, v[26:27], off
.LBB99_10:                              ;   in Loop: Header=BB99_4 Depth=1
	s_or_b64 exec, exec, s[8:9]
	v_mov_b32_e32 v27, s21
	v_add_co_u32_e64 v28, s[6:7], s20, v17
	v_addc_co_u32_e64 v29, s[6:7], v18, v27, s[6:7]
	v_cmp_gt_u64_e64 s[6:7], s[18:19], v[28:29]
	s_and_saveexec_b64 s[22:23], s[6:7]
	s_cbranch_execnz .LBB99_15
; %bb.11:                               ;   in Loop: Header=BB99_4 Depth=1
	s_or_b64 exec, exec, s[22:23]
	s_and_saveexec_b64 s[8:9], vcc
	s_cbranch_execnz .LBB99_16
.LBB99_12:                              ;   in Loop: Header=BB99_4 Depth=1
	s_or_b64 exec, exec, s[8:9]
	s_and_saveexec_b64 s[8:9], s[0:1]
	s_cbranch_execnz .LBB99_17
.LBB99_13:                              ;   in Loop: Header=BB99_4 Depth=1
	s_or_b64 exec, exec, s[8:9]
	s_and_saveexec_b64 s[0:1], s[2:3]
	s_cbranch_execnz .LBB99_18
.LBB99_14:                              ;   in Loop: Header=BB99_4 Depth=1
	s_or_b64 exec, exec, s[0:1]
	s_and_saveexec_b64 s[0:1], s[6:7]
	s_cbranch_execz .LBB99_3
	s_branch .LBB99_19
.LBB99_15:                              ;   in Loop: Header=BB99_4 Depth=1
	v_mov_b32_e32 v24, s17
	v_add_co_u32_e64 v28, s[8:9], s16, v6
	v_addc_co_u32_e64 v29, s[8:9], v5, v24, s[8:9]
	global_load_ushort v24, v[28:29], off
	s_or_b64 exec, exec, s[22:23]
	s_and_saveexec_b64 s[8:9], vcc
	s_cbranch_execz .LBB99_12
.LBB99_16:                              ;   in Loop: Header=BB99_4 Depth=1
	v_mov_b32_e32 v27, s17
	v_add_co_u32_e32 v28, vcc, s16, v4
	s_waitcnt vmcnt(0)
	v_subrev_u16_e32 v23, s24, v23
	v_addc_co_u32_e32 v29, vcc, v3, v27, vcc
	global_store_short v[28:29], v23, off
	s_or_b64 exec, exec, s[8:9]
	s_and_saveexec_b64 s[8:9], s[0:1]
	s_cbranch_execz .LBB99_13
.LBB99_17:                              ;   in Loop: Header=BB99_4 Depth=1
	s_waitcnt vmcnt(0)
	v_subrev_u16_e32 v23, s24, v25
	v_mov_b32_e32 v25, s17
	v_add_co_u32_e32 v28, vcc, s16, v16
	v_addc_co_u32_e32 v29, vcc, v15, v25, vcc
	global_store_short v[28:29], v23, off
	s_or_b64 exec, exec, s[8:9]
	s_and_saveexec_b64 s[0:1], s[2:3]
	s_cbranch_execz .LBB99_14
.LBB99_18:                              ;   in Loop: Header=BB99_4 Depth=1
	s_waitcnt vmcnt(0)
	v_subrev_u16_e32 v23, s24, v26
	v_mov_b32_e32 v25, s17
	v_add_co_u32_e32 v26, vcc, s16, v12
	v_addc_co_u32_e32 v27, vcc, v11, v25, vcc
	global_store_short v[26:27], v23, off
	s_or_b64 exec, exec, s[0:1]
	s_and_saveexec_b64 s[0:1], s[6:7]
	s_cbranch_execz .LBB99_3
.LBB99_19:                              ;   in Loop: Header=BB99_4 Depth=1
	s_waitcnt vmcnt(0)
	v_subrev_u16_e32 v23, s24, v24
	v_mov_b32_e32 v25, s17
	v_add_co_u32_e32 v24, vcc, s16, v8
	v_addc_co_u32_e32 v25, vcc, v7, v25, vcc
	global_store_short v[24:25], v23, off
	s_branch .LBB99_3
.LBB99_20:
	s_mov_b64 s[0:1], 0
.LBB99_21:
	s_andn2_b64 vcc, exec, s[0:1]
	s_cbranch_vccnz .LBB99_25
; %bb.22:
	v_mov_b32_e32 v3, 0
	v_lshlrev_b32_e32 v2, 2, v0
	s_mov_b32 s0, 0
	v_cmp_gt_i64_e32 vcc, s[14:15], v[2:3]
	s_and_saveexec_b64 s[2:3], vcc
	s_cbranch_execz .LBB99_25
; %bb.23:
	s_load_dword s1, s[4:5], 0xc5c
	v_lshlrev_b32_e32 v1, 3, v0
	v_mov_b32_e32 v2, s17
	v_add_co_u32_e32 v4, vcc, s16, v1
	s_waitcnt lgkmcnt(0)
	s_and_b32 s1, s1, 0xffff
	v_addc_co_u32_e32 v1, vcc, 0, v2, vcc
	s_lshl_b32 s8, s1, 3
	v_add_lshl_u32 v2, v0, s1, 2
	s_lshl_b32 s9, s1, 2
	s_mov_b64 s[4:5], 0
	v_mov_b32_e32 v0, s11
	v_mov_b32_e32 v5, s13
	s_mov_b64 s[6:7], 0xffff
	v_mov_b32_e32 v6, s0
	v_mov_b32_e32 v7, s0
.LBB99_24:                              ; =>This Inner Loop Header: Depth=1
	v_add_co_u32_e32 v8, vcc, s10, v4
	v_addc_co_u32_e32 v9, vcc, v0, v1, vcc
	global_load_dwordx2 v[8:9], v[8:9], off
	v_add_co_u32_e32 v10, vcc, s12, v4
	v_addc_co_u32_e32 v11, vcc, v5, v1, vcc
	v_cmp_le_i64_e32 vcc, s[14:15], v[2:3]
	v_cmp_lt_u64_e64 s[0:1], s[6:7], v[2:3]
	v_add_co_u32_e64 v4, s[2:3], s8, v4
	v_addc_co_u32_e64 v1, s[2:3], v1, v6, s[2:3]
	s_or_b64 s[0:1], vcc, s[0:1]
	v_add_co_u32_e64 v2, s[2:3], s9, v2
	s_and_b64 s[0:1], exec, s[0:1]
	v_addc_co_u32_e64 v3, s[2:3], v3, v7, s[2:3]
	s_or_b64 s[4:5], s[0:1], s[4:5]
	s_waitcnt vmcnt(0)
	v_sub_u16_sdwa v12, v8, s24 dst_sel:WORD_1 dst_unused:UNUSED_PAD src0_sel:WORD_1 src1_sel:DWORD
	v_sub_u16_sdwa v13, v9, s24 dst_sel:WORD_1 dst_unused:UNUSED_PAD src0_sel:WORD_1 src1_sel:DWORD
	v_subrev_u16_e32 v9, s24, v9
	v_subrev_u16_e32 v8, s24, v8
	v_or_b32_e32 v9, v13, v9
	v_or_b32_e32 v8, v12, v8
	global_store_dwordx2 v[10:11], v[8:9], off
	s_andn2_b64 exec, exec, s[4:5]
	s_cbranch_execnz .LBB99_24
.LBB99_25:
	s_endpgm
	.section	.rodata,"a",@progbits
	.p2align	6, 0x0
	.amdhsa_kernel _ZN2at6native12_GLOBAL__N_125multi_tensor_apply_kernelINS1_18TensorListMetadataILi2EEENS1_21BinaryOpScalarFunctorIsLi2ELi1ELi1EEEJSt5minusIsEsEEEvT_T0_DpT1_
		.amdhsa_group_segment_fixed_size 0
		.amdhsa_private_segment_fixed_size 0
		.amdhsa_kernarg_size 3408
		.amdhsa_user_sgpr_count 6
		.amdhsa_user_sgpr_private_segment_buffer 1
		.amdhsa_user_sgpr_dispatch_ptr 0
		.amdhsa_user_sgpr_queue_ptr 0
		.amdhsa_user_sgpr_kernarg_segment_ptr 1
		.amdhsa_user_sgpr_dispatch_id 0
		.amdhsa_user_sgpr_flat_scratch_init 0
		.amdhsa_user_sgpr_kernarg_preload_length 0
		.amdhsa_user_sgpr_kernarg_preload_offset 0
		.amdhsa_user_sgpr_private_segment_size 0
		.amdhsa_uses_dynamic_stack 0
		.amdhsa_system_sgpr_private_segment_wavefront_offset 0
		.amdhsa_system_sgpr_workgroup_id_x 1
		.amdhsa_system_sgpr_workgroup_id_y 0
		.amdhsa_system_sgpr_workgroup_id_z 0
		.amdhsa_system_sgpr_workgroup_info 0
		.amdhsa_system_vgpr_workitem_id 0
		.amdhsa_next_free_vgpr 30
		.amdhsa_next_free_sgpr 28
		.amdhsa_accum_offset 32
		.amdhsa_reserve_vcc 1
		.amdhsa_reserve_flat_scratch 0
		.amdhsa_float_round_mode_32 0
		.amdhsa_float_round_mode_16_64 0
		.amdhsa_float_denorm_mode_32 3
		.amdhsa_float_denorm_mode_16_64 3
		.amdhsa_dx10_clamp 1
		.amdhsa_ieee_mode 1
		.amdhsa_fp16_overflow 0
		.amdhsa_tg_split 0
		.amdhsa_exception_fp_ieee_invalid_op 0
		.amdhsa_exception_fp_denorm_src 0
		.amdhsa_exception_fp_ieee_div_zero 0
		.amdhsa_exception_fp_ieee_overflow 0
		.amdhsa_exception_fp_ieee_underflow 0
		.amdhsa_exception_fp_ieee_inexact 0
		.amdhsa_exception_int_div_zero 0
	.end_amdhsa_kernel
	.section	.text._ZN2at6native12_GLOBAL__N_125multi_tensor_apply_kernelINS1_18TensorListMetadataILi2EEENS1_21BinaryOpScalarFunctorIsLi2ELi1ELi1EEEJSt5minusIsEsEEEvT_T0_DpT1_,"axG",@progbits,_ZN2at6native12_GLOBAL__N_125multi_tensor_apply_kernelINS1_18TensorListMetadataILi2EEENS1_21BinaryOpScalarFunctorIsLi2ELi1ELi1EEEJSt5minusIsEsEEEvT_T0_DpT1_,comdat
.Lfunc_end99:
	.size	_ZN2at6native12_GLOBAL__N_125multi_tensor_apply_kernelINS1_18TensorListMetadataILi2EEENS1_21BinaryOpScalarFunctorIsLi2ELi1ELi1EEEJSt5minusIsEsEEEvT_T0_DpT1_, .Lfunc_end99-_ZN2at6native12_GLOBAL__N_125multi_tensor_apply_kernelINS1_18TensorListMetadataILi2EEENS1_21BinaryOpScalarFunctorIsLi2ELi1ELi1EEEJSt5minusIsEsEEEvT_T0_DpT1_
                                        ; -- End function
	.section	.AMDGPU.csdata,"",@progbits
; Kernel info:
; codeLenInByte = 1268
; NumSgprs: 32
; NumVgprs: 30
; NumAgprs: 0
; TotalNumVgprs: 30
; ScratchSize: 0
; MemoryBound: 0
; FloatMode: 240
; IeeeMode: 1
; LDSByteSize: 0 bytes/workgroup (compile time only)
; SGPRBlocks: 3
; VGPRBlocks: 3
; NumSGPRsForWavesPerEU: 32
; NumVGPRsForWavesPerEU: 30
; AccumOffset: 32
; Occupancy: 8
; WaveLimiterHint : 0
; COMPUTE_PGM_RSRC2:SCRATCH_EN: 0
; COMPUTE_PGM_RSRC2:USER_SGPR: 6
; COMPUTE_PGM_RSRC2:TRAP_HANDLER: 0
; COMPUTE_PGM_RSRC2:TGID_X_EN: 1
; COMPUTE_PGM_RSRC2:TGID_Y_EN: 0
; COMPUTE_PGM_RSRC2:TGID_Z_EN: 0
; COMPUTE_PGM_RSRC2:TIDIG_COMP_CNT: 0
; COMPUTE_PGM_RSRC3_GFX90A:ACCUM_OFFSET: 7
; COMPUTE_PGM_RSRC3_GFX90A:TG_SPLIT: 0
	.section	.text._ZN2at6native12_GLOBAL__N_125multi_tensor_apply_kernelINS1_18TensorListMetadataILi2EEENS1_21BinaryOpScalarFunctorIdLi2ELi1ELi1EEEJSt5minusIdEdEEEvT_T0_DpT1_,"axG",@progbits,_ZN2at6native12_GLOBAL__N_125multi_tensor_apply_kernelINS1_18TensorListMetadataILi2EEENS1_21BinaryOpScalarFunctorIdLi2ELi1ELi1EEEJSt5minusIdEdEEEvT_T0_DpT1_,comdat
	.globl	_ZN2at6native12_GLOBAL__N_125multi_tensor_apply_kernelINS1_18TensorListMetadataILi2EEENS1_21BinaryOpScalarFunctorIdLi2ELi1ELi1EEEJSt5minusIdEdEEEvT_T0_DpT1_ ; -- Begin function _ZN2at6native12_GLOBAL__N_125multi_tensor_apply_kernelINS1_18TensorListMetadataILi2EEENS1_21BinaryOpScalarFunctorIdLi2ELi1ELi1EEEJSt5minusIdEdEEEvT_T0_DpT1_
	.p2align	8
	.type	_ZN2at6native12_GLOBAL__N_125multi_tensor_apply_kernelINS1_18TensorListMetadataILi2EEENS1_21BinaryOpScalarFunctorIdLi2ELi1ELi1EEEJSt5minusIdEdEEEvT_T0_DpT1_,@function
_ZN2at6native12_GLOBAL__N_125multi_tensor_apply_kernelINS1_18TensorListMetadataILi2EEENS1_21BinaryOpScalarFunctorIdLi2ELi1ELi1EEEJSt5minusIdEdEEEvT_T0_DpT1_: ; @_ZN2at6native12_GLOBAL__N_125multi_tensor_apply_kernelINS1_18TensorListMetadataILi2EEENS1_21BinaryOpScalarFunctorIdLi2ELi1ELi1EEEJSt5minusIdEdEEEvT_T0_DpT1_
; %bb.0:
	v_mov_b32_e32 v1, s6
	global_load_ubyte v1, v1, s[4:5] offset:1536
	s_add_u32 s0, s4, s6
	s_mul_hi_u32 s1, s6, 3
	s_mul_i32 s6, s6, 3
	s_addc_u32 s2, s5, 0
	s_add_u32 s0, s0, s6
	s_addc_u32 s1, s2, s1
	s_load_dword s6, s[0:1], 0x740
	s_mov_b32 s9, 0
	s_mov_b32 s17, s9
	;; [unrolled: 1-line block ×3, first 2 shown]
	s_waitcnt lgkmcnt(0)
	s_ashr_i32 s7, s6, 31
	s_lshl_b64 s[14:15], s[6:7], 19
	s_waitcnt vmcnt(0)
	v_readfirstlane_b32 s0, v1
	s_lshl_b32 s8, s0, 3
	s_load_dwordx2 s[2:3], s[4:5], s8 offset:0x0
	s_load_dwordx2 s[10:11], s[4:5], 0xc50
	s_load_dwordx2 s[18:19], s[4:5], s8 offset:0x400
	s_load_dwordx2 s[0:1], s[4:5], s8 offset:0x200
	s_waitcnt lgkmcnt(0)
	s_add_u32 s22, s2, s14
	s_addc_u32 s23, s3, s15
	s_and_b32 s8, s22, 31
	s_add_u32 s24, s0, s14
	s_addc_u32 s25, s1, s15
	s_and_b32 s16, s18, 3
	s_and_b32 s12, s24, 31
	s_or_b64 s[8:9], s[8:9], s[16:17]
	s_or_b64 s[8:9], s[12:13], s[8:9]
	s_lshl_b64 s[6:7], s[6:7], 16
	s_sub_u32 s12, s18, s6
	s_subb_u32 s13, s19, s7
	s_cmp_eq_u64 s[8:9], 0
	s_mov_b64 s[6:7], -1
	s_cbranch_scc1 .LBB100_21
; %bb.1:
	v_cmp_lt_i64_e64 s[6:7], s[12:13], 1
	s_and_b64 vcc, exec, s[6:7]
	s_cbranch_vccnz .LBB100_20
; %bb.2:
	s_load_dword s6, s[4:5], 0xc64
	v_mov_b32_e32 v2, 0x10000
	v_mov_b32_e32 v3, 0
	v_cmp_lt_u64_e32 vcc, s[12:13], v[2:3]
	v_lshlrev_b32_e32 v10, 3, v0
	s_waitcnt lgkmcnt(0)
	s_and_b32 s8, s6, 0xffff
	s_and_b64 s[6:7], vcc, exec
	v_mov_b32_e32 v13, s3
	v_add_co_u32_e32 v2, vcc, s2, v10
	v_addc_co_u32_e32 v1, vcc, 0, v13, vcc
	v_mov_b32_e32 v11, 0
	v_mov_b32_e32 v15, s1
	v_add_co_u32_e32 v4, vcc, s0, v10
	v_addc_co_u32_e32 v3, vcc, 0, v15, vcc
	v_mad_u64_u32 v[8:9], s[6:7], s8, 24, v[10:11]
	v_add_co_u32_e32 v6, vcc, s2, v8
	v_addc_co_u32_e32 v5, vcc, v13, v9, vcc
	v_add_co_u32_e32 v8, vcc, s0, v8
	s_mul_i32 s18, s8, 3
	v_addc_co_u32_e32 v7, vcc, v15, v9, vcc
	s_cselect_b32 s17, s13, 0
	s_cselect_b32 s16, s12, 0x10000
	v_add_co_u32_e32 v17, vcc, s18, v0
	s_lshl_b32 s1, s8, 4
	v_addc_co_u32_e64 v26, s[6:7], 0, 0, vcc
	v_add_co_u32_e32 v11, vcc, s1, v10
	v_addc_co_u32_e64 v14, s[6:7], 0, 0, vcc
	v_add_co_u32_e32 v10, vcc, s2, v11
	v_addc_co_u32_e32 v9, vcc, v13, v14, vcc
	v_add_co_u32_e32 v12, vcc, s0, v11
	s_lshl_b32 s9, s8, 1
	v_addc_co_u32_e32 v11, vcc, v15, v14, vcc
	v_add_co_u32_e32 v27, vcc, s9, v0
	v_addc_co_u32_e64 v28, s[6:7], 0, 0, vcc
	v_add_co_u32_e32 v29, vcc, s8, v0
	v_lshlrev_b32_e32 v16, 3, v29
	v_addc_co_u32_e64 v30, s[6:7], 0, 0, vcc
	v_add_co_u32_e32 v14, vcc, s2, v16
	v_addc_co_u32_e32 v13, vcc, 0, v13, vcc
	v_add_co_u32_e32 v16, vcc, s0, v16
	s_mov_b32 s26, 0
	s_lshl_b32 s27, s8, 2
	s_lshl_b32 s28, s8, 5
	v_addc_co_u32_e32 v15, vcc, 0, v15, vcc
	s_mov_b64 s[18:19], 0
	s_branch .LBB100_4
.LBB100_3:                              ;   in Loop: Header=BB100_4 Depth=1
	s_or_b64 exec, exec, s[0:1]
	s_add_u32 s18, s18, s27
	s_addc_u32 s19, s19, 0
	s_waitcnt vmcnt(0)
	v_pk_mov_b32 v[18:19], s[12:13], s[12:13] op_sel:[0,1]
	v_cmp_lt_i64_e32 vcc, s[18:19], v[18:19]
	v_mov_b32_e32 v18, 0x10000
	v_mov_b32_e32 v19, 0
	v_cmp_lt_u64_e64 s[0:1], s[18:19], v[18:19]
	s_and_b64 s[0:1], vcc, s[0:1]
	v_mov_b32_e32 v18, s26
	v_add_co_u32_e32 v2, vcc, s28, v2
	v_addc_co_u32_e32 v1, vcc, v1, v18, vcc
	v_add_co_u32_e32 v4, vcc, s28, v4
	v_addc_co_u32_e32 v3, vcc, v3, v18, vcc
	;; [unrolled: 2-line block ×8, first 2 shown]
	s_and_b64 vcc, exec, s[0:1]
	s_cbranch_vccz .LBB100_20
.LBB100_4:                              ; =>This Inner Loop Header: Depth=1
	v_mov_b32_e32 v19, s19
	v_add_co_u32_e32 v18, vcc, s18, v0
	v_addc_co_u32_e32 v19, vcc, 0, v19, vcc
	v_cmp_gt_u64_e32 vcc, s[16:17], v[18:19]
	v_pk_mov_b32 v[18:19], 0, 0
	v_pk_mov_b32 v[20:21], v[18:19], v[18:19] op_sel:[0,1]
	s_and_saveexec_b64 s[2:3], vcc
	s_cbranch_execz .LBB100_6
; %bb.5:                                ;   in Loop: Header=BB100_4 Depth=1
	v_mov_b32_e32 v21, s15
	v_add_co_u32_e64 v20, s[0:1], s14, v2
	v_addc_co_u32_e64 v21, s[0:1], v1, v21, s[0:1]
	global_load_dwordx2 v[20:21], v[20:21], off
.LBB100_6:                              ;   in Loop: Header=BB100_4 Depth=1
	s_or_b64 exec, exec, s[2:3]
	v_mov_b32_e32 v23, s19
	v_add_co_u32_e64 v22, s[0:1], s18, v29
	v_addc_co_u32_e64 v23, s[0:1], v30, v23, s[0:1]
	v_cmp_gt_u64_e64 s[0:1], s[16:17], v[22:23]
	s_and_saveexec_b64 s[6:7], s[0:1]
	s_cbranch_execz .LBB100_8
; %bb.7:                                ;   in Loop: Header=BB100_4 Depth=1
	v_mov_b32_e32 v19, s15
	v_add_co_u32_e64 v18, s[2:3], s14, v14
	v_addc_co_u32_e64 v19, s[2:3], v13, v19, s[2:3]
	global_load_dwordx2 v[18:19], v[18:19], off
.LBB100_8:                              ;   in Loop: Header=BB100_4 Depth=1
	s_or_b64 exec, exec, s[6:7]
	v_mov_b32_e32 v23, s19
	v_add_co_u32_e64 v22, s[2:3], s18, v27
	v_addc_co_u32_e64 v23, s[2:3], v28, v23, s[2:3]
	v_cmp_gt_u64_e64 s[2:3], s[16:17], v[22:23]
	v_pk_mov_b32 v[22:23], 0, 0
	v_pk_mov_b32 v[24:25], v[22:23], v[22:23] op_sel:[0,1]
	s_and_saveexec_b64 s[8:9], s[2:3]
	s_cbranch_execz .LBB100_10
; %bb.9:                                ;   in Loop: Header=BB100_4 Depth=1
	v_mov_b32_e32 v25, s15
	v_add_co_u32_e64 v24, s[6:7], s14, v10
	v_addc_co_u32_e64 v25, s[6:7], v9, v25, s[6:7]
	global_load_dwordx2 v[24:25], v[24:25], off
.LBB100_10:                             ;   in Loop: Header=BB100_4 Depth=1
	s_or_b64 exec, exec, s[8:9]
	v_mov_b32_e32 v31, s19
	v_add_co_u32_e64 v32, s[6:7], s18, v17
	v_addc_co_u32_e64 v33, s[6:7], v26, v31, s[6:7]
	v_cmp_gt_u64_e64 s[6:7], s[16:17], v[32:33]
	s_and_saveexec_b64 s[20:21], s[6:7]
	s_cbranch_execnz .LBB100_15
; %bb.11:                               ;   in Loop: Header=BB100_4 Depth=1
	s_or_b64 exec, exec, s[20:21]
	s_and_saveexec_b64 s[8:9], vcc
	s_cbranch_execnz .LBB100_16
.LBB100_12:                             ;   in Loop: Header=BB100_4 Depth=1
	s_or_b64 exec, exec, s[8:9]
	s_and_saveexec_b64 s[8:9], s[0:1]
	s_cbranch_execnz .LBB100_17
.LBB100_13:                             ;   in Loop: Header=BB100_4 Depth=1
	s_or_b64 exec, exec, s[8:9]
	s_and_saveexec_b64 s[0:1], s[2:3]
	s_cbranch_execnz .LBB100_18
.LBB100_14:                             ;   in Loop: Header=BB100_4 Depth=1
	s_or_b64 exec, exec, s[0:1]
	s_and_saveexec_b64 s[0:1], s[6:7]
	s_cbranch_execz .LBB100_3
	s_branch .LBB100_19
.LBB100_15:                             ;   in Loop: Header=BB100_4 Depth=1
	v_mov_b32_e32 v23, s15
	v_add_co_u32_e64 v22, s[8:9], s14, v6
	v_addc_co_u32_e64 v23, s[8:9], v5, v23, s[8:9]
	global_load_dwordx2 v[22:23], v[22:23], off
	s_or_b64 exec, exec, s[20:21]
	s_and_saveexec_b64 s[8:9], vcc
	s_cbranch_execz .LBB100_12
.LBB100_16:                             ;   in Loop: Header=BB100_4 Depth=1
	v_mov_b32_e32 v31, s15
	v_add_co_u32_e32 v32, vcc, s14, v4
	s_waitcnt vmcnt(0)
	v_add_f64 v[20:21], v[20:21], -s[10:11]
	v_addc_co_u32_e32 v33, vcc, v3, v31, vcc
	global_store_dwordx2 v[32:33], v[20:21], off
	s_or_b64 exec, exec, s[8:9]
	s_and_saveexec_b64 s[8:9], s[0:1]
	s_cbranch_execz .LBB100_13
.LBB100_17:                             ;   in Loop: Header=BB100_4 Depth=1
	s_waitcnt vmcnt(0)
	v_mov_b32_e32 v21, s15
	v_add_co_u32_e32 v20, vcc, s14, v16
	v_add_f64 v[18:19], v[18:19], -s[10:11]
	v_addc_co_u32_e32 v21, vcc, v15, v21, vcc
	global_store_dwordx2 v[20:21], v[18:19], off
	s_or_b64 exec, exec, s[8:9]
	s_and_saveexec_b64 s[0:1], s[2:3]
	s_cbranch_execz .LBB100_14
.LBB100_18:                             ;   in Loop: Header=BB100_4 Depth=1
	s_waitcnt vmcnt(0)
	v_mov_b32_e32 v21, s15
	v_add_co_u32_e32 v20, vcc, s14, v12
	v_add_f64 v[18:19], v[24:25], -s[10:11]
	v_addc_co_u32_e32 v21, vcc, v11, v21, vcc
	global_store_dwordx2 v[20:21], v[18:19], off
	s_or_b64 exec, exec, s[0:1]
	s_and_saveexec_b64 s[0:1], s[6:7]
	s_cbranch_execz .LBB100_3
.LBB100_19:                             ;   in Loop: Header=BB100_4 Depth=1
	s_waitcnt vmcnt(0)
	v_mov_b32_e32 v21, s15
	v_add_co_u32_e32 v20, vcc, s14, v8
	v_add_f64 v[18:19], v[22:23], -s[10:11]
	v_addc_co_u32_e32 v21, vcc, v7, v21, vcc
	global_store_dwordx2 v[20:21], v[18:19], off
	s_branch .LBB100_3
.LBB100_20:
	s_mov_b64 s[6:7], 0
.LBB100_21:
	s_andn2_b64 vcc, exec, s[6:7]
	s_cbranch_vccnz .LBB100_25
; %bb.22:
	v_mov_b32_e32 v3, 0
	v_lshlrev_b32_e32 v2, 2, v0
	s_mov_b32 s0, 0
	v_cmp_gt_i64_e32 vcc, s[12:13], v[2:3]
	s_and_saveexec_b64 s[2:3], vcc
	s_cbranch_execz .LBB100_25
; %bb.23:
	s_load_dword s1, s[4:5], 0xc64
	v_lshlrev_b32_e32 v4, 5, v0
	s_mov_b64 s[4:5], 0
	s_mov_b64 s[6:7], 0xffff
	s_waitcnt lgkmcnt(0)
	s_and_b32 s1, s1, 0xffff
	v_add_lshl_u32 v2, v0, s1, 2
	s_lshl_b32 s8, s1, 2
	s_lshl_b32 s9, s1, 5
	v_mov_b32_e32 v0, s0
.LBB100_24:                             ; =>This Inner Loop Header: Depth=1
	v_mov_b32_e32 v1, s23
	v_add_co_u32_e32 v14, vcc, s22, v4
	v_addc_co_u32_e32 v15, vcc, 0, v1, vcc
	global_load_dwordx4 v[6:9], v[14:15], off
	global_load_dwordx4 v[10:13], v[14:15], off offset:16
	v_cmp_le_i64_e32 vcc, s[12:13], v[2:3]
	v_cmp_lt_u64_e64 s[0:1], s[6:7], v[2:3]
	s_or_b64 s[0:1], vcc, s[0:1]
	v_add_co_u32_e64 v2, s[2:3], s8, v2
	s_add_u32 s22, s22, s9
	v_addc_co_u32_e64 v3, s[2:3], v3, v0, s[2:3]
	s_addc_u32 s23, s23, 0
	v_add_co_u32_e64 v14, s[2:3], s24, v4
	s_add_u32 s24, s24, s9
	v_mov_b32_e32 v1, s25
	s_addc_u32 s25, s25, 0
	s_and_b64 s[0:1], exec, s[0:1]
	v_addc_co_u32_e64 v15, s[2:3], 0, v1, s[2:3]
	s_or_b64 s[4:5], s[0:1], s[4:5]
	s_waitcnt vmcnt(1)
	v_add_f64 v[6:7], v[6:7], -s[10:11]
	v_add_f64 v[8:9], v[8:9], -s[10:11]
	s_waitcnt vmcnt(0)
	v_add_f64 v[10:11], v[10:11], -s[10:11]
	v_add_f64 v[12:13], v[12:13], -s[10:11]
	global_store_dwordx4 v[14:15], v[6:9], off
	global_store_dwordx4 v[14:15], v[10:13], off offset:16
	s_andn2_b64 exec, exec, s[4:5]
	s_cbranch_execnz .LBB100_24
.LBB100_25:
	s_endpgm
	.section	.rodata,"a",@progbits
	.p2align	6, 0x0
	.amdhsa_kernel _ZN2at6native12_GLOBAL__N_125multi_tensor_apply_kernelINS1_18TensorListMetadataILi2EEENS1_21BinaryOpScalarFunctorIdLi2ELi1ELi1EEEJSt5minusIdEdEEEvT_T0_DpT1_
		.amdhsa_group_segment_fixed_size 0
		.amdhsa_private_segment_fixed_size 0
		.amdhsa_kernarg_size 3416
		.amdhsa_user_sgpr_count 6
		.amdhsa_user_sgpr_private_segment_buffer 1
		.amdhsa_user_sgpr_dispatch_ptr 0
		.amdhsa_user_sgpr_queue_ptr 0
		.amdhsa_user_sgpr_kernarg_segment_ptr 1
		.amdhsa_user_sgpr_dispatch_id 0
		.amdhsa_user_sgpr_flat_scratch_init 0
		.amdhsa_user_sgpr_kernarg_preload_length 0
		.amdhsa_user_sgpr_kernarg_preload_offset 0
		.amdhsa_user_sgpr_private_segment_size 0
		.amdhsa_uses_dynamic_stack 0
		.amdhsa_system_sgpr_private_segment_wavefront_offset 0
		.amdhsa_system_sgpr_workgroup_id_x 1
		.amdhsa_system_sgpr_workgroup_id_y 0
		.amdhsa_system_sgpr_workgroup_id_z 0
		.amdhsa_system_sgpr_workgroup_info 0
		.amdhsa_system_vgpr_workitem_id 0
		.amdhsa_next_free_vgpr 34
		.amdhsa_next_free_sgpr 29
		.amdhsa_accum_offset 36
		.amdhsa_reserve_vcc 1
		.amdhsa_reserve_flat_scratch 0
		.amdhsa_float_round_mode_32 0
		.amdhsa_float_round_mode_16_64 0
		.amdhsa_float_denorm_mode_32 3
		.amdhsa_float_denorm_mode_16_64 3
		.amdhsa_dx10_clamp 1
		.amdhsa_ieee_mode 1
		.amdhsa_fp16_overflow 0
		.amdhsa_tg_split 0
		.amdhsa_exception_fp_ieee_invalid_op 0
		.amdhsa_exception_fp_denorm_src 0
		.amdhsa_exception_fp_ieee_div_zero 0
		.amdhsa_exception_fp_ieee_overflow 0
		.amdhsa_exception_fp_ieee_underflow 0
		.amdhsa_exception_fp_ieee_inexact 0
		.amdhsa_exception_int_div_zero 0
	.end_amdhsa_kernel
	.section	.text._ZN2at6native12_GLOBAL__N_125multi_tensor_apply_kernelINS1_18TensorListMetadataILi2EEENS1_21BinaryOpScalarFunctorIdLi2ELi1ELi1EEEJSt5minusIdEdEEEvT_T0_DpT1_,"axG",@progbits,_ZN2at6native12_GLOBAL__N_125multi_tensor_apply_kernelINS1_18TensorListMetadataILi2EEENS1_21BinaryOpScalarFunctorIdLi2ELi1ELi1EEEJSt5minusIdEdEEEvT_T0_DpT1_,comdat
.Lfunc_end100:
	.size	_ZN2at6native12_GLOBAL__N_125multi_tensor_apply_kernelINS1_18TensorListMetadataILi2EEENS1_21BinaryOpScalarFunctorIdLi2ELi1ELi1EEEJSt5minusIdEdEEEvT_T0_DpT1_, .Lfunc_end100-_ZN2at6native12_GLOBAL__N_125multi_tensor_apply_kernelINS1_18TensorListMetadataILi2EEENS1_21BinaryOpScalarFunctorIdLi2ELi1ELi1EEEJSt5minusIdEdEEEvT_T0_DpT1_
                                        ; -- End function
	.section	.AMDGPU.csdata,"",@progbits
; Kernel info:
; codeLenInByte = 1328
; NumSgprs: 33
; NumVgprs: 34
; NumAgprs: 0
; TotalNumVgprs: 34
; ScratchSize: 0
; MemoryBound: 0
; FloatMode: 240
; IeeeMode: 1
; LDSByteSize: 0 bytes/workgroup (compile time only)
; SGPRBlocks: 4
; VGPRBlocks: 4
; NumSGPRsForWavesPerEU: 33
; NumVGPRsForWavesPerEU: 34
; AccumOffset: 36
; Occupancy: 8
; WaveLimiterHint : 0
; COMPUTE_PGM_RSRC2:SCRATCH_EN: 0
; COMPUTE_PGM_RSRC2:USER_SGPR: 6
; COMPUTE_PGM_RSRC2:TRAP_HANDLER: 0
; COMPUTE_PGM_RSRC2:TGID_X_EN: 1
; COMPUTE_PGM_RSRC2:TGID_Y_EN: 0
; COMPUTE_PGM_RSRC2:TGID_Z_EN: 0
; COMPUTE_PGM_RSRC2:TIDIG_COMP_CNT: 0
; COMPUTE_PGM_RSRC3_GFX90A:ACCUM_OFFSET: 8
; COMPUTE_PGM_RSRC3_GFX90A:TG_SPLIT: 0
	.section	.text._ZN2at6native12_GLOBAL__N_125multi_tensor_apply_kernelINS1_18TensorListMetadataILi2EEENS1_21BinaryOpScalarFunctorIfLi2ELi1ELi1EEEJSt5minusIfEfEEEvT_T0_DpT1_,"axG",@progbits,_ZN2at6native12_GLOBAL__N_125multi_tensor_apply_kernelINS1_18TensorListMetadataILi2EEENS1_21BinaryOpScalarFunctorIfLi2ELi1ELi1EEEJSt5minusIfEfEEEvT_T0_DpT1_,comdat
	.globl	_ZN2at6native12_GLOBAL__N_125multi_tensor_apply_kernelINS1_18TensorListMetadataILi2EEENS1_21BinaryOpScalarFunctorIfLi2ELi1ELi1EEEJSt5minusIfEfEEEvT_T0_DpT1_ ; -- Begin function _ZN2at6native12_GLOBAL__N_125multi_tensor_apply_kernelINS1_18TensorListMetadataILi2EEENS1_21BinaryOpScalarFunctorIfLi2ELi1ELi1EEEJSt5minusIfEfEEEvT_T0_DpT1_
	.p2align	8
	.type	_ZN2at6native12_GLOBAL__N_125multi_tensor_apply_kernelINS1_18TensorListMetadataILi2EEENS1_21BinaryOpScalarFunctorIfLi2ELi1ELi1EEEJSt5minusIfEfEEEvT_T0_DpT1_,@function
_ZN2at6native12_GLOBAL__N_125multi_tensor_apply_kernelINS1_18TensorListMetadataILi2EEENS1_21BinaryOpScalarFunctorIfLi2ELi1ELi1EEEJSt5minusIfEfEEEvT_T0_DpT1_: ; @_ZN2at6native12_GLOBAL__N_125multi_tensor_apply_kernelINS1_18TensorListMetadataILi2EEENS1_21BinaryOpScalarFunctorIfLi2ELi1ELi1EEEJSt5minusIfEfEEEvT_T0_DpT1_
; %bb.0:
	v_mov_b32_e32 v1, s6
	global_load_ubyte v1, v1, s[4:5] offset:1536
	s_add_u32 s0, s4, s6
	s_mul_hi_u32 s2, s6, 3
	s_mul_i32 s6, s6, 3
	s_addc_u32 s7, s5, 0
	s_add_u32 s6, s0, s6
	s_addc_u32 s7, s7, s2
	s_load_dword s6, s[6:7], 0x740
	s_mov_b32 s1, 0
	s_mov_b32 s17, s1
	;; [unrolled: 1-line block ×3, first 2 shown]
	s_waitcnt lgkmcnt(0)
	s_ashr_i32 s7, s6, 31
	s_lshl_b64 s[18:19], s[6:7], 18
	s_waitcnt vmcnt(0)
	v_readfirstlane_b32 s0, v1
	s_lshl_b32 s0, s0, 3
	s_load_dwordx2 s[10:11], s[4:5], s0 offset:0x0
	s_load_dword s12, s[4:5], 0xc4c
	s_load_dwordx2 s[8:9], s[4:5], s0 offset:0x400
	s_load_dwordx2 s[14:15], s[4:5], s0 offset:0x200
	s_waitcnt lgkmcnt(0)
	s_and_b32 s0, s10, 15
	s_and_b32 s16, s8, 3
	;; [unrolled: 1-line block ×3, first 2 shown]
	s_or_b64 s[0:1], s[0:1], s[16:17]
	s_or_b64 s[0:1], s[2:3], s[0:1]
	s_lshl_b64 s[2:3], s[6:7], 16
	s_sub_u32 s16, s8, s2
	s_subb_u32 s17, s9, s3
	s_cmp_eq_u64 s[0:1], 0
	s_mov_b64 s[0:1], -1
	s_cbranch_scc1 .LBB101_21
; %bb.1:
	v_cmp_lt_i64_e64 s[0:1], s[16:17], 1
	s_and_b64 vcc, exec, s[0:1]
	s_cbranch_vccnz .LBB101_20
; %bb.2:
	s_load_dword s0, s[4:5], 0xc5c
	v_mov_b32_e32 v2, 0x10000
	v_mov_b32_e32 v3, 0
	v_cmp_lt_u64_e32 vcc, s[16:17], v[2:3]
	v_lshlrev_b32_e32 v10, 2, v0
	s_waitcnt lgkmcnt(0)
	s_and_b32 s2, s0, 0xffff
	s_and_b64 s[0:1], vcc, exec
	v_mov_b32_e32 v13, s11
	v_add_co_u32_e32 v2, vcc, s10, v10
	v_addc_co_u32_e32 v1, vcc, 0, v13, vcc
	v_mov_b32_e32 v11, 0
	v_mov_b32_e32 v15, s15
	v_add_co_u32_e32 v4, vcc, s14, v10
	v_addc_co_u32_e32 v3, vcc, 0, v15, vcc
	v_mad_u64_u32 v[8:9], s[0:1], s2, 12, v[10:11]
	v_add_co_u32_e32 v6, vcc, s10, v8
	v_addc_co_u32_e32 v5, vcc, v13, v9, vcc
	v_add_co_u32_e32 v8, vcc, s14, v8
	s_mul_i32 s6, s2, 3
	v_addc_co_u32_e32 v7, vcc, v15, v9, vcc
	v_add_co_u32_e32 v17, vcc, s6, v0
	v_addc_co_u32_e64 v18, s[0:1], 0, 0, vcc
	s_cselect_b32 s21, s17, 0
	s_cselect_b32 s20, s16, 0x10000
	s_lshl_b32 s0, s2, 3
	v_add_co_u32_e32 v11, vcc, s0, v10
	v_addc_co_u32_e64 v14, s[0:1], 0, 0, vcc
	v_add_co_u32_e32 v10, vcc, s10, v11
	v_addc_co_u32_e32 v9, vcc, v13, v14, vcc
	v_add_co_u32_e32 v12, vcc, s14, v11
	s_lshl_b32 s3, s2, 1
	v_addc_co_u32_e32 v11, vcc, v15, v14, vcc
	v_add_co_u32_e32 v19, vcc, s3, v0
	v_addc_co_u32_e64 v20, s[0:1], 0, 0, vcc
	v_add_co_u32_e32 v21, vcc, s2, v0
	v_lshlrev_b32_e32 v16, 2, v21
	v_addc_co_u32_e64 v22, s[0:1], 0, 0, vcc
	v_add_co_u32_e32 v14, vcc, s10, v16
	v_addc_co_u32_e32 v13, vcc, 0, v13, vcc
	v_add_co_u32_e32 v16, vcc, s14, v16
	s_mov_b32 s13, 0
	s_lshl_b32 s26, s2, 2
	s_lshl_b32 s27, s2, 4
	v_addc_co_u32_e32 v15, vcc, 0, v15, vcc
	s_mov_b64 s[22:23], 0
	s_branch .LBB101_4
.LBB101_3:                              ;   in Loop: Header=BB101_4 Depth=1
	s_or_b64 exec, exec, s[0:1]
	s_add_u32 s22, s22, s26
	s_addc_u32 s23, s23, 0
	s_waitcnt vmcnt(0)
	v_pk_mov_b32 v[24:25], s[16:17], s[16:17] op_sel:[0,1]
	v_cmp_lt_i64_e32 vcc, s[22:23], v[24:25]
	v_mov_b32_e32 v24, 0x10000
	v_mov_b32_e32 v25, 0
	v_cmp_lt_u64_e64 s[0:1], s[22:23], v[24:25]
	s_and_b64 s[0:1], vcc, s[0:1]
	v_mov_b32_e32 v23, s13
	v_add_co_u32_e32 v2, vcc, s27, v2
	v_addc_co_u32_e32 v1, vcc, v1, v23, vcc
	v_add_co_u32_e32 v4, vcc, s27, v4
	v_addc_co_u32_e32 v3, vcc, v3, v23, vcc
	;; [unrolled: 2-line block ×8, first 2 shown]
	s_and_b64 vcc, exec, s[0:1]
	s_cbranch_vccz .LBB101_20
.LBB101_4:                              ; =>This Inner Loop Header: Depth=1
	v_mov_b32_e32 v23, s23
	v_add_co_u32_e32 v24, vcc, s22, v0
	v_addc_co_u32_e32 v25, vcc, 0, v23, vcc
	v_cmp_gt_u64_e32 vcc, s[20:21], v[24:25]
	v_mov_b32_e32 v23, 0
	s_and_saveexec_b64 s[2:3], vcc
	s_cbranch_execz .LBB101_6
; %bb.5:                                ;   in Loop: Header=BB101_4 Depth=1
	v_mov_b32_e32 v23, s19
	v_add_co_u32_e64 v24, s[0:1], s18, v2
	v_addc_co_u32_e64 v25, s[0:1], v1, v23, s[0:1]
	global_load_dword v23, v[24:25], off
.LBB101_6:                              ;   in Loop: Header=BB101_4 Depth=1
	s_or_b64 exec, exec, s[2:3]
	v_mov_b32_e32 v25, s23
	v_add_co_u32_e64 v24, s[0:1], s22, v21
	v_addc_co_u32_e64 v25, s[0:1], v22, v25, s[0:1]
	v_cmp_gt_u64_e64 s[0:1], s[20:21], v[24:25]
	v_mov_b32_e32 v25, 0
	s_and_saveexec_b64 s[6:7], s[0:1]
	s_cbranch_execz .LBB101_8
; %bb.7:                                ;   in Loop: Header=BB101_4 Depth=1
	v_mov_b32_e32 v25, s19
	v_add_co_u32_e64 v24, s[2:3], s18, v14
	v_addc_co_u32_e64 v25, s[2:3], v13, v25, s[2:3]
	global_load_dword v25, v[24:25], off
.LBB101_8:                              ;   in Loop: Header=BB101_4 Depth=1
	s_or_b64 exec, exec, s[6:7]
	v_mov_b32_e32 v24, s23
	v_add_co_u32_e64 v26, s[2:3], s22, v19
	v_addc_co_u32_e64 v27, s[2:3], v20, v24, s[2:3]
	v_cmp_gt_u64_e64 s[2:3], s[20:21], v[26:27]
	v_mov_b32_e32 v24, 0
	v_mov_b32_e32 v26, 0
	s_and_saveexec_b64 s[8:9], s[2:3]
	s_cbranch_execz .LBB101_10
; %bb.9:                                ;   in Loop: Header=BB101_4 Depth=1
	v_mov_b32_e32 v27, s19
	v_add_co_u32_e64 v26, s[6:7], s18, v10
	v_addc_co_u32_e64 v27, s[6:7], v9, v27, s[6:7]
	global_load_dword v26, v[26:27], off
.LBB101_10:                             ;   in Loop: Header=BB101_4 Depth=1
	s_or_b64 exec, exec, s[8:9]
	v_mov_b32_e32 v27, s23
	v_add_co_u32_e64 v28, s[6:7], s22, v17
	v_addc_co_u32_e64 v29, s[6:7], v18, v27, s[6:7]
	v_cmp_gt_u64_e64 s[6:7], s[20:21], v[28:29]
	s_and_saveexec_b64 s[24:25], s[6:7]
	s_cbranch_execnz .LBB101_15
; %bb.11:                               ;   in Loop: Header=BB101_4 Depth=1
	s_or_b64 exec, exec, s[24:25]
	s_and_saveexec_b64 s[8:9], vcc
	s_cbranch_execnz .LBB101_16
.LBB101_12:                             ;   in Loop: Header=BB101_4 Depth=1
	s_or_b64 exec, exec, s[8:9]
	s_and_saveexec_b64 s[8:9], s[0:1]
	s_cbranch_execnz .LBB101_17
.LBB101_13:                             ;   in Loop: Header=BB101_4 Depth=1
	s_or_b64 exec, exec, s[8:9]
	s_and_saveexec_b64 s[0:1], s[2:3]
	s_cbranch_execnz .LBB101_18
.LBB101_14:                             ;   in Loop: Header=BB101_4 Depth=1
	s_or_b64 exec, exec, s[0:1]
	s_and_saveexec_b64 s[0:1], s[6:7]
	s_cbranch_execz .LBB101_3
	s_branch .LBB101_19
.LBB101_15:                             ;   in Loop: Header=BB101_4 Depth=1
	v_mov_b32_e32 v24, s19
	v_add_co_u32_e64 v28, s[8:9], s18, v6
	v_addc_co_u32_e64 v29, s[8:9], v5, v24, s[8:9]
	global_load_dword v24, v[28:29], off
	s_or_b64 exec, exec, s[24:25]
	s_and_saveexec_b64 s[8:9], vcc
	s_cbranch_execz .LBB101_12
.LBB101_16:                             ;   in Loop: Header=BB101_4 Depth=1
	v_mov_b32_e32 v27, s19
	v_add_co_u32_e32 v28, vcc, s18, v4
	s_waitcnt vmcnt(0)
	v_subrev_f32_e32 v23, s12, v23
	v_addc_co_u32_e32 v29, vcc, v3, v27, vcc
	global_store_dword v[28:29], v23, off
	s_or_b64 exec, exec, s[8:9]
	s_and_saveexec_b64 s[8:9], s[0:1]
	s_cbranch_execz .LBB101_13
.LBB101_17:                             ;   in Loop: Header=BB101_4 Depth=1
	s_waitcnt vmcnt(0)
	v_subrev_f32_e32 v23, s12, v25
	v_mov_b32_e32 v25, s19
	v_add_co_u32_e32 v28, vcc, s18, v16
	v_addc_co_u32_e32 v29, vcc, v15, v25, vcc
	global_store_dword v[28:29], v23, off
	s_or_b64 exec, exec, s[8:9]
	s_and_saveexec_b64 s[0:1], s[2:3]
	s_cbranch_execz .LBB101_14
.LBB101_18:                             ;   in Loop: Header=BB101_4 Depth=1
	s_waitcnt vmcnt(0)
	v_subrev_f32_e32 v23, s12, v26
	v_mov_b32_e32 v25, s19
	v_add_co_u32_e32 v26, vcc, s18, v12
	v_addc_co_u32_e32 v27, vcc, v11, v25, vcc
	global_store_dword v[26:27], v23, off
	s_or_b64 exec, exec, s[0:1]
	s_and_saveexec_b64 s[0:1], s[6:7]
	s_cbranch_execz .LBB101_3
.LBB101_19:                             ;   in Loop: Header=BB101_4 Depth=1
	s_waitcnt vmcnt(0)
	v_subrev_f32_e32 v23, s12, v24
	v_mov_b32_e32 v25, s19
	v_add_co_u32_e32 v24, vcc, s18, v8
	v_addc_co_u32_e32 v25, vcc, v7, v25, vcc
	global_store_dword v[24:25], v23, off
	s_branch .LBB101_3
.LBB101_20:
	s_mov_b64 s[0:1], 0
.LBB101_21:
	s_andn2_b64 vcc, exec, s[0:1]
	s_cbranch_vccnz .LBB101_25
; %bb.22:
	v_mov_b32_e32 v3, 0
	v_lshlrev_b32_e32 v2, 2, v0
	s_mov_b32 s0, 0
	v_cmp_gt_i64_e32 vcc, s[16:17], v[2:3]
	s_and_saveexec_b64 s[2:3], vcc
	s_cbranch_execz .LBB101_25
; %bb.23:
	s_load_dword s1, s[4:5], 0xc5c
	v_lshlrev_b32_e32 v1, 4, v0
	v_mov_b32_e32 v4, s19
	s_mov_b32 s13, s12
	s_mov_b64 s[4:5], 0
	s_waitcnt lgkmcnt(0)
	s_and_b32 s1, s1, 0xffff
	v_add_lshl_u32 v2, v0, s1, 2
	v_add_co_u32_e32 v0, vcc, s18, v1
	v_addc_co_u32_e32 v1, vcc, 0, v4, vcc
	v_add_co_u32_e32 v0, vcc, 8, v0
	s_lshl_b32 s8, s1, 2
	v_addc_co_u32_e32 v1, vcc, 0, v1, vcc
	s_lshl_b32 s9, s1, 4
	v_mov_b32_e32 v4, s11
	v_mov_b32_e32 v5, s15
	s_mov_b64 s[6:7], 0xffff
	v_mov_b32_e32 v6, s0
	v_mov_b32_e32 v7, s0
.LBB101_24:                             ; =>This Inner Loop Header: Depth=1
	v_add_co_u32_e32 v8, vcc, s10, v0
	v_addc_co_u32_e32 v9, vcc, v4, v1, vcc
	global_load_dwordx4 v[8:11], v[8:9], off offset:-8
	v_add_co_u32_e32 v12, vcc, s14, v0
	v_addc_co_u32_e32 v13, vcc, v5, v1, vcc
	v_cmp_le_i64_e32 vcc, s[16:17], v[2:3]
	v_cmp_lt_u64_e64 s[0:1], s[6:7], v[2:3]
	v_add_co_u32_e64 v2, s[2:3], s8, v2
	v_addc_co_u32_e64 v3, s[2:3], v3, v6, s[2:3]
	s_or_b64 s[0:1], vcc, s[0:1]
	v_add_co_u32_e64 v0, s[2:3], s9, v0
	s_and_b64 s[0:1], exec, s[0:1]
	v_addc_co_u32_e64 v1, s[2:3], v1, v7, s[2:3]
	s_or_b64 s[4:5], s[0:1], s[4:5]
	s_waitcnt vmcnt(0)
	v_pk_add_f32 v[8:9], v[8:9], s[12:13] neg_lo:[0,1] neg_hi:[0,1]
	v_pk_add_f32 v[10:11], v[10:11], s[12:13] neg_lo:[0,1] neg_hi:[0,1]
	global_store_dwordx4 v[12:13], v[8:11], off offset:-8
	s_andn2_b64 exec, exec, s[4:5]
	s_cbranch_execnz .LBB101_24
.LBB101_25:
	s_endpgm
	.section	.rodata,"a",@progbits
	.p2align	6, 0x0
	.amdhsa_kernel _ZN2at6native12_GLOBAL__N_125multi_tensor_apply_kernelINS1_18TensorListMetadataILi2EEENS1_21BinaryOpScalarFunctorIfLi2ELi1ELi1EEEJSt5minusIfEfEEEvT_T0_DpT1_
		.amdhsa_group_segment_fixed_size 0
		.amdhsa_private_segment_fixed_size 0
		.amdhsa_kernarg_size 3408
		.amdhsa_user_sgpr_count 6
		.amdhsa_user_sgpr_private_segment_buffer 1
		.amdhsa_user_sgpr_dispatch_ptr 0
		.amdhsa_user_sgpr_queue_ptr 0
		.amdhsa_user_sgpr_kernarg_segment_ptr 1
		.amdhsa_user_sgpr_dispatch_id 0
		.amdhsa_user_sgpr_flat_scratch_init 0
		.amdhsa_user_sgpr_kernarg_preload_length 0
		.amdhsa_user_sgpr_kernarg_preload_offset 0
		.amdhsa_user_sgpr_private_segment_size 0
		.amdhsa_uses_dynamic_stack 0
		.amdhsa_system_sgpr_private_segment_wavefront_offset 0
		.amdhsa_system_sgpr_workgroup_id_x 1
		.amdhsa_system_sgpr_workgroup_id_y 0
		.amdhsa_system_sgpr_workgroup_id_z 0
		.amdhsa_system_sgpr_workgroup_info 0
		.amdhsa_system_vgpr_workitem_id 0
		.amdhsa_next_free_vgpr 30
		.amdhsa_next_free_sgpr 28
		.amdhsa_accum_offset 32
		.amdhsa_reserve_vcc 1
		.amdhsa_reserve_flat_scratch 0
		.amdhsa_float_round_mode_32 0
		.amdhsa_float_round_mode_16_64 0
		.amdhsa_float_denorm_mode_32 3
		.amdhsa_float_denorm_mode_16_64 3
		.amdhsa_dx10_clamp 1
		.amdhsa_ieee_mode 1
		.amdhsa_fp16_overflow 0
		.amdhsa_tg_split 0
		.amdhsa_exception_fp_ieee_invalid_op 0
		.amdhsa_exception_fp_denorm_src 0
		.amdhsa_exception_fp_ieee_div_zero 0
		.amdhsa_exception_fp_ieee_overflow 0
		.amdhsa_exception_fp_ieee_underflow 0
		.amdhsa_exception_fp_ieee_inexact 0
		.amdhsa_exception_int_div_zero 0
	.end_amdhsa_kernel
	.section	.text._ZN2at6native12_GLOBAL__N_125multi_tensor_apply_kernelINS1_18TensorListMetadataILi2EEENS1_21BinaryOpScalarFunctorIfLi2ELi1ELi1EEEJSt5minusIfEfEEEvT_T0_DpT1_,"axG",@progbits,_ZN2at6native12_GLOBAL__N_125multi_tensor_apply_kernelINS1_18TensorListMetadataILi2EEENS1_21BinaryOpScalarFunctorIfLi2ELi1ELi1EEEJSt5minusIfEfEEEvT_T0_DpT1_,comdat
.Lfunc_end101:
	.size	_ZN2at6native12_GLOBAL__N_125multi_tensor_apply_kernelINS1_18TensorListMetadataILi2EEENS1_21BinaryOpScalarFunctorIfLi2ELi1ELi1EEEJSt5minusIfEfEEEvT_T0_DpT1_, .Lfunc_end101-_ZN2at6native12_GLOBAL__N_125multi_tensor_apply_kernelINS1_18TensorListMetadataILi2EEENS1_21BinaryOpScalarFunctorIfLi2ELi1ELi1EEEJSt5minusIfEfEEEvT_T0_DpT1_
                                        ; -- End function
	.section	.AMDGPU.csdata,"",@progbits
; Kernel info:
; codeLenInByte = 1264
; NumSgprs: 32
; NumVgprs: 30
; NumAgprs: 0
; TotalNumVgprs: 30
; ScratchSize: 0
; MemoryBound: 0
; FloatMode: 240
; IeeeMode: 1
; LDSByteSize: 0 bytes/workgroup (compile time only)
; SGPRBlocks: 3
; VGPRBlocks: 3
; NumSGPRsForWavesPerEU: 32
; NumVGPRsForWavesPerEU: 30
; AccumOffset: 32
; Occupancy: 8
; WaveLimiterHint : 0
; COMPUTE_PGM_RSRC2:SCRATCH_EN: 0
; COMPUTE_PGM_RSRC2:USER_SGPR: 6
; COMPUTE_PGM_RSRC2:TRAP_HANDLER: 0
; COMPUTE_PGM_RSRC2:TGID_X_EN: 1
; COMPUTE_PGM_RSRC2:TGID_Y_EN: 0
; COMPUTE_PGM_RSRC2:TGID_Z_EN: 0
; COMPUTE_PGM_RSRC2:TIDIG_COMP_CNT: 0
; COMPUTE_PGM_RSRC3_GFX90A:ACCUM_OFFSET: 7
; COMPUTE_PGM_RSRC3_GFX90A:TG_SPLIT: 0
	.section	.text._ZN2at6native12_GLOBAL__N_125multi_tensor_apply_kernelINS1_18TensorListMetadataILi2EEENS1_21BinaryOpScalarFunctorIN3c107complexIdEELi2ELi1ELi1EEEJSt5minusIS8_ES8_EEEvT_T0_DpT1_,"axG",@progbits,_ZN2at6native12_GLOBAL__N_125multi_tensor_apply_kernelINS1_18TensorListMetadataILi2EEENS1_21BinaryOpScalarFunctorIN3c107complexIdEELi2ELi1ELi1EEEJSt5minusIS8_ES8_EEEvT_T0_DpT1_,comdat
	.globl	_ZN2at6native12_GLOBAL__N_125multi_tensor_apply_kernelINS1_18TensorListMetadataILi2EEENS1_21BinaryOpScalarFunctorIN3c107complexIdEELi2ELi1ELi1EEEJSt5minusIS8_ES8_EEEvT_T0_DpT1_ ; -- Begin function _ZN2at6native12_GLOBAL__N_125multi_tensor_apply_kernelINS1_18TensorListMetadataILi2EEENS1_21BinaryOpScalarFunctorIN3c107complexIdEELi2ELi1ELi1EEEJSt5minusIS8_ES8_EEEvT_T0_DpT1_
	.p2align	8
	.type	_ZN2at6native12_GLOBAL__N_125multi_tensor_apply_kernelINS1_18TensorListMetadataILi2EEENS1_21BinaryOpScalarFunctorIN3c107complexIdEELi2ELi1ELi1EEEJSt5minusIS8_ES8_EEEvT_T0_DpT1_,@function
_ZN2at6native12_GLOBAL__N_125multi_tensor_apply_kernelINS1_18TensorListMetadataILi2EEENS1_21BinaryOpScalarFunctorIN3c107complexIdEELi2ELi1ELi1EEEJSt5minusIS8_ES8_EEEvT_T0_DpT1_: ; @_ZN2at6native12_GLOBAL__N_125multi_tensor_apply_kernelINS1_18TensorListMetadataILi2EEENS1_21BinaryOpScalarFunctorIN3c107complexIdEELi2ELi1ELi1EEEJSt5minusIS8_ES8_EEEvT_T0_DpT1_
; %bb.0:
	v_mov_b32_e32 v1, s6
	global_load_ubyte v1, v1, s[4:5] offset:1536
	s_add_u32 s0, s4, s6
	s_mul_hi_u32 s1, s6, 3
	s_mul_i32 s6, s6, 3
	s_addc_u32 s2, s5, 0
	s_add_u32 s0, s0, s6
	s_addc_u32 s1, s2, s1
	s_load_dword s18, s[0:1], 0x740
	s_load_dwordx4 s[12:15], s[4:5], 0xc50
	s_mov_b32 s7, 0
	s_mov_b32 s9, s7
	;; [unrolled: 1-line block ×3, first 2 shown]
	s_waitcnt lgkmcnt(0)
	s_ashr_i32 s19, s18, 31
	s_lshl_b64 s[16:17], s[18:19], 20
	s_waitcnt vmcnt(0)
	v_readfirstlane_b32 s0, v1
	s_lshl_b32 s6, s0, 3
	s_load_dwordx2 s[2:3], s[4:5], s6 offset:0x0
	s_load_dwordx2 s[20:21], s[4:5], s6 offset:0x400
	;; [unrolled: 1-line block ×3, first 2 shown]
	s_waitcnt lgkmcnt(0)
	s_add_u32 s26, s2, s16
	s_addc_u32 s27, s3, s17
	s_add_u32 s28, s0, s16
	s_addc_u32 s29, s1, s17
	s_and_b32 s8, s26, 63
	s_and_b32 s10, s20, 3
	;; [unrolled: 1-line block ×3, first 2 shown]
	s_or_b64 s[8:9], s[8:9], s[10:11]
	s_or_b64 s[6:7], s[6:7], s[8:9]
	s_lshl_b64 s[8:9], s[18:19], 16
	s_sub_u32 s10, s20, s8
	s_subb_u32 s11, s21, s9
	s_cmp_eq_u64 s[6:7], 0
	s_mov_b64 s[6:7], -1
	s_cbranch_scc1 .LBB102_21
; %bb.1:
	v_cmp_lt_i64_e64 s[6:7], s[10:11], 1
	s_and_b64 vcc, exec, s[6:7]
	s_cbranch_vccnz .LBB102_20
; %bb.2:
	s_load_dword s6, s[4:5], 0xc6c
	v_mov_b32_e32 v2, 0x10000
	v_mov_b32_e32 v3, 0
	v_cmp_lt_u64_e32 vcc, s[10:11], v[2:3]
	v_lshl_or_b32 v2, v0, 4, 8
	s_waitcnt lgkmcnt(0)
	s_and_b32 s31, s6, 0xffff
	s_and_b64 s[6:7], vcc, exec
	v_mov_b32_e32 v6, s3
	v_add_co_u32_e32 v18, vcc, s2, v2
	v_addc_co_u32_e32 v19, vcc, 0, v6, vcc
	v_mov_b32_e32 v7, s1
	v_add_co_u32_e32 v20, vcc, s0, v2
	v_mov_b32_e32 v1, 0
	v_addc_co_u32_e32 v21, vcc, 0, v7, vcc
	v_add_lshl_u32 v8, v0, s31, 4
	v_mov_b32_e32 v3, v1
	v_add_co_u32_e32 v22, vcc, s0, v8
	v_addc_co_u32_e32 v23, vcc, 0, v7, vcc
	v_mad_u64_u32 v[4:5], s[6:7], s31, 48, v[2:3]
	v_add_co_u32_e32 v24, vcc, s2, v4
	v_addc_co_u32_e32 v25, vcc, v6, v5, vcc
	v_add_co_u32_e32 v26, vcc, s2, v8
	v_addc_co_u32_e32 v27, vcc, 0, v6, vcc
	v_add_co_u32_e32 v28, vcc, s0, v4
	s_cselect_b32 s19, s11, 0
	s_cselect_b32 s18, s10, 0x10000
	v_addc_co_u32_e32 v29, vcc, v7, v5, vcc
	s_lshl_b32 s1, s31, 5
	v_add_co_u32_e32 v2, vcc, s1, v2
	v_addc_co_u32_e64 v3, s[6:7], 0, 0, vcc
	v_add_co_u32_e32 v30, vcc, s2, v2
	s_mov_b32 s30, 0
	v_addc_co_u32_e32 v31, vcc, v6, v3, vcc
	s_lshl_b32 s20, s31, 2
	s_mov_b32 s21, s30
	v_add_co_u32_e32 v32, vcc, s0, v2
	s_lshl_b32 s33, s31, 1
	s_mov_b32 s34, s30
	s_mul_i32 s35, s31, 3
	s_mov_b32 s36, s30
	s_lshl_b32 s37, s31, 6
	s_mov_b32 s38, s30
	v_addc_co_u32_e32 v33, vcc, v7, v3, vcc
	v_pk_mov_b32 v[34:35], v[0:1], v[0:1] op_sel:[0,1]
	s_mov_b64 s[22:23], s[20:21]
	s_branch .LBB102_4
.LBB102_3:                              ;   in Loop: Header=BB102_4 Depth=1
	s_or_b64 exec, exec, s[0:1]
	s_waitcnt vmcnt(0)
	v_pk_mov_b32 v[2:3], s[10:11], s[10:11] op_sel:[0,1]
	v_cmp_lt_i64_e32 vcc, s[22:23], v[2:3]
	v_mov_b32_e32 v2, 0x10000
	v_mov_b32_e32 v3, 0
	v_cmp_lt_u64_e64 s[0:1], s[22:23], v[2:3]
	s_and_b64 s[0:1], vcc, s[0:1]
	v_mov_b32_e32 v1, s21
	v_add_co_u32_e32 v34, vcc, s20, v34
	v_addc_co_u32_e32 v35, vcc, v35, v1, vcc
	v_mov_b32_e32 v1, s38
	v_add_co_u32_e32 v18, vcc, s37, v18
	v_addc_co_u32_e32 v19, vcc, v19, v1, vcc
	v_add_co_u32_e32 v20, vcc, s37, v20
	v_addc_co_u32_e32 v21, vcc, v21, v1, vcc
	;; [unrolled: 2-line block ×7, first 2 shown]
	v_add_co_u32_e32 v32, vcc, s37, v32
	s_add_u32 s22, s22, s20
	v_addc_co_u32_e32 v33, vcc, v33, v1, vcc
	s_addc_u32 s23, s23, 0
	s_and_b64 vcc, exec, s[0:1]
	s_cbranch_vccz .LBB102_20
.LBB102_4:                              ; =>This Inner Loop Header: Depth=1
	v_pk_mov_b32 v[4:5], 0, 0
	v_cmp_gt_u64_e32 vcc, s[18:19], v[34:35]
	v_pk_mov_b32 v[8:9], v[4:5], v[4:5] op_sel:[0,1]
	v_pk_mov_b32 v[6:7], v[4:5], v[4:5] op_sel:[0,1]
	s_and_saveexec_b64 s[2:3], vcc
	s_cbranch_execz .LBB102_6
; %bb.5:                                ;   in Loop: Header=BB102_4 Depth=1
	v_mov_b32_e32 v1, s17
	v_add_co_u32_e64 v2, s[0:1], s16, v18
	v_addc_co_u32_e64 v3, s[0:1], v19, v1, s[0:1]
	global_load_dwordx4 v[6:9], v[2:3], off offset:-8
.LBB102_6:                              ;   in Loop: Header=BB102_4 Depth=1
	s_or_b64 exec, exec, s[2:3]
	v_mov_b32_e32 v1, s30
	v_add_co_u32_e64 v2, s[0:1], s31, v34
	v_addc_co_u32_e64 v3, s[0:1], v1, v35, s[0:1]
	v_cmp_gt_u64_e64 s[0:1], s[18:19], v[2:3]
	v_pk_mov_b32 v[2:3], v[4:5], v[4:5] op_sel:[0,1]
	s_and_saveexec_b64 s[6:7], s[0:1]
	s_cbranch_execz .LBB102_8
; %bb.7:                                ;   in Loop: Header=BB102_4 Depth=1
	v_mov_b32_e32 v1, s17
	v_add_co_u32_e64 v2, s[2:3], s16, v26
	v_addc_co_u32_e64 v3, s[2:3], v27, v1, s[2:3]
	global_load_dwordx4 v[2:5], v[2:3], off
.LBB102_8:                              ;   in Loop: Header=BB102_4 Depth=1
	s_or_b64 exec, exec, s[6:7]
	v_mov_b32_e32 v1, s34
	v_add_co_u32_e64 v10, s[2:3], s33, v34
	v_addc_co_u32_e64 v11, s[2:3], v1, v35, s[2:3]
	v_pk_mov_b32 v[12:13], 0, 0
	v_cmp_gt_u64_e64 s[2:3], s[18:19], v[10:11]
	v_pk_mov_b32 v[16:17], v[12:13], v[12:13] op_sel:[0,1]
	v_pk_mov_b32 v[14:15], v[12:13], v[12:13] op_sel:[0,1]
	s_and_saveexec_b64 s[8:9], s[2:3]
	s_cbranch_execz .LBB102_10
; %bb.9:                                ;   in Loop: Header=BB102_4 Depth=1
	v_mov_b32_e32 v1, s17
	v_add_co_u32_e64 v10, s[6:7], s16, v30
	v_addc_co_u32_e64 v11, s[6:7], v31, v1, s[6:7]
	global_load_dwordx4 v[14:17], v[10:11], off offset:-8
.LBB102_10:                             ;   in Loop: Header=BB102_4 Depth=1
	s_or_b64 exec, exec, s[8:9]
	v_mov_b32_e32 v1, s36
	v_add_co_u32_e64 v10, s[6:7], s35, v34
	v_addc_co_u32_e64 v11, s[6:7], v1, v35, s[6:7]
	v_cmp_gt_u64_e64 s[6:7], s[18:19], v[10:11]
	v_pk_mov_b32 v[10:11], v[12:13], v[12:13] op_sel:[0,1]
	s_and_saveexec_b64 s[24:25], s[6:7]
	s_cbranch_execnz .LBB102_15
; %bb.11:                               ;   in Loop: Header=BB102_4 Depth=1
	s_or_b64 exec, exec, s[24:25]
	s_and_saveexec_b64 s[8:9], vcc
	s_cbranch_execnz .LBB102_16
.LBB102_12:                             ;   in Loop: Header=BB102_4 Depth=1
	s_or_b64 exec, exec, s[8:9]
	s_and_saveexec_b64 s[8:9], s[0:1]
	s_cbranch_execnz .LBB102_17
.LBB102_13:                             ;   in Loop: Header=BB102_4 Depth=1
	s_or_b64 exec, exec, s[8:9]
	s_and_saveexec_b64 s[0:1], s[2:3]
	s_cbranch_execnz .LBB102_18
.LBB102_14:                             ;   in Loop: Header=BB102_4 Depth=1
	s_or_b64 exec, exec, s[0:1]
	s_and_saveexec_b64 s[0:1], s[6:7]
	s_cbranch_execz .LBB102_3
	s_branch .LBB102_19
.LBB102_15:                             ;   in Loop: Header=BB102_4 Depth=1
	v_mov_b32_e32 v1, s17
	v_add_co_u32_e64 v10, s[8:9], s16, v24
	v_addc_co_u32_e64 v11, s[8:9], v25, v1, s[8:9]
	global_load_dwordx4 v[10:13], v[10:11], off offset:-8
	s_or_b64 exec, exec, s[24:25]
	s_and_saveexec_b64 s[8:9], vcc
	s_cbranch_execz .LBB102_12
.LBB102_16:                             ;   in Loop: Header=BB102_4 Depth=1
	v_mov_b32_e32 v1, s17
	v_add_co_u32_e32 v36, vcc, s16, v20
	v_addc_co_u32_e32 v37, vcc, v21, v1, vcc
	s_waitcnt vmcnt(0)
	v_add_f64 v[6:7], v[6:7], -s[12:13]
	v_add_f64 v[8:9], v[8:9], -s[14:15]
	global_store_dwordx4 v[36:37], v[6:9], off offset:-8
	s_or_b64 exec, exec, s[8:9]
	s_and_saveexec_b64 s[8:9], s[0:1]
	s_cbranch_execz .LBB102_13
.LBB102_17:                             ;   in Loop: Header=BB102_4 Depth=1
	v_mov_b32_e32 v1, s17
	s_waitcnt vmcnt(0)
	v_add_co_u32_e32 v6, vcc, s16, v22
	v_add_f64 v[2:3], v[2:3], -s[12:13]
	v_add_f64 v[4:5], v[4:5], -s[14:15]
	v_addc_co_u32_e32 v7, vcc, v23, v1, vcc
	global_store_dwordx4 v[6:7], v[2:5], off
	s_or_b64 exec, exec, s[8:9]
	s_and_saveexec_b64 s[0:1], s[2:3]
	s_cbranch_execz .LBB102_14
.LBB102_18:                             ;   in Loop: Header=BB102_4 Depth=1
	v_mov_b32_e32 v1, s17
	s_waitcnt vmcnt(0)
	v_add_co_u32_e32 v6, vcc, s16, v32
	v_add_f64 v[2:3], v[14:15], -s[12:13]
	v_add_f64 v[4:5], v[16:17], -s[14:15]
	v_addc_co_u32_e32 v7, vcc, v33, v1, vcc
	global_store_dwordx4 v[6:7], v[2:5], off offset:-8
	s_or_b64 exec, exec, s[0:1]
	s_and_saveexec_b64 s[0:1], s[6:7]
	s_cbranch_execz .LBB102_3
.LBB102_19:                             ;   in Loop: Header=BB102_4 Depth=1
	v_mov_b32_e32 v1, s17
	s_waitcnt vmcnt(0)
	v_add_co_u32_e32 v6, vcc, s16, v28
	v_add_f64 v[2:3], v[10:11], -s[12:13]
	v_add_f64 v[4:5], v[12:13], -s[14:15]
	v_addc_co_u32_e32 v7, vcc, v29, v1, vcc
	global_store_dwordx4 v[6:7], v[2:5], off offset:-8
	s_branch .LBB102_3
.LBB102_20:
	s_mov_b64 s[6:7], 0
.LBB102_21:
	s_andn2_b64 vcc, exec, s[6:7]
	s_cbranch_vccnz .LBB102_25
; %bb.22:
	v_mov_b32_e32 v3, 0
	v_lshlrev_b32_e32 v2, 2, v0
	s_mov_b32 s0, 0
	v_cmp_gt_i64_e32 vcc, s[10:11], v[2:3]
	s_and_saveexec_b64 s[2:3], vcc
	s_cbranch_execz .LBB102_25
; %bb.23:
	s_load_dword s1, s[4:5], 0xc6c
	v_lshlrev_b32_e32 v4, 6, v0
	s_mov_b64 s[4:5], 0
	s_mov_b64 s[6:7], 0xffff
	s_waitcnt lgkmcnt(0)
	s_and_b32 s1, s1, 0xffff
	v_add_lshl_u32 v2, v0, s1, 2
	s_lshl_b32 s8, s1, 2
	s_lshl_b32 s9, s1, 6
	v_mov_b32_e32 v0, s0
.LBB102_24:                             ; =>This Inner Loop Header: Depth=1
	v_mov_b32_e32 v1, s27
	v_add_co_u32_e32 v22, vcc, s26, v4
	v_addc_co_u32_e32 v23, vcc, 0, v1, vcc
	global_load_dwordx4 v[6:9], v[22:23], off
	global_load_dwordx4 v[10:13], v[22:23], off offset:16
	global_load_dwordx4 v[14:17], v[22:23], off offset:32
	global_load_dwordx4 v[18:21], v[22:23], off offset:48
	v_cmp_le_i64_e32 vcc, s[10:11], v[2:3]
	v_cmp_lt_u64_e64 s[0:1], s[6:7], v[2:3]
	s_or_b64 s[0:1], vcc, s[0:1]
	v_add_co_u32_e64 v2, s[2:3], s8, v2
	s_add_u32 s26, s26, s9
	v_addc_co_u32_e64 v3, s[2:3], v3, v0, s[2:3]
	s_addc_u32 s27, s27, 0
	v_add_co_u32_e64 v22, s[2:3], s28, v4
	s_add_u32 s28, s28, s9
	v_mov_b32_e32 v1, s29
	s_addc_u32 s29, s29, 0
	s_and_b64 s[0:1], exec, s[0:1]
	v_addc_co_u32_e64 v23, s[2:3], 0, v1, s[2:3]
	s_or_b64 s[4:5], s[0:1], s[4:5]
	s_waitcnt vmcnt(3)
	v_add_f64 v[6:7], v[6:7], -s[12:13]
	v_add_f64 v[8:9], v[8:9], -s[14:15]
	s_waitcnt vmcnt(2)
	v_add_f64 v[10:11], v[10:11], -s[12:13]
	v_add_f64 v[12:13], v[12:13], -s[14:15]
	;; [unrolled: 3-line block ×4, first 2 shown]
	global_store_dwordx4 v[22:23], v[6:9], off
	global_store_dwordx4 v[22:23], v[10:13], off offset:16
	global_store_dwordx4 v[22:23], v[14:17], off offset:32
	;; [unrolled: 1-line block ×3, first 2 shown]
	s_andn2_b64 exec, exec, s[4:5]
	s_cbranch_execnz .LBB102_24
.LBB102_25:
	s_endpgm
	.section	.rodata,"a",@progbits
	.p2align	6, 0x0
	.amdhsa_kernel _ZN2at6native12_GLOBAL__N_125multi_tensor_apply_kernelINS1_18TensorListMetadataILi2EEENS1_21BinaryOpScalarFunctorIN3c107complexIdEELi2ELi1ELi1EEEJSt5minusIS8_ES8_EEEvT_T0_DpT1_
		.amdhsa_group_segment_fixed_size 0
		.amdhsa_private_segment_fixed_size 0
		.amdhsa_kernarg_size 3424
		.amdhsa_user_sgpr_count 6
		.amdhsa_user_sgpr_private_segment_buffer 1
		.amdhsa_user_sgpr_dispatch_ptr 0
		.amdhsa_user_sgpr_queue_ptr 0
		.amdhsa_user_sgpr_kernarg_segment_ptr 1
		.amdhsa_user_sgpr_dispatch_id 0
		.amdhsa_user_sgpr_flat_scratch_init 0
		.amdhsa_user_sgpr_kernarg_preload_length 0
		.amdhsa_user_sgpr_kernarg_preload_offset 0
		.amdhsa_user_sgpr_private_segment_size 0
		.amdhsa_uses_dynamic_stack 0
		.amdhsa_system_sgpr_private_segment_wavefront_offset 0
		.amdhsa_system_sgpr_workgroup_id_x 1
		.amdhsa_system_sgpr_workgroup_id_y 0
		.amdhsa_system_sgpr_workgroup_id_z 0
		.amdhsa_system_sgpr_workgroup_info 0
		.amdhsa_system_vgpr_workitem_id 0
		.amdhsa_next_free_vgpr 38
		.amdhsa_next_free_sgpr 39
		.amdhsa_accum_offset 40
		.amdhsa_reserve_vcc 1
		.amdhsa_reserve_flat_scratch 0
		.amdhsa_float_round_mode_32 0
		.amdhsa_float_round_mode_16_64 0
		.amdhsa_float_denorm_mode_32 3
		.amdhsa_float_denorm_mode_16_64 3
		.amdhsa_dx10_clamp 1
		.amdhsa_ieee_mode 1
		.amdhsa_fp16_overflow 0
		.amdhsa_tg_split 0
		.amdhsa_exception_fp_ieee_invalid_op 0
		.amdhsa_exception_fp_denorm_src 0
		.amdhsa_exception_fp_ieee_div_zero 0
		.amdhsa_exception_fp_ieee_overflow 0
		.amdhsa_exception_fp_ieee_underflow 0
		.amdhsa_exception_fp_ieee_inexact 0
		.amdhsa_exception_int_div_zero 0
	.end_amdhsa_kernel
	.section	.text._ZN2at6native12_GLOBAL__N_125multi_tensor_apply_kernelINS1_18TensorListMetadataILi2EEENS1_21BinaryOpScalarFunctorIN3c107complexIdEELi2ELi1ELi1EEEJSt5minusIS8_ES8_EEEvT_T0_DpT1_,"axG",@progbits,_ZN2at6native12_GLOBAL__N_125multi_tensor_apply_kernelINS1_18TensorListMetadataILi2EEENS1_21BinaryOpScalarFunctorIN3c107complexIdEELi2ELi1ELi1EEEJSt5minusIS8_ES8_EEEvT_T0_DpT1_,comdat
.Lfunc_end102:
	.size	_ZN2at6native12_GLOBAL__N_125multi_tensor_apply_kernelINS1_18TensorListMetadataILi2EEENS1_21BinaryOpScalarFunctorIN3c107complexIdEELi2ELi1ELi1EEEJSt5minusIS8_ES8_EEEvT_T0_DpT1_, .Lfunc_end102-_ZN2at6native12_GLOBAL__N_125multi_tensor_apply_kernelINS1_18TensorListMetadataILi2EEENS1_21BinaryOpScalarFunctorIN3c107complexIdEELi2ELi1ELi1EEEJSt5minusIS8_ES8_EEEvT_T0_DpT1_
                                        ; -- End function
	.section	.AMDGPU.csdata,"",@progbits
; Kernel info:
; codeLenInByte = 1464
; NumSgprs: 43
; NumVgprs: 38
; NumAgprs: 0
; TotalNumVgprs: 38
; ScratchSize: 0
; MemoryBound: 1
; FloatMode: 240
; IeeeMode: 1
; LDSByteSize: 0 bytes/workgroup (compile time only)
; SGPRBlocks: 5
; VGPRBlocks: 4
; NumSGPRsForWavesPerEU: 43
; NumVGPRsForWavesPerEU: 38
; AccumOffset: 40
; Occupancy: 8
; WaveLimiterHint : 0
; COMPUTE_PGM_RSRC2:SCRATCH_EN: 0
; COMPUTE_PGM_RSRC2:USER_SGPR: 6
; COMPUTE_PGM_RSRC2:TRAP_HANDLER: 0
; COMPUTE_PGM_RSRC2:TGID_X_EN: 1
; COMPUTE_PGM_RSRC2:TGID_Y_EN: 0
; COMPUTE_PGM_RSRC2:TGID_Z_EN: 0
; COMPUTE_PGM_RSRC2:TIDIG_COMP_CNT: 0
; COMPUTE_PGM_RSRC3_GFX90A:ACCUM_OFFSET: 9
; COMPUTE_PGM_RSRC3_GFX90A:TG_SPLIT: 0
	.section	.text._ZN2at6native12_GLOBAL__N_125multi_tensor_apply_kernelINS1_18TensorListMetadataILi2EEENS1_21BinaryOpScalarFunctorIN3c107complexIfEELi2ELi1ELi1EEEJSt5minusIS8_ES8_EEEvT_T0_DpT1_,"axG",@progbits,_ZN2at6native12_GLOBAL__N_125multi_tensor_apply_kernelINS1_18TensorListMetadataILi2EEENS1_21BinaryOpScalarFunctorIN3c107complexIfEELi2ELi1ELi1EEEJSt5minusIS8_ES8_EEEvT_T0_DpT1_,comdat
	.globl	_ZN2at6native12_GLOBAL__N_125multi_tensor_apply_kernelINS1_18TensorListMetadataILi2EEENS1_21BinaryOpScalarFunctorIN3c107complexIfEELi2ELi1ELi1EEEJSt5minusIS8_ES8_EEEvT_T0_DpT1_ ; -- Begin function _ZN2at6native12_GLOBAL__N_125multi_tensor_apply_kernelINS1_18TensorListMetadataILi2EEENS1_21BinaryOpScalarFunctorIN3c107complexIfEELi2ELi1ELi1EEEJSt5minusIS8_ES8_EEEvT_T0_DpT1_
	.p2align	8
	.type	_ZN2at6native12_GLOBAL__N_125multi_tensor_apply_kernelINS1_18TensorListMetadataILi2EEENS1_21BinaryOpScalarFunctorIN3c107complexIfEELi2ELi1ELi1EEEJSt5minusIS8_ES8_EEEvT_T0_DpT1_,@function
_ZN2at6native12_GLOBAL__N_125multi_tensor_apply_kernelINS1_18TensorListMetadataILi2EEENS1_21BinaryOpScalarFunctorIN3c107complexIfEELi2ELi1ELi1EEEJSt5minusIS8_ES8_EEEvT_T0_DpT1_: ; @_ZN2at6native12_GLOBAL__N_125multi_tensor_apply_kernelINS1_18TensorListMetadataILi2EEENS1_21BinaryOpScalarFunctorIN3c107complexIfEELi2ELi1ELi1EEEJSt5minusIS8_ES8_EEEvT_T0_DpT1_
; %bb.0:
	v_mov_b32_e32 v1, s8
	global_load_ubyte v1, v1, s[6:7] offset:1536
	s_load_dwordx2 s[0:1], s[4:5], 0x4
	v_and_b32_e32 v2, 0x3ff, v0
	s_mul_hi_u32 s2, s8, 3
	s_mul_i32 s3, s8, 3
	v_bfe_u32 v3, v0, 10, 10
	s_waitcnt lgkmcnt(0)
	s_lshr_b32 s0, s0, 16
	s_add_u32 s4, s6, s8
	s_mul_i32 s0, s0, s1
	s_addc_u32 s8, s7, 0
	v_mul_lo_u32 v4, s0, v2
	s_add_u32 s0, s4, s3
	v_mad_u32_u24 v3, v3, s1, v4
	s_addc_u32 s1, s8, s2
	s_load_dword s16, s[0:1], 0x740
	s_mov_b32 s11, 0
	s_mov_b32 s5, s11
	;; [unrolled: 1-line block ×3, first 2 shown]
	v_bfe_u32 v0, v0, 20, 10
	s_waitcnt lgkmcnt(0)
	s_ashr_i32 s17, s16, 31
	s_lshl_b64 s[12:13], s[16:17], 19
	v_add_lshl_u32 v4, v3, v0, 3
	s_waitcnt vmcnt(0)
	v_readfirstlane_b32 s0, v1
	s_lshl_b32 s4, s0, 3
	s_load_dwordx2 s[2:3], s[6:7], s4 offset:0x0
	s_load_dwordx2 s[8:9], s[6:7], 0xc50
	s_load_dwordx2 s[18:19], s[6:7], s4 offset:0x400
	s_load_dwordx2 s[0:1], s[6:7], s4 offset:0x200
	s_waitcnt lgkmcnt(0)
	s_add_u32 s20, s2, s12
	s_addc_u32 s21, s3, s13
	s_add_u32 s22, s0, s12
	s_addc_u32 s23, s1, s13
	s_and_b32 s4, s20, 31
	s_and_b32 s14, s18, 3
	;; [unrolled: 1-line block ×3, first 2 shown]
	s_or_b64 s[4:5], s[4:5], s[14:15]
	s_or_b64 s[4:5], s[10:11], s[4:5]
	s_lshl_b64 s[10:11], s[16:17], 16
	s_sub_u32 s10, s18, s10
	s_subb_u32 s11, s19, s11
	s_cmp_eq_u64 s[4:5], 0
	s_mov_b64 s[4:5], -1
	s_cbranch_scc1 .LBB103_19
; %bb.1:
	v_cmp_lt_i64_e64 s[4:5], s[10:11], 1
	s_and_b64 vcc, exec, s[4:5]
	s_cbranch_vccnz .LBB103_18
; %bb.2:
	s_load_dword s4, s[6:7], 0xc64
	v_mov_b32_e32 v6, 0x10000
	v_mov_b32_e32 v7, 0
	v_cmp_lt_u64_e32 vcc, s[10:11], v[6:7]
	v_lshlrev_b32_e32 v14, 3, v2
	s_waitcnt lgkmcnt(0)
	s_and_b32 s16, s4, 0xffff
	s_and_b64 s[4:5], vcc, exec
	v_mov_b32_e32 v1, s3
	v_add_co_u32_e32 v6, vcc, s2, v14
	v_mov_b32_e32 v0, 0
	v_addc_co_u32_e32 v5, vcc, 0, v1, vcc
	s_mov_b64 s[4:5], src_shared_base
	v_mov_b32_e32 v15, v0
	v_mov_b32_e32 v19, s1
	v_add_co_u32_e32 v8, vcc, s0, v14
	v_mov_b32_e32 v3, s5
	v_addc_co_u32_e32 v7, vcc, 0, v19, vcc
	v_mad_u64_u32 v[12:13], s[4:5], s16, 24, v[14:15]
	v_add_co_u32_e32 v10, vcc, s2, v12
	v_addc_co_u32_e32 v9, vcc, v1, v13, vcc
	v_add_co_u32_e32 v12, vcc, s0, v12
	s_mul_i32 s18, s16, 3
	v_addc_co_u32_e32 v11, vcc, v19, v13, vcc
	s_cselect_b32 s15, s11, 0
	s_cselect_b32 s14, s10, 0x10000
	v_add_co_u32_e32 v21, vcc, s18, v2
	s_lshl_b32 s1, s16, 4
	v_addc_co_u32_e64 v30, s[4:5], 0, 0, vcc
	v_add_co_u32_e32 v15, vcc, s1, v14
	v_addc_co_u32_e64 v17, s[4:5], 0, 0, vcc
	v_add_co_u32_e32 v14, vcc, s2, v15
	v_addc_co_u32_e32 v13, vcc, v1, v17, vcc
	v_add_co_u32_e32 v16, vcc, s0, v15
	s_lshl_b32 s17, s16, 1
	v_addc_co_u32_e32 v15, vcc, v19, v17, vcc
	v_add_co_u32_e32 v31, vcc, s17, v2
	v_addc_co_u32_e64 v32, s[4:5], 0, 0, vcc
	v_add_co_u32_e32 v33, vcc, s16, v2
	v_lshlrev_b32_e32 v20, 3, v33
	v_addc_co_u32_e64 v34, s[4:5], 0, 0, vcc
	v_add_co_u32_e32 v18, vcc, s2, v20
	v_addc_co_u32_e32 v17, vcc, 0, v1, vcc
	v_add_co_u32_e32 v20, vcc, s0, v20
	s_mov_b32 s24, 0
	s_lshl_b32 s25, s16, 2
	s_lshl_b32 s26, s16, 5
	v_addc_co_u32_e32 v19, vcc, 0, v19, vcc
	s_mov_b64 s[16:17], 0
	s_branch .LBB103_4
.LBB103_3:                              ;   in Loop: Header=BB103_4 Depth=1
	s_or_b64 exec, exec, s[0:1]
	s_add_u32 s16, s16, s25
	s_addc_u32 s17, s17, 0
	v_pk_mov_b32 v[22:23], s[10:11], s[10:11] op_sel:[0,1]
	v_cmp_ge_i64_e32 vcc, s[16:17], v[22:23]
	v_mov_b32_e32 v22, 0xffff
	v_mov_b32_e32 v23, 0
	v_cmp_gt_u64_e64 s[0:1], s[16:17], v[22:23]
	s_or_b64 s[0:1], vcc, s[0:1]
	v_mov_b32_e32 v1, s24
	v_add_co_u32_e32 v6, vcc, s26, v6
	v_addc_co_u32_e32 v5, vcc, v5, v1, vcc
	v_add_co_u32_e32 v8, vcc, s26, v8
	v_addc_co_u32_e32 v7, vcc, v7, v1, vcc
	;; [unrolled: 2-line block ×8, first 2 shown]
	s_and_b64 vcc, exec, s[0:1]
	s_cbranch_vccnz .LBB103_18
.LBB103_4:                              ; =>This Inner Loop Header: Depth=1
	v_mov_b32_e32 v1, s17
	v_add_co_u32_e32 v22, vcc, s16, v2
	v_addc_co_u32_e32 v23, vcc, 0, v1, vcc
	v_cmp_gt_u64_e32 vcc, s[14:15], v[22:23]
	v_mov_b32_e32 v24, 0
	v_mov_b32_e32 v25, 0
	s_and_saveexec_b64 s[2:3], vcc
	s_cbranch_execz .LBB103_6
; %bb.5:                                ;   in Loop: Header=BB103_4 Depth=1
	v_mov_b32_e32 v1, s13
	v_add_co_u32_e64 v22, s[0:1], s12, v6
	v_addc_co_u32_e64 v23, s[0:1], v5, v1, s[0:1]
	global_load_dwordx2 v[24:25], v[22:23], off
.LBB103_6:                              ;   in Loop: Header=BB103_4 Depth=1
	s_or_b64 exec, exec, s[2:3]
	v_mov_b32_e32 v1, s17
	v_add_co_u32_e64 v22, s[0:1], s16, v33
	v_addc_co_u32_e64 v23, s[0:1], v34, v1, s[0:1]
	v_cmp_gt_u64_e64 s[0:1], s[14:15], v[22:23]
	v_mov_b32_e32 v22, 0
	v_mov_b32_e32 v26, 0
	;; [unrolled: 1-line block ×3, first 2 shown]
	s_and_saveexec_b64 s[4:5], s[0:1]
	s_cbranch_execz .LBB103_8
; %bb.7:                                ;   in Loop: Header=BB103_4 Depth=1
	v_mov_b32_e32 v1, s13
	v_add_co_u32_e64 v26, s[2:3], s12, v18
	v_addc_co_u32_e64 v27, s[2:3], v17, v1, s[2:3]
	global_load_dwordx2 v[26:27], v[26:27], off
.LBB103_8:                              ;   in Loop: Header=BB103_4 Depth=1
	s_or_b64 exec, exec, s[4:5]
	v_mov_b32_e32 v1, s17
	v_add_co_u32_e64 v28, s[2:3], s16, v31
	v_addc_co_u32_e64 v29, s[2:3], v32, v1, s[2:3]
	v_cmp_gt_u64_e64 s[2:3], s[14:15], v[28:29]
	v_mov_b32_e32 v23, 0
	s_and_saveexec_b64 s[18:19], s[2:3]
	s_cbranch_execz .LBB103_10
; %bb.9:                                ;   in Loop: Header=BB103_4 Depth=1
	v_mov_b32_e32 v1, s13
	v_add_co_u32_e64 v22, s[4:5], s12, v14
	v_addc_co_u32_e64 v23, s[4:5], v13, v1, s[4:5]
	global_load_dwordx2 v[22:23], v[22:23], off
.LBB103_10:                             ;   in Loop: Header=BB103_4 Depth=1
	s_or_b64 exec, exec, s[18:19]
	v_mov_b32_e32 v1, s17
	v_add_co_u32_e64 v28, s[4:5], s16, v21
	v_addc_co_u32_e64 v29, s[4:5], v30, v1, s[4:5]
	v_mov_b32_e32 v1, v0
	ds_write_b64 v4, v[0:1]
	v_mov_b32_e32 v1, s13
	v_add_co_u32_e64 v35, s[4:5], s12, v10
	v_addc_co_u32_e64 v1, s[4:5], v9, v1, s[4:5]
	v_cmp_gt_u64_e64 s[4:5], s[14:15], v[28:29]
	v_cndmask_b32_e64 v29, v3, v1, s[4:5]
	v_cndmask_b32_e64 v28, v4, v35, s[4:5]
	flat_load_dwordx2 v[28:29], v[28:29]
	s_waitcnt vmcnt(0) lgkmcnt(0)
	v_pk_add_f32 v[28:29], v[28:29], s[8:9] neg_lo:[0,1] neg_hi:[0,1]
	ds_write_b64 v4, v[28:29]
	s_and_saveexec_b64 s[18:19], vcc
	s_cbranch_execnz .LBB103_14
; %bb.11:                               ;   in Loop: Header=BB103_4 Depth=1
	s_or_b64 exec, exec, s[18:19]
	s_and_saveexec_b64 s[18:19], s[0:1]
	s_cbranch_execnz .LBB103_15
.LBB103_12:                             ;   in Loop: Header=BB103_4 Depth=1
	s_or_b64 exec, exec, s[18:19]
	s_and_saveexec_b64 s[0:1], s[2:3]
	s_cbranch_execnz .LBB103_16
.LBB103_13:                             ;   in Loop: Header=BB103_4 Depth=1
	s_or_b64 exec, exec, s[0:1]
	s_and_saveexec_b64 s[0:1], s[4:5]
	s_cbranch_execz .LBB103_3
	s_branch .LBB103_17
.LBB103_14:                             ;   in Loop: Header=BB103_4 Depth=1
	v_mov_b32_e32 v1, s13
	v_add_co_u32_e32 v36, vcc, s12, v8
	v_addc_co_u32_e32 v37, vcc, v7, v1, vcc
	v_pk_add_f32 v[24:25], v[24:25], s[8:9] neg_lo:[0,1] neg_hi:[0,1]
	global_store_dwordx2 v[36:37], v[24:25], off
	s_or_b64 exec, exec, s[18:19]
	s_and_saveexec_b64 s[18:19], s[0:1]
	s_cbranch_execz .LBB103_12
.LBB103_15:                             ;   in Loop: Header=BB103_4 Depth=1
	v_pk_add_f32 v[24:25], v[26:27], s[8:9] neg_lo:[0,1] neg_hi:[0,1]
	v_mov_b32_e32 v1, s13
	v_add_co_u32_e32 v26, vcc, s12, v20
	v_addc_co_u32_e32 v27, vcc, v19, v1, vcc
	global_store_dwordx2 v[26:27], v[24:25], off
	s_or_b64 exec, exec, s[18:19]
	s_and_saveexec_b64 s[0:1], s[2:3]
	s_cbranch_execz .LBB103_13
.LBB103_16:                             ;   in Loop: Header=BB103_4 Depth=1
	v_mov_b32_e32 v1, s13
	v_add_co_u32_e32 v24, vcc, s12, v16
	v_pk_add_f32 v[22:23], v[22:23], s[8:9] neg_lo:[0,1] neg_hi:[0,1]
	v_addc_co_u32_e32 v25, vcc, v15, v1, vcc
	global_store_dwordx2 v[24:25], v[22:23], off
	s_or_b64 exec, exec, s[0:1]
	s_and_saveexec_b64 s[0:1], s[4:5]
	s_cbranch_execz .LBB103_3
.LBB103_17:                             ;   in Loop: Header=BB103_4 Depth=1
	v_mov_b32_e32 v1, s13
	v_add_co_u32_e32 v22, vcc, s12, v12
	v_addc_co_u32_e32 v23, vcc, v11, v1, vcc
	global_store_dwordx2 v[22:23], v[28:29], off
	s_branch .LBB103_3
.LBB103_18:
	s_mov_b64 s[4:5], 0
.LBB103_19:
	s_andn2_b64 vcc, exec, s[4:5]
	s_cbranch_vccnz .LBB103_24
; %bb.20:
	v_mov_b32_e32 v7, 0
	v_lshlrev_b32_e32 v6, 2, v2
	s_mov_b32 s0, 0
	v_cmp_gt_i64_e32 vcc, s[10:11], v[6:7]
	s_and_saveexec_b64 s[2:3], vcc
	s_cbranch_execz .LBB103_24
; %bb.21:
	s_load_dword s1, s[6:7], 0xc64
	v_lshlrev_b32_e32 v8, 5, v2
	s_mov_b64 s[4:5], 0
	s_mov_b64 s[6:7], 0xffff
	v_mov_b32_e32 v5, s0
	s_waitcnt lgkmcnt(0)
	s_and_b32 s1, s1, 0xffff
	v_add_lshl_u32 v6, v2, s1, 2
	s_lshl_b32 s12, s1, 2
	s_lshl_b32 s13, s1, 5
.LBB103_22:                             ; =>This Inner Loop Header: Depth=1
	v_mov_b32_e32 v0, s21
	v_add_co_u32_e32 v14, vcc, s20, v8
	v_addc_co_u32_e32 v15, vcc, 0, v0, vcc
	global_load_dwordx4 v[0:3], v[14:15], off offset:16
	global_load_dwordx4 v[10:13], v[14:15], off
	v_cmp_le_i64_e32 vcc, s[10:11], v[6:7]
	v_cmp_lt_u64_e64 s[0:1], s[6:7], v[6:7]
	s_or_b64 s[0:1], vcc, s[0:1]
	v_add_co_u32_e64 v6, s[2:3], s12, v6
	s_add_u32 s20, s20, s13
	v_addc_co_u32_e64 v7, s[2:3], v7, v5, s[2:3]
	s_addc_u32 s21, s21, 0
	v_add_co_u32_e64 v14, s[2:3], s22, v8
	s_add_u32 s22, s22, s13
	v_mov_b32_e32 v9, s23
	s_addc_u32 s23, s23, 0
	s_and_b64 s[0:1], exec, s[0:1]
	v_addc_co_u32_e64 v15, s[2:3], 0, v9, s[2:3]
	s_or_b64 s[4:5], s[0:1], s[4:5]
	s_waitcnt vmcnt(1)
	v_pk_add_f32 v[2:3], v[2:3], s[8:9] neg_lo:[0,1] neg_hi:[0,1]
	s_waitcnt vmcnt(0)
	v_pk_add_f32 v[10:11], v[10:11], s[8:9] neg_lo:[0,1] neg_hi:[0,1]
	v_pk_add_f32 v[12:13], v[12:13], s[8:9] neg_lo:[0,1] neg_hi:[0,1]
	;; [unrolled: 1-line block ×3, first 2 shown]
	global_store_dwordx4 v[14:15], v[10:13], off
	global_store_dwordx4 v[14:15], v[0:3], off offset:16
	s_andn2_b64 exec, exec, s[4:5]
	s_cbranch_execnz .LBB103_22
; %bb.23:
	s_or_b64 exec, exec, s[4:5]
	ds_write_b64 v4, v[2:3]
.LBB103_24:
	s_endpgm
	.section	.rodata,"a",@progbits
	.p2align	6, 0x0
	.amdhsa_kernel _ZN2at6native12_GLOBAL__N_125multi_tensor_apply_kernelINS1_18TensorListMetadataILi2EEENS1_21BinaryOpScalarFunctorIN3c107complexIfEELi2ELi1ELi1EEEJSt5minusIS8_ES8_EEEvT_T0_DpT1_
		.amdhsa_group_segment_fixed_size 4096
		.amdhsa_private_segment_fixed_size 0
		.amdhsa_kernarg_size 3416
		.amdhsa_user_sgpr_count 8
		.amdhsa_user_sgpr_private_segment_buffer 1
		.amdhsa_user_sgpr_dispatch_ptr 1
		.amdhsa_user_sgpr_queue_ptr 0
		.amdhsa_user_sgpr_kernarg_segment_ptr 1
		.amdhsa_user_sgpr_dispatch_id 0
		.amdhsa_user_sgpr_flat_scratch_init 0
		.amdhsa_user_sgpr_kernarg_preload_length 0
		.amdhsa_user_sgpr_kernarg_preload_offset 0
		.amdhsa_user_sgpr_private_segment_size 0
		.amdhsa_uses_dynamic_stack 0
		.amdhsa_system_sgpr_private_segment_wavefront_offset 0
		.amdhsa_system_sgpr_workgroup_id_x 1
		.amdhsa_system_sgpr_workgroup_id_y 0
		.amdhsa_system_sgpr_workgroup_id_z 0
		.amdhsa_system_sgpr_workgroup_info 0
		.amdhsa_system_vgpr_workitem_id 2
		.amdhsa_next_free_vgpr 38
		.amdhsa_next_free_sgpr 27
		.amdhsa_accum_offset 40
		.amdhsa_reserve_vcc 1
		.amdhsa_reserve_flat_scratch 0
		.amdhsa_float_round_mode_32 0
		.amdhsa_float_round_mode_16_64 0
		.amdhsa_float_denorm_mode_32 3
		.amdhsa_float_denorm_mode_16_64 3
		.amdhsa_dx10_clamp 1
		.amdhsa_ieee_mode 1
		.amdhsa_fp16_overflow 0
		.amdhsa_tg_split 0
		.amdhsa_exception_fp_ieee_invalid_op 0
		.amdhsa_exception_fp_denorm_src 0
		.amdhsa_exception_fp_ieee_div_zero 0
		.amdhsa_exception_fp_ieee_overflow 0
		.amdhsa_exception_fp_ieee_underflow 0
		.amdhsa_exception_fp_ieee_inexact 0
		.amdhsa_exception_int_div_zero 0
	.end_amdhsa_kernel
	.section	.text._ZN2at6native12_GLOBAL__N_125multi_tensor_apply_kernelINS1_18TensorListMetadataILi2EEENS1_21BinaryOpScalarFunctorIN3c107complexIfEELi2ELi1ELi1EEEJSt5minusIS8_ES8_EEEvT_T0_DpT1_,"axG",@progbits,_ZN2at6native12_GLOBAL__N_125multi_tensor_apply_kernelINS1_18TensorListMetadataILi2EEENS1_21BinaryOpScalarFunctorIN3c107complexIfEELi2ELi1ELi1EEEJSt5minusIS8_ES8_EEEvT_T0_DpT1_,comdat
.Lfunc_end103:
	.size	_ZN2at6native12_GLOBAL__N_125multi_tensor_apply_kernelINS1_18TensorListMetadataILi2EEENS1_21BinaryOpScalarFunctorIN3c107complexIfEELi2ELi1ELi1EEEJSt5minusIS8_ES8_EEEvT_T0_DpT1_, .Lfunc_end103-_ZN2at6native12_GLOBAL__N_125multi_tensor_apply_kernelINS1_18TensorListMetadataILi2EEENS1_21BinaryOpScalarFunctorIN3c107complexIfEELi2ELi1ELi1EEEJSt5minusIS8_ES8_EEEvT_T0_DpT1_
                                        ; -- End function
	.section	.AMDGPU.csdata,"",@progbits
; Kernel info:
; codeLenInByte = 1408
; NumSgprs: 31
; NumVgprs: 38
; NumAgprs: 0
; TotalNumVgprs: 38
; ScratchSize: 0
; MemoryBound: 0
; FloatMode: 240
; IeeeMode: 1
; LDSByteSize: 4096 bytes/workgroup (compile time only)
; SGPRBlocks: 3
; VGPRBlocks: 4
; NumSGPRsForWavesPerEU: 31
; NumVGPRsForWavesPerEU: 38
; AccumOffset: 40
; Occupancy: 8
; WaveLimiterHint : 0
; COMPUTE_PGM_RSRC2:SCRATCH_EN: 0
; COMPUTE_PGM_RSRC2:USER_SGPR: 8
; COMPUTE_PGM_RSRC2:TRAP_HANDLER: 0
; COMPUTE_PGM_RSRC2:TGID_X_EN: 1
; COMPUTE_PGM_RSRC2:TGID_Y_EN: 0
; COMPUTE_PGM_RSRC2:TGID_Z_EN: 0
; COMPUTE_PGM_RSRC2:TIDIG_COMP_CNT: 2
; COMPUTE_PGM_RSRC3_GFX90A:ACCUM_OFFSET: 9
; COMPUTE_PGM_RSRC3_GFX90A:TG_SPLIT: 0
	.section	.text._ZN2at6native12_GLOBAL__N_125multi_tensor_apply_kernelINS1_18TensorListMetadataILi2EEENS1_21BinaryOpScalarFunctorIbLi2ELi1ELi1EEEJSt5minusIbEbEEEvT_T0_DpT1_,"axG",@progbits,_ZN2at6native12_GLOBAL__N_125multi_tensor_apply_kernelINS1_18TensorListMetadataILi2EEENS1_21BinaryOpScalarFunctorIbLi2ELi1ELi1EEEJSt5minusIbEbEEEvT_T0_DpT1_,comdat
	.globl	_ZN2at6native12_GLOBAL__N_125multi_tensor_apply_kernelINS1_18TensorListMetadataILi2EEENS1_21BinaryOpScalarFunctorIbLi2ELi1ELi1EEEJSt5minusIbEbEEEvT_T0_DpT1_ ; -- Begin function _ZN2at6native12_GLOBAL__N_125multi_tensor_apply_kernelINS1_18TensorListMetadataILi2EEENS1_21BinaryOpScalarFunctorIbLi2ELi1ELi1EEEJSt5minusIbEbEEEvT_T0_DpT1_
	.p2align	8
	.type	_ZN2at6native12_GLOBAL__N_125multi_tensor_apply_kernelINS1_18TensorListMetadataILi2EEENS1_21BinaryOpScalarFunctorIbLi2ELi1ELi1EEEJSt5minusIbEbEEEvT_T0_DpT1_,@function
_ZN2at6native12_GLOBAL__N_125multi_tensor_apply_kernelINS1_18TensorListMetadataILi2EEENS1_21BinaryOpScalarFunctorIbLi2ELi1ELi1EEEJSt5minusIbEbEEEvT_T0_DpT1_: ; @_ZN2at6native12_GLOBAL__N_125multi_tensor_apply_kernelINS1_18TensorListMetadataILi2EEENS1_21BinaryOpScalarFunctorIbLi2ELi1ELi1EEEJSt5minusIbEbEEEvT_T0_DpT1_
; %bb.0:
	v_mov_b32_e32 v1, s6
	global_load_ubyte v1, v1, s[4:5] offset:1536
	s_load_dword s0, s[4:5], 0xc48
	s_mul_i32 s2, s6, 3
	s_mul_hi_u32 s1, s6, 3
	s_waitcnt lgkmcnt(0)
	s_lshr_b32 s14, s0, 16
	s_add_u32 s0, s4, s6
	s_addc_u32 s3, s5, 0
	s_add_u32 s0, s0, s2
	s_addc_u32 s1, s3, s1
	s_load_dword s6, s[0:1], 0x740
	v_and_b32_e64 v4, s14, 1
	s_waitcnt vmcnt(0)
	v_readfirstlane_b32 s2, v1
	s_lshl_b32 s7, s2, 3
	s_load_dwordx2 s[0:1], s[4:5], s7 offset:0x0
	s_load_dwordx2 s[8:9], s[4:5], s7 offset:0x400
	;; [unrolled: 1-line block ×3, first 2 shown]
	s_waitcnt lgkmcnt(0)
	s_ashr_i32 s7, s6, 31
	s_lshl_b64 s[6:7], s[6:7], 16
	s_add_u32 s10, s0, s6
	s_addc_u32 s11, s1, s7
	s_add_u32 s20, s2, s6
	s_addc_u32 s21, s3, s7
	s_or_b64 s[12:13], s[8:9], s[10:11]
	s_or_b32 s12, s20, s12
	s_and_b32 s15, s12, 3
	s_sub_u32 s12, s8, s6
	s_subb_u32 s13, s9, s7
	s_cmp_eq_u32 s15, 0
	s_mov_b64 s[8:9], -1
	s_cbranch_scc1 .LBB104_21
; %bb.1:
	v_cmp_lt_i64_e64 s[8:9], s[12:13], 1
	s_and_b64 vcc, exec, s[8:9]
	s_cbranch_vccnz .LBB104_20
; %bb.2:
	s_load_dword s8, s[4:5], 0xc5c
	v_mov_b32_e32 v2, 0x10000
	v_mov_b32_e32 v3, 0
	v_cmp_lt_u64_e32 vcc, s[12:13], v[2:3]
	v_mov_b32_e32 v1, s7
	s_waitcnt lgkmcnt(0)
	s_and_b32 s16, s8, 0xffff
	s_and_b64 s[8:9], vcc, exec
	v_add_co_u32_e32 v2, vcc, s6, v0
	v_addc_co_u32_e32 v3, vcc, 0, v1, vcc
	v_mov_b32_e32 v21, s1
	v_add_co_u32_e32 v1, vcc, s0, v2
	s_cselect_b32 s15, s13, 0
	s_cselect_b32 s14, s12, 0x10000
	s_lshl_b32 s17, s16, 1
	s_mul_i32 s8, s16, 3
	s_lshl_b32 s22, s16, 2
	v_addc_co_u32_e32 v5, vcc, v21, v3, vcc
	v_mov_b32_e32 v23, s3
	v_add_co_u32_e32 v6, vcc, s2, v2
	s_add_u32 s1, s6, s8
	v_addc_co_u32_e32 v7, vcc, v23, v3, vcc
	s_addc_u32 s3, s7, 0
	v_mov_b32_e32 v8, s3
	v_add_co_u32_e32 v10, vcc, s1, v0
	v_addc_co_u32_e32 v11, vcc, 0, v8, vcc
	v_add_co_u32_e32 v8, vcc, s0, v10
	v_addc_co_u32_e32 v9, vcc, v21, v11, vcc
	;; [unrolled: 2-line block ×3, first 2 shown]
	s_add_u32 s1, s6, s17
	v_add_co_u32_e32 v12, vcc, s8, v0
	s_addc_u32 s3, s7, 0
	v_addc_co_u32_e64 v13, s[8:9], 0, 0, vcc
	v_mov_b32_e32 v14, s3
	v_add_co_u32_e32 v16, vcc, s1, v0
	v_addc_co_u32_e32 v17, vcc, 0, v14, vcc
	v_add_co_u32_e32 v14, vcc, s0, v16
	v_addc_co_u32_e32 v15, vcc, v21, v17, vcc
	;; [unrolled: 2-line block ×3, first 2 shown]
	v_add_co_u32_e32 v18, vcc, s17, v0
	v_addc_co_u32_e64 v19, s[6:7], 0, 0, vcc
	v_add_co_u32_e32 v2, vcc, s16, v2
	v_addc_co_u32_e32 v3, vcc, 0, v3, vcc
	v_add_co_u32_e32 v20, vcc, s0, v2
	v_addc_co_u32_e32 v21, vcc, v21, v3, vcc
	;; [unrolled: 2-line block ×3, first 2 shown]
	v_add_co_u32_e32 v24, vcc, s16, v0
	v_addc_co_u32_e64 v25, s[0:1], 0, 0, vcc
	s_mov_b64 s[16:17], 0
	v_pk_mov_b32 v[2:3], s[12:13], s[12:13] op_sel:[0,1]
	s_branch .LBB104_4
.LBB104_3:                              ;   in Loop: Header=BB104_4 Depth=1
	s_or_b64 exec, exec, s[0:1]
	s_add_u32 s16, s16, s22
	s_waitcnt vmcnt(0)
	v_mov_b32_e32 v26, 0x10000
	s_addc_u32 s17, s17, 0
	v_mov_b32_e32 v27, 0
	v_cmp_lt_i64_e32 vcc, s[16:17], v[2:3]
	v_cmp_lt_u64_e64 s[0:1], s[16:17], v[26:27]
	s_and_b64 s[0:1], vcc, s[0:1]
	s_and_b64 vcc, exec, s[0:1]
	s_cbranch_vccz .LBB104_20
.LBB104_4:                              ; =>This Inner Loop Header: Depth=1
	v_mov_b32_e32 v27, s17
	v_add_co_u32_e32 v26, vcc, s16, v0
	v_addc_co_u32_e32 v27, vcc, 0, v27, vcc
	v_cmp_gt_u64_e32 vcc, s[14:15], v[26:27]
	v_mov_b32_e32 v27, 0
	s_and_saveexec_b64 s[2:3], vcc
	s_cbranch_execz .LBB104_6
; %bb.5:                                ;   in Loop: Header=BB104_4 Depth=1
	v_mov_b32_e32 v27, s17
	v_add_co_u32_e64 v26, s[0:1], s16, v1
	v_addc_co_u32_e64 v27, s[0:1], v5, v27, s[0:1]
	global_load_ubyte v27, v[26:27], off
.LBB104_6:                              ;   in Loop: Header=BB104_4 Depth=1
	s_or_b64 exec, exec, s[2:3]
	v_mov_b32_e32 v26, s17
	v_add_co_u32_e64 v28, s[0:1], s16, v24
	v_addc_co_u32_e64 v29, s[0:1], v25, v26, s[0:1]
	v_cmp_gt_u64_e64 s[0:1], s[14:15], v[28:29]
	v_mov_b32_e32 v28, 0
	s_and_saveexec_b64 s[6:7], s[0:1]
	s_cbranch_execz .LBB104_8
; %bb.7:                                ;   in Loop: Header=BB104_4 Depth=1
	v_mov_b32_e32 v26, s17
	v_add_co_u32_e64 v28, s[2:3], s16, v20
	v_addc_co_u32_e64 v29, s[2:3], v21, v26, s[2:3]
	global_load_ubyte v28, v[28:29], off
.LBB104_8:                              ;   in Loop: Header=BB104_4 Depth=1
	s_or_b64 exec, exec, s[6:7]
	v_mov_b32_e32 v26, s17
	v_add_co_u32_e64 v30, s[2:3], s16, v18
	v_addc_co_u32_e64 v31, s[2:3], v19, v26, s[2:3]
	v_cmp_gt_u64_e64 s[2:3], s[14:15], v[30:31]
	v_mov_b32_e32 v26, 0
	v_mov_b32_e32 v29, 0
	s_and_saveexec_b64 s[8:9], s[2:3]
	s_cbranch_execz .LBB104_10
; %bb.9:                                ;   in Loop: Header=BB104_4 Depth=1
	v_mov_b32_e32 v29, s17
	v_add_co_u32_e64 v30, s[6:7], s16, v14
	v_addc_co_u32_e64 v31, s[6:7], v15, v29, s[6:7]
	global_load_ubyte v29, v[30:31], off
.LBB104_10:                             ;   in Loop: Header=BB104_4 Depth=1
	s_or_b64 exec, exec, s[8:9]
	v_mov_b32_e32 v31, s17
	v_add_co_u32_e64 v30, s[6:7], s16, v12
	v_addc_co_u32_e64 v31, s[6:7], v13, v31, s[6:7]
	v_cmp_gt_u64_e64 s[6:7], s[14:15], v[30:31]
	s_and_saveexec_b64 s[18:19], s[6:7]
	s_cbranch_execnz .LBB104_15
; %bb.11:                               ;   in Loop: Header=BB104_4 Depth=1
	s_or_b64 exec, exec, s[18:19]
	s_and_saveexec_b64 s[8:9], vcc
	s_cbranch_execnz .LBB104_16
.LBB104_12:                             ;   in Loop: Header=BB104_4 Depth=1
	s_or_b64 exec, exec, s[8:9]
	s_and_saveexec_b64 s[8:9], s[0:1]
	s_cbranch_execnz .LBB104_17
.LBB104_13:                             ;   in Loop: Header=BB104_4 Depth=1
	s_or_b64 exec, exec, s[8:9]
	s_and_saveexec_b64 s[0:1], s[2:3]
	s_cbranch_execnz .LBB104_18
.LBB104_14:                             ;   in Loop: Header=BB104_4 Depth=1
	s_or_b64 exec, exec, s[0:1]
	s_and_saveexec_b64 s[0:1], s[6:7]
	s_cbranch_execz .LBB104_3
	s_branch .LBB104_19
.LBB104_15:                             ;   in Loop: Header=BB104_4 Depth=1
	v_mov_b32_e32 v26, s17
	v_add_co_u32_e64 v30, s[8:9], s16, v8
	v_addc_co_u32_e64 v31, s[8:9], v9, v26, s[8:9]
	global_load_ubyte v26, v[30:31], off
	s_or_b64 exec, exec, s[18:19]
	s_and_saveexec_b64 s[8:9], vcc
	s_cbranch_execz .LBB104_12
.LBB104_16:                             ;   in Loop: Header=BB104_4 Depth=1
	s_waitcnt vmcnt(0)
	v_cmp_ne_u16_sdwa s[18:19], v27, v4 src0_sel:BYTE_0 src1_sel:DWORD
	v_mov_b32_e32 v31, s17
	v_add_co_u32_e32 v30, vcc, s16, v6
	v_cndmask_b32_e64 v27, 0, 1, s[18:19]
	v_addc_co_u32_e32 v31, vcc, v7, v31, vcc
	global_store_byte v[30:31], v27, off
	s_or_b64 exec, exec, s[8:9]
	s_and_saveexec_b64 s[8:9], s[0:1]
	s_cbranch_execz .LBB104_13
.LBB104_17:                             ;   in Loop: Header=BB104_4 Depth=1
	s_waitcnt vmcnt(0)
	v_cmp_ne_u16_sdwa s[0:1], v28, v4 src0_sel:BYTE_0 src1_sel:DWORD
	v_mov_b32_e32 v28, s17
	v_add_co_u32_e32 v30, vcc, s16, v22
	v_cndmask_b32_e64 v27, 0, 1, s[0:1]
	v_addc_co_u32_e32 v31, vcc, v23, v28, vcc
	global_store_byte v[30:31], v27, off
	s_or_b64 exec, exec, s[8:9]
	s_and_saveexec_b64 s[0:1], s[2:3]
	s_cbranch_execz .LBB104_14
.LBB104_18:                             ;   in Loop: Header=BB104_4 Depth=1
	s_waitcnt vmcnt(0)
	v_cmp_ne_u16_sdwa s[2:3], v29, v4 src0_sel:BYTE_0 src1_sel:DWORD
	v_mov_b32_e32 v29, s17
	v_add_co_u32_e32 v28, vcc, s16, v16
	v_cndmask_b32_e64 v27, 0, 1, s[2:3]
	v_addc_co_u32_e32 v29, vcc, v17, v29, vcc
	global_store_byte v[28:29], v27, off
	s_or_b64 exec, exec, s[0:1]
	s_and_saveexec_b64 s[0:1], s[6:7]
	s_cbranch_execz .LBB104_3
.LBB104_19:                             ;   in Loop: Header=BB104_4 Depth=1
	s_waitcnt vmcnt(0)
	v_cmp_ne_u16_sdwa s[2:3], v26, v4 src0_sel:BYTE_0 src1_sel:DWORD
	v_mov_b32_e32 v27, s17
	v_add_co_u32_e32 v26, vcc, s16, v10
	v_cndmask_b32_e64 v28, 0, 1, s[2:3]
	v_addc_co_u32_e32 v27, vcc, v11, v27, vcc
	global_store_byte v[26:27], v28, off
	s_branch .LBB104_3
.LBB104_20:
	s_mov_b64 s[8:9], 0
.LBB104_21:
	s_andn2_b64 vcc, exec, s[8:9]
	s_cbranch_vccnz .LBB104_25
; %bb.22:
	v_lshlrev_b32_e32 v0, 2, v0
	v_mov_b32_e32 v1, 0
	v_cmp_gt_i64_e32 vcc, s[12:13], v[0:1]
	s_and_saveexec_b64 s[0:1], vcc
	s_cbranch_execz .LBB104_25
; %bb.23:
	s_load_dword s0, s[4:5], 0xc5c
	s_mov_b32 s1, 0
	s_mov_b64 s[2:3], 0
	v_mov_b32_e32 v2, s11
	s_movk_i32 s6, 0xff
	s_waitcnt lgkmcnt(0)
	s_and_b32 s0, s0, 0xffff
	s_lshl_b32 s7, s0, 2
	v_mov_b32_e32 v3, s21
	v_mov_b32_e32 v5, s1
	s_mov_b64 s[4:5], 0xffff
.LBB104_24:                             ; =>This Inner Loop Header: Depth=1
	v_add_co_u32_e32 v6, vcc, s10, v0
	v_addc_co_u32_e32 v7, vcc, v2, v1, vcc
	global_load_dword v8, v[6:7], off
	v_add_co_u32_e32 v6, vcc, s20, v0
	v_addc_co_u32_e32 v7, vcc, v3, v1, vcc
	v_add_co_u32_e32 v0, vcc, s7, v0
	v_addc_co_u32_e32 v1, vcc, v5, v1, vcc
	v_cmp_le_i64_e32 vcc, s[12:13], v[0:1]
	v_cmp_lt_u64_e64 s[0:1], s[4:5], v[0:1]
	s_or_b64 s[0:1], vcc, s[0:1]
	s_and_b64 s[0:1], exec, s[0:1]
	s_or_b64 s[2:3], s[0:1], s[2:3]
	s_waitcnt vmcnt(0)
	v_cmp_ne_u16_sdwa s[0:1], v8, v4 src0_sel:BYTE_3 src1_sel:DWORD
	v_lshrrev_b32_e32 v9, 8, v8
	v_and_b32_sdwa v10, v8, s6 dst_sel:DWORD dst_unused:UNUSED_PAD src0_sel:WORD_1 src1_sel:DWORD
	v_cndmask_b32_e64 v11, 0, 1, s[0:1]
	v_cmp_ne_u16_sdwa s[0:1], v8, v4 src0_sel:BYTE_0 src1_sel:DWORD
	v_cndmask_b32_e64 v8, 0, 1, s[0:1]
	v_cmp_ne_u16_sdwa s[0:1], v9, v4 src0_sel:BYTE_0 src1_sel:DWORD
	v_cmp_ne_u16_e32 vcc, v10, v4
	v_cndmask_b32_e64 v9, 0, 1, s[0:1]
	v_cndmask_b32_e64 v10, 0, 1, vcc
	v_lshlrev_b32_e32 v11, 24, v11
	v_lshlrev_b32_e32 v9, 8, v9
	v_lshl_or_b32 v8, v10, 16, v8
	v_or3_b32 v8, v8, v11, v9
	global_store_dword v[6:7], v8, off
	s_andn2_b64 exec, exec, s[2:3]
	s_cbranch_execnz .LBB104_24
.LBB104_25:
	s_endpgm
	.section	.rodata,"a",@progbits
	.p2align	6, 0x0
	.amdhsa_kernel _ZN2at6native12_GLOBAL__N_125multi_tensor_apply_kernelINS1_18TensorListMetadataILi2EEENS1_21BinaryOpScalarFunctorIbLi2ELi1ELi1EEEJSt5minusIbEbEEEvT_T0_DpT1_
		.amdhsa_group_segment_fixed_size 0
		.amdhsa_private_segment_fixed_size 0
		.amdhsa_kernarg_size 3408
		.amdhsa_user_sgpr_count 6
		.amdhsa_user_sgpr_private_segment_buffer 1
		.amdhsa_user_sgpr_dispatch_ptr 0
		.amdhsa_user_sgpr_queue_ptr 0
		.amdhsa_user_sgpr_kernarg_segment_ptr 1
		.amdhsa_user_sgpr_dispatch_id 0
		.amdhsa_user_sgpr_flat_scratch_init 0
		.amdhsa_user_sgpr_kernarg_preload_length 0
		.amdhsa_user_sgpr_kernarg_preload_offset 0
		.amdhsa_user_sgpr_private_segment_size 0
		.amdhsa_uses_dynamic_stack 0
		.amdhsa_system_sgpr_private_segment_wavefront_offset 0
		.amdhsa_system_sgpr_workgroup_id_x 1
		.amdhsa_system_sgpr_workgroup_id_y 0
		.amdhsa_system_sgpr_workgroup_id_z 0
		.amdhsa_system_sgpr_workgroup_info 0
		.amdhsa_system_vgpr_workitem_id 0
		.amdhsa_next_free_vgpr 32
		.amdhsa_next_free_sgpr 23
		.amdhsa_accum_offset 32
		.amdhsa_reserve_vcc 1
		.amdhsa_reserve_flat_scratch 0
		.amdhsa_float_round_mode_32 0
		.amdhsa_float_round_mode_16_64 0
		.amdhsa_float_denorm_mode_32 3
		.amdhsa_float_denorm_mode_16_64 3
		.amdhsa_dx10_clamp 1
		.amdhsa_ieee_mode 1
		.amdhsa_fp16_overflow 0
		.amdhsa_tg_split 0
		.amdhsa_exception_fp_ieee_invalid_op 0
		.amdhsa_exception_fp_denorm_src 0
		.amdhsa_exception_fp_ieee_div_zero 0
		.amdhsa_exception_fp_ieee_overflow 0
		.amdhsa_exception_fp_ieee_underflow 0
		.amdhsa_exception_fp_ieee_inexact 0
		.amdhsa_exception_int_div_zero 0
	.end_amdhsa_kernel
	.section	.text._ZN2at6native12_GLOBAL__N_125multi_tensor_apply_kernelINS1_18TensorListMetadataILi2EEENS1_21BinaryOpScalarFunctorIbLi2ELi1ELi1EEEJSt5minusIbEbEEEvT_T0_DpT1_,"axG",@progbits,_ZN2at6native12_GLOBAL__N_125multi_tensor_apply_kernelINS1_18TensorListMetadataILi2EEENS1_21BinaryOpScalarFunctorIbLi2ELi1ELi1EEEJSt5minusIbEbEEEvT_T0_DpT1_,comdat
.Lfunc_end104:
	.size	_ZN2at6native12_GLOBAL__N_125multi_tensor_apply_kernelINS1_18TensorListMetadataILi2EEENS1_21BinaryOpScalarFunctorIbLi2ELi1ELi1EEEJSt5minusIbEbEEEvT_T0_DpT1_, .Lfunc_end104-_ZN2at6native12_GLOBAL__N_125multi_tensor_apply_kernelINS1_18TensorListMetadataILi2EEENS1_21BinaryOpScalarFunctorIbLi2ELi1ELi1EEEJSt5minusIbEbEEEvT_T0_DpT1_
                                        ; -- End function
	.section	.AMDGPU.csdata,"",@progbits
; Kernel info:
; codeLenInByte = 1280
; NumSgprs: 27
; NumVgprs: 32
; NumAgprs: 0
; TotalNumVgprs: 32
; ScratchSize: 0
; MemoryBound: 0
; FloatMode: 240
; IeeeMode: 1
; LDSByteSize: 0 bytes/workgroup (compile time only)
; SGPRBlocks: 3
; VGPRBlocks: 3
; NumSGPRsForWavesPerEU: 27
; NumVGPRsForWavesPerEU: 32
; AccumOffset: 32
; Occupancy: 8
; WaveLimiterHint : 0
; COMPUTE_PGM_RSRC2:SCRATCH_EN: 0
; COMPUTE_PGM_RSRC2:USER_SGPR: 6
; COMPUTE_PGM_RSRC2:TRAP_HANDLER: 0
; COMPUTE_PGM_RSRC2:TGID_X_EN: 1
; COMPUTE_PGM_RSRC2:TGID_Y_EN: 0
; COMPUTE_PGM_RSRC2:TGID_Z_EN: 0
; COMPUTE_PGM_RSRC2:TIDIG_COMP_CNT: 0
; COMPUTE_PGM_RSRC3_GFX90A:ACCUM_OFFSET: 7
; COMPUTE_PGM_RSRC3_GFX90A:TG_SPLIT: 0
	.section	.text._ZN2at6native12_GLOBAL__N_125multi_tensor_apply_kernelINS1_18TensorListMetadataILi2EEENS1_21BinaryOpScalarFunctorIN3c104HalfELi2ELi1ELi1EEEJSt5minusIfEfEEEvT_T0_DpT1_,"axG",@progbits,_ZN2at6native12_GLOBAL__N_125multi_tensor_apply_kernelINS1_18TensorListMetadataILi2EEENS1_21BinaryOpScalarFunctorIN3c104HalfELi2ELi1ELi1EEEJSt5minusIfEfEEEvT_T0_DpT1_,comdat
	.globl	_ZN2at6native12_GLOBAL__N_125multi_tensor_apply_kernelINS1_18TensorListMetadataILi2EEENS1_21BinaryOpScalarFunctorIN3c104HalfELi2ELi1ELi1EEEJSt5minusIfEfEEEvT_T0_DpT1_ ; -- Begin function _ZN2at6native12_GLOBAL__N_125multi_tensor_apply_kernelINS1_18TensorListMetadataILi2EEENS1_21BinaryOpScalarFunctorIN3c104HalfELi2ELi1ELi1EEEJSt5minusIfEfEEEvT_T0_DpT1_
	.p2align	8
	.type	_ZN2at6native12_GLOBAL__N_125multi_tensor_apply_kernelINS1_18TensorListMetadataILi2EEENS1_21BinaryOpScalarFunctorIN3c104HalfELi2ELi1ELi1EEEJSt5minusIfEfEEEvT_T0_DpT1_,@function
_ZN2at6native12_GLOBAL__N_125multi_tensor_apply_kernelINS1_18TensorListMetadataILi2EEENS1_21BinaryOpScalarFunctorIN3c104HalfELi2ELi1ELi1EEEJSt5minusIfEfEEEvT_T0_DpT1_: ; @_ZN2at6native12_GLOBAL__N_125multi_tensor_apply_kernelINS1_18TensorListMetadataILi2EEENS1_21BinaryOpScalarFunctorIN3c104HalfELi2ELi1ELi1EEEJSt5minusIfEfEEEvT_T0_DpT1_
; %bb.0:
	v_mov_b32_e32 v1, s6
	global_load_ubyte v1, v1, s[4:5] offset:1536
	s_add_u32 s0, s4, s6
	s_mul_hi_u32 s2, s6, 3
	s_mul_i32 s6, s6, 3
	s_addc_u32 s7, s5, 0
	s_add_u32 s6, s0, s6
	s_addc_u32 s7, s7, s2
	s_load_dword s6, s[6:7], 0x740
	s_mov_b32 s1, 0
	s_mov_b32 s15, s1
	;; [unrolled: 1-line block ×3, first 2 shown]
	s_waitcnt lgkmcnt(0)
	s_ashr_i32 s7, s6, 31
	s_lshl_b64 s[16:17], s[6:7], 17
	s_waitcnt vmcnt(0)
	v_readfirstlane_b32 s0, v1
	s_lshl_b32 s0, s0, 3
	s_load_dwordx2 s[10:11], s[4:5], s0 offset:0x0
	s_load_dword s24, s[4:5], 0xc4c
	s_load_dwordx2 s[8:9], s[4:5], s0 offset:0x400
	s_load_dwordx2 s[12:13], s[4:5], s0 offset:0x200
	s_waitcnt lgkmcnt(0)
	s_and_b32 s0, s10, 7
	s_and_b32 s14, s8, 3
	;; [unrolled: 1-line block ×3, first 2 shown]
	s_or_b64 s[0:1], s[0:1], s[14:15]
	s_or_b64 s[0:1], s[2:3], s[0:1]
	s_lshl_b64 s[2:3], s[6:7], 16
	s_sub_u32 s14, s8, s2
	s_subb_u32 s15, s9, s3
	s_cmp_eq_u64 s[0:1], 0
	s_mov_b64 s[0:1], -1
	s_cbranch_scc1 .LBB105_21
; %bb.1:
	v_cmp_lt_i64_e64 s[0:1], s[14:15], 1
	s_and_b64 vcc, exec, s[0:1]
	s_cbranch_vccnz .LBB105_20
; %bb.2:
	s_load_dword s0, s[4:5], 0xc5c
	v_mov_b32_e32 v2, 0x10000
	v_mov_b32_e32 v3, 0
	v_cmp_lt_u64_e32 vcc, s[14:15], v[2:3]
	v_lshlrev_b32_e32 v10, 1, v0
	s_waitcnt lgkmcnt(0)
	s_and_b32 s2, s0, 0xffff
	s_and_b64 s[0:1], vcc, exec
	v_mov_b32_e32 v13, s11
	v_add_co_u32_e32 v2, vcc, s10, v10
	v_addc_co_u32_e32 v1, vcc, 0, v13, vcc
	v_mov_b32_e32 v11, 0
	v_mov_b32_e32 v15, s13
	v_add_co_u32_e32 v4, vcc, s12, v10
	v_addc_co_u32_e32 v3, vcc, 0, v15, vcc
	v_mad_u64_u32 v[8:9], s[0:1], s2, 6, v[10:11]
	v_add_co_u32_e32 v6, vcc, s10, v8
	v_addc_co_u32_e32 v5, vcc, v13, v9, vcc
	v_add_co_u32_e32 v8, vcc, s12, v8
	s_mul_i32 s6, s2, 3
	v_addc_co_u32_e32 v7, vcc, v15, v9, vcc
	s_cselect_b32 s19, s15, 0
	s_cselect_b32 s18, s14, 0x10000
	s_lshl_b32 s26, s2, 2
	v_add_co_u32_e32 v17, vcc, s6, v0
	v_addc_co_u32_e64 v18, s[0:1], 0, 0, vcc
	v_add_co_u32_e32 v11, vcc, s26, v10
	v_addc_co_u32_e64 v14, s[0:1], 0, 0, vcc
	v_add_co_u32_e32 v10, vcc, s10, v11
	v_addc_co_u32_e32 v9, vcc, v13, v14, vcc
	v_add_co_u32_e32 v12, vcc, s12, v11
	s_lshl_b32 s3, s2, 1
	v_addc_co_u32_e32 v11, vcc, v15, v14, vcc
	v_add_co_u32_e32 v19, vcc, s3, v0
	v_addc_co_u32_e64 v20, s[0:1], 0, 0, vcc
	v_add_co_u32_e32 v21, vcc, s2, v0
	v_lshlrev_b32_e32 v16, 1, v21
	v_addc_co_u32_e64 v22, s[0:1], 0, 0, vcc
	v_add_co_u32_e32 v14, vcc, s10, v16
	v_addc_co_u32_e32 v13, vcc, 0, v13, vcc
	v_add_co_u32_e32 v16, vcc, s12, v16
	s_mov_b32 s25, 0
	s_lshl_b32 s27, s2, 3
	v_addc_co_u32_e32 v15, vcc, 0, v15, vcc
	s_mov_b64 s[20:21], 0
	s_branch .LBB105_4
.LBB105_3:                              ;   in Loop: Header=BB105_4 Depth=1
	s_or_b64 exec, exec, s[0:1]
	s_add_u32 s20, s20, s26
	s_addc_u32 s21, s21, 0
	s_waitcnt vmcnt(0)
	v_pk_mov_b32 v[24:25], s[14:15], s[14:15] op_sel:[0,1]
	v_cmp_lt_i64_e32 vcc, s[20:21], v[24:25]
	v_mov_b32_e32 v24, 0x10000
	v_mov_b32_e32 v25, 0
	v_cmp_lt_u64_e64 s[0:1], s[20:21], v[24:25]
	s_and_b64 s[0:1], vcc, s[0:1]
	v_mov_b32_e32 v23, s25
	v_add_co_u32_e32 v2, vcc, s27, v2
	v_addc_co_u32_e32 v1, vcc, v1, v23, vcc
	v_add_co_u32_e32 v4, vcc, s27, v4
	v_addc_co_u32_e32 v3, vcc, v3, v23, vcc
	;; [unrolled: 2-line block ×8, first 2 shown]
	s_and_b64 vcc, exec, s[0:1]
	s_cbranch_vccz .LBB105_20
.LBB105_4:                              ; =>This Inner Loop Header: Depth=1
	v_mov_b32_e32 v23, s21
	v_add_co_u32_e32 v24, vcc, s20, v0
	v_addc_co_u32_e32 v25, vcc, 0, v23, vcc
	v_cmp_gt_u64_e32 vcc, s[18:19], v[24:25]
	v_mov_b32_e32 v24, 0
	s_and_saveexec_b64 s[2:3], vcc
	s_cbranch_execz .LBB105_6
; %bb.5:                                ;   in Loop: Header=BB105_4 Depth=1
	v_mov_b32_e32 v23, s17
	v_add_co_u32_e64 v24, s[0:1], s16, v2
	v_addc_co_u32_e64 v25, s[0:1], v1, v23, s[0:1]
	global_load_ushort v24, v[24:25], off
.LBB105_6:                              ;   in Loop: Header=BB105_4 Depth=1
	s_or_b64 exec, exec, s[2:3]
	v_mov_b32_e32 v23, s21
	v_add_co_u32_e64 v26, s[0:1], s20, v21
	v_addc_co_u32_e64 v27, s[0:1], v22, v23, s[0:1]
	v_cmp_gt_u64_e64 s[0:1], s[18:19], v[26:27]
	v_mov_b32_e32 v25, 0
	s_and_saveexec_b64 s[6:7], s[0:1]
	s_cbranch_execz .LBB105_8
; %bb.7:                                ;   in Loop: Header=BB105_4 Depth=1
	v_mov_b32_e32 v23, s17
	v_add_co_u32_e64 v26, s[2:3], s16, v14
	v_addc_co_u32_e64 v27, s[2:3], v13, v23, s[2:3]
	global_load_ushort v25, v[26:27], off
.LBB105_8:                              ;   in Loop: Header=BB105_4 Depth=1
	s_or_b64 exec, exec, s[6:7]
	v_mov_b32_e32 v23, s21
	v_add_co_u32_e64 v26, s[2:3], s20, v19
	v_addc_co_u32_e64 v27, s[2:3], v20, v23, s[2:3]
	v_cmp_gt_u64_e64 s[2:3], s[18:19], v[26:27]
	v_mov_b32_e32 v23, 0
	v_mov_b32_e32 v26, 0
	s_and_saveexec_b64 s[8:9], s[2:3]
	s_cbranch_execz .LBB105_10
; %bb.9:                                ;   in Loop: Header=BB105_4 Depth=1
	v_mov_b32_e32 v27, s17
	v_add_co_u32_e64 v26, s[6:7], s16, v10
	v_addc_co_u32_e64 v27, s[6:7], v9, v27, s[6:7]
	global_load_ushort v26, v[26:27], off
.LBB105_10:                             ;   in Loop: Header=BB105_4 Depth=1
	s_or_b64 exec, exec, s[8:9]
	v_mov_b32_e32 v27, s21
	v_add_co_u32_e64 v28, s[6:7], s20, v17
	v_addc_co_u32_e64 v29, s[6:7], v18, v27, s[6:7]
	v_cmp_gt_u64_e64 s[6:7], s[18:19], v[28:29]
	s_and_saveexec_b64 s[22:23], s[6:7]
	s_cbranch_execnz .LBB105_15
; %bb.11:                               ;   in Loop: Header=BB105_4 Depth=1
	s_or_b64 exec, exec, s[22:23]
	s_and_saveexec_b64 s[8:9], vcc
	s_cbranch_execnz .LBB105_16
.LBB105_12:                             ;   in Loop: Header=BB105_4 Depth=1
	s_or_b64 exec, exec, s[8:9]
	s_and_saveexec_b64 s[8:9], s[0:1]
	s_cbranch_execnz .LBB105_17
.LBB105_13:                             ;   in Loop: Header=BB105_4 Depth=1
	s_or_b64 exec, exec, s[8:9]
	s_and_saveexec_b64 s[0:1], s[2:3]
	s_cbranch_execnz .LBB105_18
.LBB105_14:                             ;   in Loop: Header=BB105_4 Depth=1
	s_or_b64 exec, exec, s[0:1]
	s_and_saveexec_b64 s[0:1], s[6:7]
	s_cbranch_execz .LBB105_3
	s_branch .LBB105_19
.LBB105_15:                             ;   in Loop: Header=BB105_4 Depth=1
	v_mov_b32_e32 v23, s17
	v_add_co_u32_e64 v28, s[8:9], s16, v6
	v_addc_co_u32_e64 v29, s[8:9], v5, v23, s[8:9]
	global_load_ushort v23, v[28:29], off
	s_or_b64 exec, exec, s[22:23]
	s_and_saveexec_b64 s[8:9], vcc
	s_cbranch_execz .LBB105_12
.LBB105_16:                             ;   in Loop: Header=BB105_4 Depth=1
	s_waitcnt vmcnt(0)
	v_cvt_f32_f16_e32 v24, v24
	v_mov_b32_e32 v27, s17
	v_add_co_u32_e32 v28, vcc, s16, v4
	v_subrev_f32_e32 v24, s24, v24
	v_cvt_f16_f32_e32 v24, v24
	v_addc_co_u32_e32 v29, vcc, v3, v27, vcc
	global_store_short v[28:29], v24, off
	s_or_b64 exec, exec, s[8:9]
	s_and_saveexec_b64 s[8:9], s[0:1]
	s_cbranch_execz .LBB105_13
.LBB105_17:                             ;   in Loop: Header=BB105_4 Depth=1
	s_waitcnt vmcnt(0)
	v_cvt_f32_f16_e32 v24, v25
	v_mov_b32_e32 v25, s17
	v_subrev_f32_e32 v24, s24, v24
	v_cvt_f16_f32_e32 v27, v24
	v_add_co_u32_e32 v24, vcc, s16, v16
	v_addc_co_u32_e32 v25, vcc, v15, v25, vcc
	global_store_short v[24:25], v27, off
	s_or_b64 exec, exec, s[8:9]
	s_and_saveexec_b64 s[0:1], s[2:3]
	s_cbranch_execz .LBB105_14
.LBB105_18:                             ;   in Loop: Header=BB105_4 Depth=1
	s_waitcnt vmcnt(0)
	v_cvt_f32_f16_e32 v24, v26
	v_mov_b32_e32 v25, s17
	v_subrev_f32_e32 v24, s24, v24
	v_cvt_f16_f32_e32 v26, v24
	v_add_co_u32_e32 v24, vcc, s16, v12
	v_addc_co_u32_e32 v25, vcc, v11, v25, vcc
	global_store_short v[24:25], v26, off
	s_or_b64 exec, exec, s[0:1]
	s_and_saveexec_b64 s[0:1], s[6:7]
	s_cbranch_execz .LBB105_3
.LBB105_19:                             ;   in Loop: Header=BB105_4 Depth=1
	s_waitcnt vmcnt(0)
	v_cvt_f32_f16_e32 v23, v23
	v_mov_b32_e32 v25, s17
	v_add_co_u32_e32 v24, vcc, s16, v8
	v_subrev_f32_e32 v23, s24, v23
	v_cvt_f16_f32_e32 v23, v23
	v_addc_co_u32_e32 v25, vcc, v7, v25, vcc
	global_store_short v[24:25], v23, off
	s_branch .LBB105_3
.LBB105_20:
	s_mov_b64 s[0:1], 0
.LBB105_21:
	s_andn2_b64 vcc, exec, s[0:1]
	s_cbranch_vccnz .LBB105_25
; %bb.22:
	v_mov_b32_e32 v3, 0
	v_lshlrev_b32_e32 v2, 2, v0
	s_mov_b32 s0, 0
	v_cmp_gt_i64_e32 vcc, s[14:15], v[2:3]
	s_and_saveexec_b64 s[2:3], vcc
	s_cbranch_execz .LBB105_25
; %bb.23:
	s_load_dword s1, s[4:5], 0xc5c
	v_lshlrev_b32_e32 v1, 3, v0
	v_mov_b32_e32 v2, s17
	v_add_co_u32_e32 v4, vcc, s16, v1
	s_waitcnt lgkmcnt(0)
	s_and_b32 s1, s1, 0xffff
	s_mov_b32 s8, s24
	s_mov_b32 s9, s24
	;; [unrolled: 1-line block ×3, first 2 shown]
	v_addc_co_u32_e32 v1, vcc, 0, v2, vcc
	s_lshl_b32 s16, s1, 3
	v_add_lshl_u32 v2, v0, s1, 2
	s_lshl_b32 s17, s1, 2
	s_mov_b64 s[4:5], 0
	v_mov_b32_e32 v0, s11
	v_mov_b32_e32 v5, s13
	s_mov_b64 s[6:7], 0xffff
	v_mov_b32_e32 v6, s0
	v_mov_b32_e32 v7, s0
.LBB105_24:                             ; =>This Inner Loop Header: Depth=1
	v_add_co_u32_e32 v8, vcc, s10, v4
	v_addc_co_u32_e32 v9, vcc, v0, v1, vcc
	global_load_dwordx2 v[8:9], v[8:9], off
	v_add_co_u32_e32 v10, vcc, s12, v4
	v_addc_co_u32_e32 v11, vcc, v5, v1, vcc
	v_cmp_le_i64_e32 vcc, s[14:15], v[2:3]
	v_cmp_lt_u64_e64 s[0:1], s[6:7], v[2:3]
	v_add_co_u32_e64 v4, s[2:3], s16, v4
	v_addc_co_u32_e64 v1, s[2:3], v1, v6, s[2:3]
	s_or_b64 s[0:1], vcc, s[0:1]
	v_add_co_u32_e64 v2, s[2:3], s17, v2
	s_and_b64 s[0:1], exec, s[0:1]
	v_addc_co_u32_e64 v3, s[2:3], v3, v7, s[2:3]
	s_or_b64 s[4:5], s[0:1], s[4:5]
	s_waitcnt vmcnt(0)
	v_cvt_f32_f16_sdwa v12, v8 dst_sel:DWORD dst_unused:UNUSED_PAD src0_sel:WORD_1
	v_cvt_f32_f16_e32 v8, v8
	v_cvt_f32_f16_sdwa v13, v9 dst_sel:DWORD dst_unused:UNUSED_PAD src0_sel:WORD_1
	v_cvt_f32_f16_e32 v9, v9
	v_subrev_f32_e32 v12, s8, v12
	v_subrev_f32_e32 v8, s24, v8
	;; [unrolled: 1-line block ×4, first 2 shown]
	v_cvt_f16_f32_e32 v9, v9
	v_cvt_f16_f32_e32 v13, v13
	;; [unrolled: 1-line block ×4, first 2 shown]
	v_pack_b32_f16 v9, v9, v13
	v_pack_b32_f16 v8, v8, v12
	global_store_dwordx2 v[10:11], v[8:9], off
	s_andn2_b64 exec, exec, s[4:5]
	s_cbranch_execnz .LBB105_24
.LBB105_25:
	s_endpgm
	.section	.rodata,"a",@progbits
	.p2align	6, 0x0
	.amdhsa_kernel _ZN2at6native12_GLOBAL__N_125multi_tensor_apply_kernelINS1_18TensorListMetadataILi2EEENS1_21BinaryOpScalarFunctorIN3c104HalfELi2ELi1ELi1EEEJSt5minusIfEfEEEvT_T0_DpT1_
		.amdhsa_group_segment_fixed_size 0
		.amdhsa_private_segment_fixed_size 0
		.amdhsa_kernarg_size 3408
		.amdhsa_user_sgpr_count 6
		.amdhsa_user_sgpr_private_segment_buffer 1
		.amdhsa_user_sgpr_dispatch_ptr 0
		.amdhsa_user_sgpr_queue_ptr 0
		.amdhsa_user_sgpr_kernarg_segment_ptr 1
		.amdhsa_user_sgpr_dispatch_id 0
		.amdhsa_user_sgpr_flat_scratch_init 0
		.amdhsa_user_sgpr_kernarg_preload_length 0
		.amdhsa_user_sgpr_kernarg_preload_offset 0
		.amdhsa_user_sgpr_private_segment_size 0
		.amdhsa_uses_dynamic_stack 0
		.amdhsa_system_sgpr_private_segment_wavefront_offset 0
		.amdhsa_system_sgpr_workgroup_id_x 1
		.amdhsa_system_sgpr_workgroup_id_y 0
		.amdhsa_system_sgpr_workgroup_id_z 0
		.amdhsa_system_sgpr_workgroup_info 0
		.amdhsa_system_vgpr_workitem_id 0
		.amdhsa_next_free_vgpr 30
		.amdhsa_next_free_sgpr 28
		.amdhsa_accum_offset 32
		.amdhsa_reserve_vcc 1
		.amdhsa_reserve_flat_scratch 0
		.amdhsa_float_round_mode_32 0
		.amdhsa_float_round_mode_16_64 0
		.amdhsa_float_denorm_mode_32 3
		.amdhsa_float_denorm_mode_16_64 3
		.amdhsa_dx10_clamp 1
		.amdhsa_ieee_mode 1
		.amdhsa_fp16_overflow 0
		.amdhsa_tg_split 0
		.amdhsa_exception_fp_ieee_invalid_op 0
		.amdhsa_exception_fp_denorm_src 0
		.amdhsa_exception_fp_ieee_div_zero 0
		.amdhsa_exception_fp_ieee_overflow 0
		.amdhsa_exception_fp_ieee_underflow 0
		.amdhsa_exception_fp_ieee_inexact 0
		.amdhsa_exception_int_div_zero 0
	.end_amdhsa_kernel
	.section	.text._ZN2at6native12_GLOBAL__N_125multi_tensor_apply_kernelINS1_18TensorListMetadataILi2EEENS1_21BinaryOpScalarFunctorIN3c104HalfELi2ELi1ELi1EEEJSt5minusIfEfEEEvT_T0_DpT1_,"axG",@progbits,_ZN2at6native12_GLOBAL__N_125multi_tensor_apply_kernelINS1_18TensorListMetadataILi2EEENS1_21BinaryOpScalarFunctorIN3c104HalfELi2ELi1ELi1EEEJSt5minusIfEfEEEvT_T0_DpT1_,comdat
.Lfunc_end105:
	.size	_ZN2at6native12_GLOBAL__N_125multi_tensor_apply_kernelINS1_18TensorListMetadataILi2EEENS1_21BinaryOpScalarFunctorIN3c104HalfELi2ELi1ELi1EEEJSt5minusIfEfEEEvT_T0_DpT1_, .Lfunc_end105-_ZN2at6native12_GLOBAL__N_125multi_tensor_apply_kernelINS1_18TensorListMetadataILi2EEENS1_21BinaryOpScalarFunctorIN3c104HalfELi2ELi1ELi1EEEJSt5minusIfEfEEEvT_T0_DpT1_
                                        ; -- End function
	.section	.AMDGPU.csdata,"",@progbits
; Kernel info:
; codeLenInByte = 1348
; NumSgprs: 32
; NumVgprs: 30
; NumAgprs: 0
; TotalNumVgprs: 30
; ScratchSize: 0
; MemoryBound: 0
; FloatMode: 240
; IeeeMode: 1
; LDSByteSize: 0 bytes/workgroup (compile time only)
; SGPRBlocks: 3
; VGPRBlocks: 3
; NumSGPRsForWavesPerEU: 32
; NumVGPRsForWavesPerEU: 30
; AccumOffset: 32
; Occupancy: 8
; WaveLimiterHint : 0
; COMPUTE_PGM_RSRC2:SCRATCH_EN: 0
; COMPUTE_PGM_RSRC2:USER_SGPR: 6
; COMPUTE_PGM_RSRC2:TRAP_HANDLER: 0
; COMPUTE_PGM_RSRC2:TGID_X_EN: 1
; COMPUTE_PGM_RSRC2:TGID_Y_EN: 0
; COMPUTE_PGM_RSRC2:TGID_Z_EN: 0
; COMPUTE_PGM_RSRC2:TIDIG_COMP_CNT: 0
; COMPUTE_PGM_RSRC3_GFX90A:ACCUM_OFFSET: 7
; COMPUTE_PGM_RSRC3_GFX90A:TG_SPLIT: 0
	.section	.text._ZN2at6native12_GLOBAL__N_125multi_tensor_apply_kernelINS1_18TensorListMetadataILi2EEENS1_21BinaryOpScalarFunctorIN3c108BFloat16ELi2ELi1ELi1EEEJSt5minusIfEfEEEvT_T0_DpT1_,"axG",@progbits,_ZN2at6native12_GLOBAL__N_125multi_tensor_apply_kernelINS1_18TensorListMetadataILi2EEENS1_21BinaryOpScalarFunctorIN3c108BFloat16ELi2ELi1ELi1EEEJSt5minusIfEfEEEvT_T0_DpT1_,comdat
	.globl	_ZN2at6native12_GLOBAL__N_125multi_tensor_apply_kernelINS1_18TensorListMetadataILi2EEENS1_21BinaryOpScalarFunctorIN3c108BFloat16ELi2ELi1ELi1EEEJSt5minusIfEfEEEvT_T0_DpT1_ ; -- Begin function _ZN2at6native12_GLOBAL__N_125multi_tensor_apply_kernelINS1_18TensorListMetadataILi2EEENS1_21BinaryOpScalarFunctorIN3c108BFloat16ELi2ELi1ELi1EEEJSt5minusIfEfEEEvT_T0_DpT1_
	.p2align	8
	.type	_ZN2at6native12_GLOBAL__N_125multi_tensor_apply_kernelINS1_18TensorListMetadataILi2EEENS1_21BinaryOpScalarFunctorIN3c108BFloat16ELi2ELi1ELi1EEEJSt5minusIfEfEEEvT_T0_DpT1_,@function
_ZN2at6native12_GLOBAL__N_125multi_tensor_apply_kernelINS1_18TensorListMetadataILi2EEENS1_21BinaryOpScalarFunctorIN3c108BFloat16ELi2ELi1ELi1EEEJSt5minusIfEfEEEvT_T0_DpT1_: ; @_ZN2at6native12_GLOBAL__N_125multi_tensor_apply_kernelINS1_18TensorListMetadataILi2EEENS1_21BinaryOpScalarFunctorIN3c108BFloat16ELi2ELi1ELi1EEEJSt5minusIfEfEEEvT_T0_DpT1_
; %bb.0:
	v_mov_b32_e32 v1, s6
	global_load_ubyte v1, v1, s[4:5] offset:1536
	s_add_u32 s0, s4, s6
	s_mul_hi_u32 s2, s6, 3
	s_mul_i32 s6, s6, 3
	s_addc_u32 s7, s5, 0
	s_add_u32 s6, s0, s6
	s_addc_u32 s7, s7, s2
	s_load_dword s6, s[6:7], 0x740
	s_mov_b32 s1, 0
	s_mov_b32 s15, s1
	;; [unrolled: 1-line block ×3, first 2 shown]
	s_waitcnt lgkmcnt(0)
	s_ashr_i32 s7, s6, 31
	s_lshl_b64 s[16:17], s[6:7], 17
	s_waitcnt vmcnt(0)
	v_readfirstlane_b32 s0, v1
	s_lshl_b32 s0, s0, 3
	s_load_dwordx2 s[10:11], s[4:5], s0 offset:0x0
	s_load_dword s24, s[4:5], 0xc4c
	s_load_dwordx2 s[8:9], s[4:5], s0 offset:0x400
	s_load_dwordx2 s[12:13], s[4:5], s0 offset:0x200
	s_waitcnt lgkmcnt(0)
	s_and_b32 s0, s10, 7
	s_and_b32 s14, s8, 3
	;; [unrolled: 1-line block ×3, first 2 shown]
	s_or_b64 s[0:1], s[0:1], s[14:15]
	s_or_b64 s[0:1], s[2:3], s[0:1]
	s_lshl_b64 s[2:3], s[6:7], 16
	s_sub_u32 s14, s8, s2
	s_subb_u32 s15, s9, s3
	s_cmp_eq_u64 s[0:1], 0
	s_mov_b64 s[0:1], -1
	s_cbranch_scc1 .LBB106_21
; %bb.1:
	v_cmp_lt_i64_e64 s[0:1], s[14:15], 1
	s_and_b64 vcc, exec, s[0:1]
	s_cbranch_vccnz .LBB106_20
; %bb.2:
	s_load_dword s0, s[4:5], 0xc5c
	v_mov_b32_e32 v2, 0x10000
	v_mov_b32_e32 v3, 0
	v_cmp_lt_u64_e32 vcc, s[14:15], v[2:3]
	v_lshlrev_b32_e32 v10, 1, v0
	s_waitcnt lgkmcnt(0)
	s_and_b32 s2, s0, 0xffff
	s_and_b64 s[0:1], vcc, exec
	v_mov_b32_e32 v13, s11
	v_add_co_u32_e32 v2, vcc, s10, v10
	v_addc_co_u32_e32 v1, vcc, 0, v13, vcc
	v_mov_b32_e32 v11, 0
	v_mov_b32_e32 v15, s13
	v_add_co_u32_e32 v4, vcc, s12, v10
	v_addc_co_u32_e32 v3, vcc, 0, v15, vcc
	v_mad_u64_u32 v[8:9], s[0:1], s2, 6, v[10:11]
	v_add_co_u32_e32 v6, vcc, s10, v8
	v_addc_co_u32_e32 v5, vcc, v13, v9, vcc
	v_add_co_u32_e32 v8, vcc, s12, v8
	s_mul_i32 s6, s2, 3
	v_addc_co_u32_e32 v7, vcc, v15, v9, vcc
	s_cselect_b32 s19, s15, 0
	s_cselect_b32 s18, s14, 0x10000
	s_lshl_b32 s26, s2, 2
	v_add_co_u32_e32 v17, vcc, s6, v0
	v_addc_co_u32_e64 v18, s[0:1], 0, 0, vcc
	v_add_co_u32_e32 v11, vcc, s26, v10
	v_addc_co_u32_e64 v14, s[0:1], 0, 0, vcc
	v_add_co_u32_e32 v10, vcc, s10, v11
	v_addc_co_u32_e32 v9, vcc, v13, v14, vcc
	v_add_co_u32_e32 v12, vcc, s12, v11
	s_lshl_b32 s3, s2, 1
	v_addc_co_u32_e32 v11, vcc, v15, v14, vcc
	v_add_co_u32_e32 v19, vcc, s3, v0
	v_addc_co_u32_e64 v20, s[0:1], 0, 0, vcc
	v_add_co_u32_e32 v21, vcc, s2, v0
	v_lshlrev_b32_e32 v16, 1, v21
	v_addc_co_u32_e64 v22, s[0:1], 0, 0, vcc
	v_add_co_u32_e32 v14, vcc, s10, v16
	v_addc_co_u32_e32 v13, vcc, 0, v13, vcc
	v_add_co_u32_e32 v16, vcc, s12, v16
	s_mov_b32 s25, 0
	s_lshl_b32 s27, s2, 3
	v_addc_co_u32_e32 v15, vcc, 0, v15, vcc
	s_mov_b64 s[20:21], 0
	s_movk_i32 s28, 0x7fff
	v_mov_b32_e32 v23, 0x7fc0
	s_branch .LBB106_4
.LBB106_3:                              ;   in Loop: Header=BB106_4 Depth=1
	s_or_b64 exec, exec, s[0:1]
	s_add_u32 s20, s20, s26
	s_addc_u32 s21, s21, 0
	s_waitcnt vmcnt(0)
	v_pk_mov_b32 v[24:25], s[14:15], s[14:15] op_sel:[0,1]
	v_cmp_lt_i64_e32 vcc, s[20:21], v[24:25]
	v_mov_b32_e32 v24, 0x10000
	v_mov_b32_e32 v25, 0
	v_cmp_lt_u64_e64 s[0:1], s[20:21], v[24:25]
	s_and_b64 s[0:1], vcc, s[0:1]
	v_mov_b32_e32 v24, s25
	v_add_co_u32_e32 v2, vcc, s27, v2
	v_addc_co_u32_e32 v1, vcc, v1, v24, vcc
	v_add_co_u32_e32 v4, vcc, s27, v4
	v_addc_co_u32_e32 v3, vcc, v3, v24, vcc
	;; [unrolled: 2-line block ×8, first 2 shown]
	s_and_b64 vcc, exec, s[0:1]
	s_cbranch_vccz .LBB106_20
.LBB106_4:                              ; =>This Inner Loop Header: Depth=1
	v_mov_b32_e32 v25, s21
	v_add_co_u32_e32 v24, vcc, s20, v0
	v_addc_co_u32_e32 v25, vcc, 0, v25, vcc
	v_cmp_gt_u64_e32 vcc, s[18:19], v[24:25]
	v_mov_b32_e32 v25, 0
	s_and_saveexec_b64 s[2:3], vcc
	s_cbranch_execz .LBB106_6
; %bb.5:                                ;   in Loop: Header=BB106_4 Depth=1
	v_mov_b32_e32 v25, s17
	v_add_co_u32_e64 v24, s[0:1], s16, v2
	v_addc_co_u32_e64 v25, s[0:1], v1, v25, s[0:1]
	global_load_ushort v25, v[24:25], off
.LBB106_6:                              ;   in Loop: Header=BB106_4 Depth=1
	s_or_b64 exec, exec, s[2:3]
	v_mov_b32_e32 v24, s21
	v_add_co_u32_e64 v26, s[0:1], s20, v21
	v_addc_co_u32_e64 v27, s[0:1], v22, v24, s[0:1]
	v_cmp_gt_u64_e64 s[0:1], s[18:19], v[26:27]
	v_mov_b32_e32 v26, 0
	s_and_saveexec_b64 s[6:7], s[0:1]
	s_cbranch_execz .LBB106_8
; %bb.7:                                ;   in Loop: Header=BB106_4 Depth=1
	v_mov_b32_e32 v24, s17
	v_add_co_u32_e64 v26, s[2:3], s16, v14
	v_addc_co_u32_e64 v27, s[2:3], v13, v24, s[2:3]
	global_load_ushort v26, v[26:27], off
.LBB106_8:                              ;   in Loop: Header=BB106_4 Depth=1
	s_or_b64 exec, exec, s[6:7]
	v_mov_b32_e32 v24, s21
	v_add_co_u32_e64 v28, s[2:3], s20, v19
	v_addc_co_u32_e64 v29, s[2:3], v20, v24, s[2:3]
	v_cmp_gt_u64_e64 s[2:3], s[18:19], v[28:29]
	v_mov_b32_e32 v24, 0
	v_mov_b32_e32 v27, 0
	s_and_saveexec_b64 s[8:9], s[2:3]
	s_cbranch_execz .LBB106_10
; %bb.9:                                ;   in Loop: Header=BB106_4 Depth=1
	v_mov_b32_e32 v27, s17
	v_add_co_u32_e64 v28, s[6:7], s16, v10
	v_addc_co_u32_e64 v29, s[6:7], v9, v27, s[6:7]
	global_load_ushort v27, v[28:29], off
.LBB106_10:                             ;   in Loop: Header=BB106_4 Depth=1
	s_or_b64 exec, exec, s[8:9]
	v_mov_b32_e32 v29, s21
	v_add_co_u32_e64 v28, s[6:7], s20, v17
	v_addc_co_u32_e64 v29, s[6:7], v18, v29, s[6:7]
	v_cmp_gt_u64_e64 s[6:7], s[18:19], v[28:29]
	s_and_saveexec_b64 s[22:23], s[6:7]
	s_cbranch_execnz .LBB106_15
; %bb.11:                               ;   in Loop: Header=BB106_4 Depth=1
	s_or_b64 exec, exec, s[22:23]
	s_and_saveexec_b64 s[8:9], vcc
	s_cbranch_execnz .LBB106_16
.LBB106_12:                             ;   in Loop: Header=BB106_4 Depth=1
	s_or_b64 exec, exec, s[8:9]
	s_and_saveexec_b64 s[8:9], s[0:1]
	s_cbranch_execnz .LBB106_17
.LBB106_13:                             ;   in Loop: Header=BB106_4 Depth=1
	s_or_b64 exec, exec, s[8:9]
	s_and_saveexec_b64 s[0:1], s[2:3]
	s_cbranch_execnz .LBB106_18
.LBB106_14:                             ;   in Loop: Header=BB106_4 Depth=1
	s_or_b64 exec, exec, s[0:1]
	s_and_saveexec_b64 s[0:1], s[6:7]
	s_cbranch_execz .LBB106_3
	s_branch .LBB106_19
.LBB106_15:                             ;   in Loop: Header=BB106_4 Depth=1
	v_mov_b32_e32 v24, s17
	v_add_co_u32_e64 v28, s[8:9], s16, v6
	v_addc_co_u32_e64 v29, s[8:9], v5, v24, s[8:9]
	global_load_ushort v24, v[28:29], off
	s_or_b64 exec, exec, s[22:23]
	s_and_saveexec_b64 s[8:9], vcc
	s_cbranch_execz .LBB106_12
.LBB106_16:                             ;   in Loop: Header=BB106_4 Depth=1
	s_waitcnt vmcnt(0)
	v_lshlrev_b32_e32 v25, 16, v25
	v_subrev_f32_e32 v25, s24, v25
	v_mov_b32_e32 v29, s17
	v_add_co_u32_e32 v28, vcc, s16, v4
	v_bfe_u32 v30, v25, 16, 1
	v_addc_co_u32_e32 v29, vcc, v3, v29, vcc
	v_add3_u32 v30, v25, v30, s28
	v_lshrrev_b32_e32 v30, 16, v30
	v_cmp_o_f32_e32 vcc, v25, v25
	v_cndmask_b32_e32 v25, v23, v30, vcc
	global_store_short v[28:29], v25, off
	s_or_b64 exec, exec, s[8:9]
	s_and_saveexec_b64 s[8:9], s[0:1]
	s_cbranch_execz .LBB106_13
.LBB106_17:                             ;   in Loop: Header=BB106_4 Depth=1
	s_waitcnt vmcnt(0)
	v_lshlrev_b32_e32 v25, 16, v26
	v_subrev_f32_e32 v25, s24, v25
	v_bfe_u32 v26, v25, 16, 1
	v_add3_u32 v26, v25, v26, s28
	v_lshrrev_b32_e32 v26, 16, v26
	v_cmp_o_f32_e32 vcc, v25, v25
	v_cndmask_b32_e32 v25, v23, v26, vcc
	v_mov_b32_e32 v26, s17
	v_add_co_u32_e32 v28, vcc, s16, v16
	v_addc_co_u32_e32 v29, vcc, v15, v26, vcc
	global_store_short v[28:29], v25, off
	s_or_b64 exec, exec, s[8:9]
	s_and_saveexec_b64 s[0:1], s[2:3]
	s_cbranch_execz .LBB106_14
.LBB106_18:                             ;   in Loop: Header=BB106_4 Depth=1
	s_waitcnt vmcnt(0)
	v_lshlrev_b32_e32 v25, 16, v27
	v_subrev_f32_e32 v25, s24, v25
	v_bfe_u32 v26, v25, 16, 1
	v_add3_u32 v26, v25, v26, s28
	v_lshrrev_b32_e32 v26, 16, v26
	v_cmp_o_f32_e32 vcc, v25, v25
	v_cndmask_b32_e32 v25, v23, v26, vcc
	v_mov_b32_e32 v27, s17
	v_add_co_u32_e32 v26, vcc, s16, v12
	v_addc_co_u32_e32 v27, vcc, v11, v27, vcc
	global_store_short v[26:27], v25, off
	s_or_b64 exec, exec, s[0:1]
	s_and_saveexec_b64 s[0:1], s[6:7]
	s_cbranch_execz .LBB106_3
.LBB106_19:                             ;   in Loop: Header=BB106_4 Depth=1
	s_waitcnt vmcnt(0)
	v_lshlrev_b32_e32 v24, 16, v24
	v_subrev_f32_e32 v24, s24, v24
	v_bfe_u32 v25, v24, 16, 1
	v_add3_u32 v25, v24, v25, s28
	v_lshrrev_b32_e32 v25, 16, v25
	v_cmp_o_f32_e32 vcc, v24, v24
	v_cndmask_b32_e32 v26, v23, v25, vcc
	v_mov_b32_e32 v25, s17
	v_add_co_u32_e32 v24, vcc, s16, v8
	v_addc_co_u32_e32 v25, vcc, v7, v25, vcc
	global_store_short v[24:25], v26, off
	s_branch .LBB106_3
.LBB106_20:
	s_mov_b64 s[0:1], 0
.LBB106_21:
	s_andn2_b64 vcc, exec, s[0:1]
	s_cbranch_vccnz .LBB106_25
; %bb.22:
	v_mov_b32_e32 v3, 0
	v_lshlrev_b32_e32 v2, 2, v0
	s_mov_b32 s0, 0
	v_cmp_gt_i64_e32 vcc, s[14:15], v[2:3]
	s_and_saveexec_b64 s[2:3], vcc
	s_cbranch_execz .LBB106_25
; %bb.23:
	s_load_dword s1, s[4:5], 0xc5c
	v_lshlrev_b32_e32 v1, 3, v0
	v_mov_b32_e32 v2, s17
	v_add_co_u32_e32 v4, vcc, s16, v1
	s_waitcnt lgkmcnt(0)
	s_and_b32 s1, s1, 0xffff
	v_addc_co_u32_e32 v1, vcc, 0, v2, vcc
	s_lshl_b32 s8, s1, 3
	v_add_lshl_u32 v2, v0, s1, 2
	s_lshl_b32 s9, s1, 2
	s_mov_b64 s[4:5], 0
	v_mov_b32_e32 v0, s11
	s_movk_i32 s11, 0x7fff
	v_mov_b32_e32 v5, s13
	v_mov_b32_e32 v6, 0x7fc00000
	;; [unrolled: 1-line block ×3, first 2 shown]
	s_mov_b64 s[6:7], 0xffff
	v_mov_b32_e32 v8, s0
	v_mov_b32_e32 v9, s0
.LBB106_24:                             ; =>This Inner Loop Header: Depth=1
	v_add_co_u32_e32 v10, vcc, s10, v4
	v_addc_co_u32_e32 v11, vcc, v0, v1, vcc
	global_load_dwordx2 v[10:11], v[10:11], off
	v_add_co_u32_e32 v12, vcc, s12, v4
	v_addc_co_u32_e32 v13, vcc, v5, v1, vcc
	v_cmp_le_i64_e32 vcc, s[14:15], v[2:3]
	v_cmp_lt_u64_e64 s[0:1], s[6:7], v[2:3]
	v_add_co_u32_e64 v4, s[2:3], s8, v4
	v_addc_co_u32_e64 v1, s[2:3], v1, v8, s[2:3]
	s_or_b64 s[0:1], vcc, s[0:1]
	v_add_co_u32_e64 v2, s[2:3], s9, v2
	s_and_b64 s[0:1], exec, s[0:1]
	v_addc_co_u32_e64 v3, s[2:3], v3, v9, s[2:3]
	s_or_b64 s[4:5], s[0:1], s[4:5]
	s_waitcnt vmcnt(0)
	v_lshlrev_b32_e32 v14, 16, v10
	v_and_b32_e32 v15, 0xffff0000, v10
	v_alignbit_b32 v10, v11, v10, 16
	v_and_b32_e32 v11, 0xffff0000, v11
	v_subrev_f32_e32 v14, s24, v14
	v_subrev_f32_e32 v15, s24, v15
	v_and_b32_e32 v10, 0xffff0000, v10
	v_subrev_f32_e32 v11, s24, v11
	v_bfe_u32 v16, v14, 16, 1
	v_bfe_u32 v17, v15, 16, 1
	v_subrev_f32_e32 v10, s24, v10
	v_bfe_u32 v18, v11, 16, 1
	v_add3_u32 v16, v14, v16, s11
	v_add3_u32 v17, v15, v17, s11
	v_bfe_u32 v19, v10, 16, 1
	v_add3_u32 v18, v11, v18, s11
	v_lshrrev_b32_e32 v16, 16, v16
	v_and_b32_e32 v17, 0xffff0000, v17
	v_add3_u32 v19, v10, v19, s11
	v_cmp_o_f32_e32 vcc, v15, v15
	v_cmp_o_f32_e64 s[0:1], v14, v14
	v_and_b32_e32 v18, 0xffff0000, v18
	v_cmp_o_f32_e64 s[2:3], v11, v11
	v_lshrrev_b32_e32 v11, 16, v19
	v_cndmask_b32_e32 v15, v6, v17, vcc
	v_cndmask_b32_e64 v16, v7, v16, s[0:1]
	v_cmp_o_f32_e32 vcc, v10, v10
	v_cndmask_b32_e64 v14, v6, v18, s[2:3]
	v_cndmask_b32_e32 v10, v7, v11, vcc
	v_or_b32_e32 v15, v16, v15
	v_or3_b32 v11, 0, v10, v14
	v_or3_b32 v10, v15, 0, 0
	global_store_dwordx2 v[12:13], v[10:11], off
	s_andn2_b64 exec, exec, s[4:5]
	s_cbranch_execnz .LBB106_24
.LBB106_25:
	s_endpgm
	.section	.rodata,"a",@progbits
	.p2align	6, 0x0
	.amdhsa_kernel _ZN2at6native12_GLOBAL__N_125multi_tensor_apply_kernelINS1_18TensorListMetadataILi2EEENS1_21BinaryOpScalarFunctorIN3c108BFloat16ELi2ELi1ELi1EEEJSt5minusIfEfEEEvT_T0_DpT1_
		.amdhsa_group_segment_fixed_size 0
		.amdhsa_private_segment_fixed_size 0
		.amdhsa_kernarg_size 3408
		.amdhsa_user_sgpr_count 6
		.amdhsa_user_sgpr_private_segment_buffer 1
		.amdhsa_user_sgpr_dispatch_ptr 0
		.amdhsa_user_sgpr_queue_ptr 0
		.amdhsa_user_sgpr_kernarg_segment_ptr 1
		.amdhsa_user_sgpr_dispatch_id 0
		.amdhsa_user_sgpr_flat_scratch_init 0
		.amdhsa_user_sgpr_kernarg_preload_length 0
		.amdhsa_user_sgpr_kernarg_preload_offset 0
		.amdhsa_user_sgpr_private_segment_size 0
		.amdhsa_uses_dynamic_stack 0
		.amdhsa_system_sgpr_private_segment_wavefront_offset 0
		.amdhsa_system_sgpr_workgroup_id_x 1
		.amdhsa_system_sgpr_workgroup_id_y 0
		.amdhsa_system_sgpr_workgroup_id_z 0
		.amdhsa_system_sgpr_workgroup_info 0
		.amdhsa_system_vgpr_workitem_id 0
		.amdhsa_next_free_vgpr 31
		.amdhsa_next_free_sgpr 29
		.amdhsa_accum_offset 32
		.amdhsa_reserve_vcc 1
		.amdhsa_reserve_flat_scratch 0
		.amdhsa_float_round_mode_32 0
		.amdhsa_float_round_mode_16_64 0
		.amdhsa_float_denorm_mode_32 3
		.amdhsa_float_denorm_mode_16_64 3
		.amdhsa_dx10_clamp 1
		.amdhsa_ieee_mode 1
		.amdhsa_fp16_overflow 0
		.amdhsa_tg_split 0
		.amdhsa_exception_fp_ieee_invalid_op 0
		.amdhsa_exception_fp_denorm_src 0
		.amdhsa_exception_fp_ieee_div_zero 0
		.amdhsa_exception_fp_ieee_overflow 0
		.amdhsa_exception_fp_ieee_underflow 0
		.amdhsa_exception_fp_ieee_inexact 0
		.amdhsa_exception_int_div_zero 0
	.end_amdhsa_kernel
	.section	.text._ZN2at6native12_GLOBAL__N_125multi_tensor_apply_kernelINS1_18TensorListMetadataILi2EEENS1_21BinaryOpScalarFunctorIN3c108BFloat16ELi2ELi1ELi1EEEJSt5minusIfEfEEEvT_T0_DpT1_,"axG",@progbits,_ZN2at6native12_GLOBAL__N_125multi_tensor_apply_kernelINS1_18TensorListMetadataILi2EEENS1_21BinaryOpScalarFunctorIN3c108BFloat16ELi2ELi1ELi1EEEJSt5minusIfEfEEEvT_T0_DpT1_,comdat
.Lfunc_end106:
	.size	_ZN2at6native12_GLOBAL__N_125multi_tensor_apply_kernelINS1_18TensorListMetadataILi2EEENS1_21BinaryOpScalarFunctorIN3c108BFloat16ELi2ELi1ELi1EEEJSt5minusIfEfEEEvT_T0_DpT1_, .Lfunc_end106-_ZN2at6native12_GLOBAL__N_125multi_tensor_apply_kernelINS1_18TensorListMetadataILi2EEENS1_21BinaryOpScalarFunctorIN3c108BFloat16ELi2ELi1ELi1EEEJSt5minusIfEfEEEvT_T0_DpT1_
                                        ; -- End function
	.section	.AMDGPU.csdata,"",@progbits
; Kernel info:
; codeLenInByte = 1600
; NumSgprs: 33
; NumVgprs: 31
; NumAgprs: 0
; TotalNumVgprs: 31
; ScratchSize: 0
; MemoryBound: 0
; FloatMode: 240
; IeeeMode: 1
; LDSByteSize: 0 bytes/workgroup (compile time only)
; SGPRBlocks: 4
; VGPRBlocks: 3
; NumSGPRsForWavesPerEU: 33
; NumVGPRsForWavesPerEU: 31
; AccumOffset: 32
; Occupancy: 8
; WaveLimiterHint : 0
; COMPUTE_PGM_RSRC2:SCRATCH_EN: 0
; COMPUTE_PGM_RSRC2:USER_SGPR: 6
; COMPUTE_PGM_RSRC2:TRAP_HANDLER: 0
; COMPUTE_PGM_RSRC2:TGID_X_EN: 1
; COMPUTE_PGM_RSRC2:TGID_Y_EN: 0
; COMPUTE_PGM_RSRC2:TGID_Z_EN: 0
; COMPUTE_PGM_RSRC2:TIDIG_COMP_CNT: 0
; COMPUTE_PGM_RSRC3_GFX90A:ACCUM_OFFSET: 7
; COMPUTE_PGM_RSRC3_GFX90A:TG_SPLIT: 0
	.section	.text._ZN2at6native12_GLOBAL__N_125multi_tensor_apply_kernelINS1_18TensorListMetadataILi1EEENS1_21BinaryOpScalarFunctorIhLi1ELi1ELi0EEEJNS0_7minimumIhEEhEEEvT_T0_DpT1_,"axG",@progbits,_ZN2at6native12_GLOBAL__N_125multi_tensor_apply_kernelINS1_18TensorListMetadataILi1EEENS1_21BinaryOpScalarFunctorIhLi1ELi1ELi0EEEJNS0_7minimumIhEEhEEEvT_T0_DpT1_,comdat
	.globl	_ZN2at6native12_GLOBAL__N_125multi_tensor_apply_kernelINS1_18TensorListMetadataILi1EEENS1_21BinaryOpScalarFunctorIhLi1ELi1ELi0EEEJNS0_7minimumIhEEhEEEvT_T0_DpT1_ ; -- Begin function _ZN2at6native12_GLOBAL__N_125multi_tensor_apply_kernelINS1_18TensorListMetadataILi1EEENS1_21BinaryOpScalarFunctorIhLi1ELi1ELi0EEEJNS0_7minimumIhEEhEEEvT_T0_DpT1_
	.p2align	8
	.type	_ZN2at6native12_GLOBAL__N_125multi_tensor_apply_kernelINS1_18TensorListMetadataILi1EEENS1_21BinaryOpScalarFunctorIhLi1ELi1ELi0EEEJNS0_7minimumIhEEhEEEvT_T0_DpT1_,@function
_ZN2at6native12_GLOBAL__N_125multi_tensor_apply_kernelINS1_18TensorListMetadataILi1EEENS1_21BinaryOpScalarFunctorIhLi1ELi1ELi0EEEJNS0_7minimumIhEEhEEEvT_T0_DpT1_: ; @_ZN2at6native12_GLOBAL__N_125multi_tensor_apply_kernelINS1_18TensorListMetadataILi1EEENS1_21BinaryOpScalarFunctorIhLi1ELi1ELi0EEEJNS0_7minimumIhEEhEEEvT_T0_DpT1_
; %bb.0:
	v_mov_b32_e32 v1, s6
	global_load_ubyte v1, v1, s[4:5] offset:1760
	s_load_dword s0, s[4:5], 0xd28
	s_mul_i32 s2, s6, 3
	s_mul_hi_u32 s1, s6, 3
	s_waitcnt lgkmcnt(0)
	s_lshr_b32 s18, s0, 16
	s_add_u32 s0, s4, s6
	s_addc_u32 s3, s5, 0
	s_add_u32 s0, s0, s2
	s_addc_u32 s1, s3, s1
	s_load_dword s2, s[0:1], 0x820
	s_waitcnt vmcnt(0)
	v_readfirstlane_b32 s0, v1
	s_lshl_b32 s3, s0, 3
	s_load_dwordx2 s[0:1], s[4:5], s3 offset:0x0
	s_load_dwordx2 s[6:7], s[4:5], s3 offset:0x370
	s_waitcnt lgkmcnt(0)
	s_ashr_i32 s3, s2, 31
	s_lshl_b64 s[2:3], s[2:3], 16
	s_add_u32 s19, s0, s2
	s_addc_u32 s20, s1, s3
	s_sub_u32 s10, s6, s2
	s_subb_u32 s11, s7, s3
	s_or_b32 s6, s6, s19
	s_and_b32 s6, s6, 3
	s_cmp_eq_u32 s6, 0
	s_cbranch_scc1 .LBB107_21
; %bb.1:
	v_cmp_lt_i64_e64 s[6:7], s[10:11], 1
	s_and_b64 vcc, exec, s[6:7]
	s_cbranch_vccnz .LBB107_20
; %bb.2:
	s_load_dword s6, s[4:5], 0xd3c
	v_mov_b32_e32 v2, 0x10000
	v_mov_b32_e32 v3, 0
	v_cmp_lt_u64_e32 vcc, s[10:11], v[2:3]
	v_mov_b32_e32 v1, s3
	s_waitcnt lgkmcnt(0)
	s_and_b32 s8, s6, 0xffff
	s_and_b64 s[6:7], vcc, exec
	s_cselect_b32 s13, s11, 0
	s_cselect_b32 s12, s10, 0x10000
	s_lshl_b32 s9, s8, 1
	s_mul_i32 s6, s8, 3
	s_lshl_b32 s21, s8, 2
	s_add_u32 s7, s2, s6
	v_add_co_u32_e32 v4, vcc, s2, v0
	s_addc_u32 s14, s3, 0
	v_addc_co_u32_e32 v5, vcc, 0, v1, vcc
	s_add_u32 s7, s0, s7
	v_mov_b32_e32 v6, s1
	v_add_co_u32_e32 v1, vcc, s0, v4
	s_addc_u32 s14, s1, s14
	v_addc_co_u32_e32 v6, vcc, v6, v5, vcc
	s_add_u32 s2, s2, s9
	v_mov_b32_e32 v8, s14
	v_add_co_u32_e32 v7, vcc, s7, v0
	s_addc_u32 s3, s3, 0
	v_addc_co_u32_e32 v8, vcc, 0, v8, vcc
	s_add_u32 s2, s0, s2
	v_add_co_u32_e32 v9, vcc, s6, v0
	s_addc_u32 s3, s1, s3
	v_addc_co_u32_e64 v10, s[6:7], 0, 0, vcc
	v_mov_b32_e32 v12, s3
	v_add_co_u32_e32 v11, vcc, s2, v0
	v_addc_co_u32_e32 v12, vcc, 0, v12, vcc
	s_add_u32 s0, s0, s8
	v_add_co_u32_e32 v13, vcc, s9, v0
	s_addc_u32 s1, s1, 0
	v_addc_co_u32_e64 v14, s[2:3], 0, 0, vcc
	v_mov_b32_e32 v16, s1
	v_add_co_u32_e32 v15, vcc, s0, v4
	v_addc_co_u32_e32 v16, vcc, v16, v5, vcc
	v_add_co_u32_e32 v17, vcc, s8, v0
	v_addc_co_u32_e64 v18, s[0:1], 0, 0, vcc
	s_mov_b64 s[14:15], 0
	v_pk_mov_b32 v[4:5], s[10:11], s[10:11] op_sel:[0,1]
	s_branch .LBB107_4
.LBB107_3:                              ;   in Loop: Header=BB107_4 Depth=1
	s_or_b64 exec, exec, s[0:1]
	s_add_u32 s14, s14, s21
	s_addc_u32 s15, s15, 0
	v_cmp_lt_i64_e32 vcc, s[14:15], v[4:5]
	v_cmp_lt_u64_e64 s[0:1], s[14:15], v[2:3]
	s_and_b64 s[0:1], vcc, s[0:1]
	s_and_b64 vcc, exec, s[0:1]
	s_cbranch_vccz .LBB107_20
.LBB107_4:                              ; =>This Inner Loop Header: Depth=1
	s_waitcnt vmcnt(0)
	v_mov_b32_e32 v19, s15
	v_add_co_u32_e32 v20, vcc, s14, v0
	v_addc_co_u32_e32 v21, vcc, 0, v19, vcc
	v_cmp_gt_u64_e32 vcc, s[12:13], v[20:21]
	v_mov_b32_e32 v19, 0
	s_and_saveexec_b64 s[2:3], vcc
	s_cbranch_execz .LBB107_6
; %bb.5:                                ;   in Loop: Header=BB107_4 Depth=1
	v_mov_b32_e32 v19, s15
	v_add_co_u32_e64 v20, s[0:1], s14, v1
	v_addc_co_u32_e64 v21, s[0:1], v6, v19, s[0:1]
	global_load_ubyte v19, v[20:21], off
.LBB107_6:                              ;   in Loop: Header=BB107_4 Depth=1
	s_or_b64 exec, exec, s[2:3]
	v_mov_b32_e32 v21, s15
	v_add_co_u32_e64 v20, s[0:1], s14, v17
	v_addc_co_u32_e64 v21, s[0:1], v18, v21, s[0:1]
	v_cmp_gt_u64_e64 s[0:1], s[12:13], v[20:21]
	v_mov_b32_e32 v21, 0
	s_and_saveexec_b64 s[6:7], s[0:1]
	s_cbranch_execz .LBB107_8
; %bb.7:                                ;   in Loop: Header=BB107_4 Depth=1
	v_mov_b32_e32 v21, s15
	v_add_co_u32_e64 v20, s[2:3], s14, v15
	v_addc_co_u32_e64 v21, s[2:3], v16, v21, s[2:3]
	global_load_ubyte v21, v[20:21], off
.LBB107_8:                              ;   in Loop: Header=BB107_4 Depth=1
	s_or_b64 exec, exec, s[6:7]
	v_mov_b32_e32 v20, s15
	v_add_co_u32_e64 v22, s[2:3], s14, v13
	v_addc_co_u32_e64 v23, s[2:3], v14, v20, s[2:3]
	v_cmp_gt_u64_e64 s[2:3], s[12:13], v[22:23]
	v_mov_b32_e32 v20, 0
	v_mov_b32_e32 v22, 0
	s_and_saveexec_b64 s[8:9], s[2:3]
	s_cbranch_execz .LBB107_10
; %bb.9:                                ;   in Loop: Header=BB107_4 Depth=1
	v_mov_b32_e32 v23, s15
	v_add_co_u32_e64 v22, s[6:7], s14, v11
	v_addc_co_u32_e64 v23, s[6:7], v12, v23, s[6:7]
	global_load_ubyte v22, v[22:23], off
.LBB107_10:                             ;   in Loop: Header=BB107_4 Depth=1
	s_or_b64 exec, exec, s[8:9]
	v_mov_b32_e32 v23, s15
	v_add_co_u32_e64 v24, s[6:7], s14, v9
	v_addc_co_u32_e64 v25, s[6:7], v10, v23, s[6:7]
	v_cmp_gt_u64_e64 s[6:7], s[12:13], v[24:25]
	s_and_saveexec_b64 s[16:17], s[6:7]
	s_cbranch_execnz .LBB107_15
; %bb.11:                               ;   in Loop: Header=BB107_4 Depth=1
	s_or_b64 exec, exec, s[16:17]
	s_and_saveexec_b64 s[8:9], vcc
	s_cbranch_execnz .LBB107_16
.LBB107_12:                             ;   in Loop: Header=BB107_4 Depth=1
	s_or_b64 exec, exec, s[8:9]
	s_and_saveexec_b64 s[8:9], s[0:1]
	s_cbranch_execnz .LBB107_17
.LBB107_13:                             ;   in Loop: Header=BB107_4 Depth=1
	s_or_b64 exec, exec, s[8:9]
	s_and_saveexec_b64 s[0:1], s[2:3]
	s_cbranch_execnz .LBB107_18
.LBB107_14:                             ;   in Loop: Header=BB107_4 Depth=1
	s_or_b64 exec, exec, s[0:1]
	s_and_saveexec_b64 s[0:1], s[6:7]
	s_cbranch_execz .LBB107_3
	s_branch .LBB107_19
.LBB107_15:                             ;   in Loop: Header=BB107_4 Depth=1
	v_mov_b32_e32 v20, s15
	v_add_co_u32_e64 v24, s[8:9], s14, v7
	v_addc_co_u32_e64 v25, s[8:9], v8, v20, s[8:9]
	global_load_ubyte v20, v[24:25], off
	s_or_b64 exec, exec, s[16:17]
	s_and_saveexec_b64 s[8:9], vcc
	s_cbranch_execz .LBB107_12
.LBB107_16:                             ;   in Loop: Header=BB107_4 Depth=1
	v_mov_b32_e32 v23, s15
	v_add_co_u32_e32 v24, vcc, s14, v1
	s_waitcnt vmcnt(0)
	v_min_u16_sdwa v19, v19, s18 dst_sel:DWORD dst_unused:UNUSED_PAD src0_sel:BYTE_0 src1_sel:BYTE_0
	v_addc_co_u32_e32 v25, vcc, v6, v23, vcc
	global_store_byte v[24:25], v19, off
	s_or_b64 exec, exec, s[8:9]
	s_and_saveexec_b64 s[8:9], s[0:1]
	s_cbranch_execz .LBB107_13
.LBB107_17:                             ;   in Loop: Header=BB107_4 Depth=1
	s_waitcnt vmcnt(0)
	v_min_u16_sdwa v19, v21, s18 dst_sel:DWORD dst_unused:UNUSED_PAD src0_sel:BYTE_0 src1_sel:BYTE_0
	v_mov_b32_e32 v21, s15
	v_add_co_u32_e32 v24, vcc, s14, v15
	v_addc_co_u32_e32 v25, vcc, v16, v21, vcc
	global_store_byte v[24:25], v19, off
	s_or_b64 exec, exec, s[8:9]
	s_and_saveexec_b64 s[0:1], s[2:3]
	s_cbranch_execz .LBB107_14
.LBB107_18:                             ;   in Loop: Header=BB107_4 Depth=1
	s_waitcnt vmcnt(0)
	v_min_u16_sdwa v19, v22, s18 dst_sel:DWORD dst_unused:UNUSED_PAD src0_sel:BYTE_0 src1_sel:BYTE_0
	v_mov_b32_e32 v21, s15
	v_add_co_u32_e32 v22, vcc, s14, v11
	v_addc_co_u32_e32 v23, vcc, v12, v21, vcc
	global_store_byte v[22:23], v19, off
	s_or_b64 exec, exec, s[0:1]
	s_and_saveexec_b64 s[0:1], s[6:7]
	s_cbranch_execz .LBB107_3
.LBB107_19:                             ;   in Loop: Header=BB107_4 Depth=1
	s_waitcnt vmcnt(0)
	v_min_u16_sdwa v19, v20, s18 dst_sel:DWORD dst_unused:UNUSED_PAD src0_sel:BYTE_0 src1_sel:BYTE_0
	v_mov_b32_e32 v21, s15
	v_add_co_u32_e32 v20, vcc, s14, v7
	v_addc_co_u32_e32 v21, vcc, v8, v21, vcc
	global_store_byte v[20:21], v19, off
	s_branch .LBB107_3
.LBB107_20:
	s_cbranch_execz .LBB107_22
	s_branch .LBB107_25
.LBB107_21:
.LBB107_22:
	v_lshlrev_b32_e32 v0, 2, v0
	v_mov_b32_e32 v1, 0
	v_cmp_gt_i64_e32 vcc, s[10:11], v[0:1]
	s_and_saveexec_b64 s[0:1], vcc
	s_cbranch_execz .LBB107_25
; %bb.23:
	s_load_dword s0, s[4:5], 0xd3c
	s_mov_b32 s1, 0
	s_mov_b64 s[2:3], 0
	v_mov_b32_e32 v2, s20
	s_movk_i32 s6, 0xff
	s_waitcnt lgkmcnt(0)
	s_and_b32 s0, s0, 0xffff
	s_lshl_b32 s7, s0, 2
	v_mov_b32_e32 v3, s1
	s_mov_b64 s[4:5], 0xffff
.LBB107_24:                             ; =>This Inner Loop Header: Depth=1
	v_add_co_u32_e32 v4, vcc, s19, v0
	v_addc_co_u32_e32 v5, vcc, v2, v1, vcc
	global_load_dword v6, v[4:5], off
	v_add_co_u32_e32 v0, vcc, s7, v0
	v_addc_co_u32_e32 v1, vcc, v3, v1, vcc
	v_cmp_le_i64_e32 vcc, s[10:11], v[0:1]
	v_cmp_lt_u64_e64 s[0:1], s[4:5], v[0:1]
	s_or_b64 s[0:1], vcc, s[0:1]
	s_and_b64 s[0:1], exec, s[0:1]
	s_or_b64 s[2:3], s[0:1], s[2:3]
	s_waitcnt vmcnt(0)
	v_lshrrev_b32_e32 v8, 8, v6
	v_and_b32_sdwa v9, v6, s6 dst_sel:DWORD dst_unused:UNUSED_PAD src0_sel:WORD_1 src1_sel:DWORD
	v_and_b32_e32 v7, 0xff, v6
	v_lshrrev_b32_e32 v6, 24, v6
	v_and_b32_e32 v8, 0xff, v8
	v_min_u16_sdwa v9, v9, s18 dst_sel:DWORD dst_unused:UNUSED_PAD src0_sel:DWORD src1_sel:BYTE_0
	v_min_u16_sdwa v6, v6, s18 dst_sel:DWORD dst_unused:UNUSED_PAD src0_sel:DWORD src1_sel:BYTE_0
	v_lshlrev_b32_e32 v9, 16, v9
	v_min_u16_sdwa v8, v8, s18 dst_sel:DWORD dst_unused:UNUSED_PAD src0_sel:DWORD src1_sel:BYTE_0
	v_min_u16_sdwa v7, v7, s18 dst_sel:DWORD dst_unused:UNUSED_PAD src0_sel:DWORD src1_sel:BYTE_0
	v_lshl_or_b32 v6, v6, 24, v9
	v_lshlrev_b32_e32 v8, 8, v8
	v_or3_b32 v6, v6, v8, v7
	global_store_dword v[4:5], v6, off
	s_andn2_b64 exec, exec, s[2:3]
	s_cbranch_execnz .LBB107_24
.LBB107_25:
	s_endpgm
	.section	.rodata,"a",@progbits
	.p2align	6, 0x0
	.amdhsa_kernel _ZN2at6native12_GLOBAL__N_125multi_tensor_apply_kernelINS1_18TensorListMetadataILi1EEENS1_21BinaryOpScalarFunctorIhLi1ELi1ELi0EEEJNS0_7minimumIhEEhEEEvT_T0_DpT1_
		.amdhsa_group_segment_fixed_size 0
		.amdhsa_private_segment_fixed_size 0
		.amdhsa_kernarg_size 3632
		.amdhsa_user_sgpr_count 6
		.amdhsa_user_sgpr_private_segment_buffer 1
		.amdhsa_user_sgpr_dispatch_ptr 0
		.amdhsa_user_sgpr_queue_ptr 0
		.amdhsa_user_sgpr_kernarg_segment_ptr 1
		.amdhsa_user_sgpr_dispatch_id 0
		.amdhsa_user_sgpr_flat_scratch_init 0
		.amdhsa_user_sgpr_kernarg_preload_length 0
		.amdhsa_user_sgpr_kernarg_preload_offset 0
		.amdhsa_user_sgpr_private_segment_size 0
		.amdhsa_uses_dynamic_stack 0
		.amdhsa_system_sgpr_private_segment_wavefront_offset 0
		.amdhsa_system_sgpr_workgroup_id_x 1
		.amdhsa_system_sgpr_workgroup_id_y 0
		.amdhsa_system_sgpr_workgroup_id_z 0
		.amdhsa_system_sgpr_workgroup_info 0
		.amdhsa_system_vgpr_workitem_id 0
		.amdhsa_next_free_vgpr 26
		.amdhsa_next_free_sgpr 22
		.amdhsa_accum_offset 28
		.amdhsa_reserve_vcc 1
		.amdhsa_reserve_flat_scratch 0
		.amdhsa_float_round_mode_32 0
		.amdhsa_float_round_mode_16_64 0
		.amdhsa_float_denorm_mode_32 3
		.amdhsa_float_denorm_mode_16_64 3
		.amdhsa_dx10_clamp 1
		.amdhsa_ieee_mode 1
		.amdhsa_fp16_overflow 0
		.amdhsa_tg_split 0
		.amdhsa_exception_fp_ieee_invalid_op 0
		.amdhsa_exception_fp_denorm_src 0
		.amdhsa_exception_fp_ieee_div_zero 0
		.amdhsa_exception_fp_ieee_overflow 0
		.amdhsa_exception_fp_ieee_underflow 0
		.amdhsa_exception_fp_ieee_inexact 0
		.amdhsa_exception_int_div_zero 0
	.end_amdhsa_kernel
	.section	.text._ZN2at6native12_GLOBAL__N_125multi_tensor_apply_kernelINS1_18TensorListMetadataILi1EEENS1_21BinaryOpScalarFunctorIhLi1ELi1ELi0EEEJNS0_7minimumIhEEhEEEvT_T0_DpT1_,"axG",@progbits,_ZN2at6native12_GLOBAL__N_125multi_tensor_apply_kernelINS1_18TensorListMetadataILi1EEENS1_21BinaryOpScalarFunctorIhLi1ELi1ELi0EEEJNS0_7minimumIhEEhEEEvT_T0_DpT1_,comdat
.Lfunc_end107:
	.size	_ZN2at6native12_GLOBAL__N_125multi_tensor_apply_kernelINS1_18TensorListMetadataILi1EEENS1_21BinaryOpScalarFunctorIhLi1ELi1ELi0EEEJNS0_7minimumIhEEhEEEvT_T0_DpT1_, .Lfunc_end107-_ZN2at6native12_GLOBAL__N_125multi_tensor_apply_kernelINS1_18TensorListMetadataILi1EEENS1_21BinaryOpScalarFunctorIhLi1ELi1ELi0EEEJNS0_7minimumIhEEhEEEvT_T0_DpT1_
                                        ; -- End function
	.section	.AMDGPU.csdata,"",@progbits
; Kernel info:
; codeLenInByte = 1148
; NumSgprs: 26
; NumVgprs: 26
; NumAgprs: 0
; TotalNumVgprs: 26
; ScratchSize: 0
; MemoryBound: 0
; FloatMode: 240
; IeeeMode: 1
; LDSByteSize: 0 bytes/workgroup (compile time only)
; SGPRBlocks: 3
; VGPRBlocks: 3
; NumSGPRsForWavesPerEU: 26
; NumVGPRsForWavesPerEU: 26
; AccumOffset: 28
; Occupancy: 8
; WaveLimiterHint : 0
; COMPUTE_PGM_RSRC2:SCRATCH_EN: 0
; COMPUTE_PGM_RSRC2:USER_SGPR: 6
; COMPUTE_PGM_RSRC2:TRAP_HANDLER: 0
; COMPUTE_PGM_RSRC2:TGID_X_EN: 1
; COMPUTE_PGM_RSRC2:TGID_Y_EN: 0
; COMPUTE_PGM_RSRC2:TGID_Z_EN: 0
; COMPUTE_PGM_RSRC2:TIDIG_COMP_CNT: 0
; COMPUTE_PGM_RSRC3_GFX90A:ACCUM_OFFSET: 6
; COMPUTE_PGM_RSRC3_GFX90A:TG_SPLIT: 0
	.section	.text._ZN2at6native12_GLOBAL__N_125multi_tensor_apply_kernelINS1_18TensorListMetadataILi1EEENS1_21BinaryOpScalarFunctorIaLi1ELi1ELi0EEEJNS0_7minimumIaEEaEEEvT_T0_DpT1_,"axG",@progbits,_ZN2at6native12_GLOBAL__N_125multi_tensor_apply_kernelINS1_18TensorListMetadataILi1EEENS1_21BinaryOpScalarFunctorIaLi1ELi1ELi0EEEJNS0_7minimumIaEEaEEEvT_T0_DpT1_,comdat
	.globl	_ZN2at6native12_GLOBAL__N_125multi_tensor_apply_kernelINS1_18TensorListMetadataILi1EEENS1_21BinaryOpScalarFunctorIaLi1ELi1ELi0EEEJNS0_7minimumIaEEaEEEvT_T0_DpT1_ ; -- Begin function _ZN2at6native12_GLOBAL__N_125multi_tensor_apply_kernelINS1_18TensorListMetadataILi1EEENS1_21BinaryOpScalarFunctorIaLi1ELi1ELi0EEEJNS0_7minimumIaEEaEEEvT_T0_DpT1_
	.p2align	8
	.type	_ZN2at6native12_GLOBAL__N_125multi_tensor_apply_kernelINS1_18TensorListMetadataILi1EEENS1_21BinaryOpScalarFunctorIaLi1ELi1ELi0EEEJNS0_7minimumIaEEaEEEvT_T0_DpT1_,@function
_ZN2at6native12_GLOBAL__N_125multi_tensor_apply_kernelINS1_18TensorListMetadataILi1EEENS1_21BinaryOpScalarFunctorIaLi1ELi1ELi0EEEJNS0_7minimumIaEEaEEEvT_T0_DpT1_: ; @_ZN2at6native12_GLOBAL__N_125multi_tensor_apply_kernelINS1_18TensorListMetadataILi1EEENS1_21BinaryOpScalarFunctorIaLi1ELi1ELi0EEEJNS0_7minimumIaEEaEEEvT_T0_DpT1_
; %bb.0:
	v_mov_b32_e32 v1, s6
	global_load_ubyte v1, v1, s[4:5] offset:1760
	s_load_dword s0, s[4:5], 0xd28
	s_mul_i32 s2, s6, 3
	s_mul_hi_u32 s1, s6, 3
	s_waitcnt lgkmcnt(0)
	s_lshr_b32 s19, s0, 16
	s_add_u32 s0, s4, s6
	s_addc_u32 s3, s5, 0
	s_add_u32 s0, s0, s2
	s_addc_u32 s1, s3, s1
	s_load_dword s2, s[0:1], 0x820
	s_waitcnt vmcnt(0)
	v_readfirstlane_b32 s0, v1
	s_lshl_b32 s3, s0, 3
	s_load_dwordx2 s[0:1], s[4:5], s3 offset:0x0
	s_load_dwordx2 s[6:7], s[4:5], s3 offset:0x370
	s_waitcnt lgkmcnt(0)
	s_ashr_i32 s3, s2, 31
	s_lshl_b64 s[2:3], s[2:3], 16
	s_add_u32 s18, s0, s2
	s_addc_u32 s20, s1, s3
	s_sub_u32 s10, s6, s2
	s_subb_u32 s11, s7, s3
	s_or_b32 s6, s6, s18
	s_and_b32 s6, s6, 3
	s_cmp_eq_u32 s6, 0
	s_cbranch_scc1 .LBB108_21
; %bb.1:
	v_cmp_lt_i64_e64 s[6:7], s[10:11], 1
	s_and_b64 vcc, exec, s[6:7]
	s_cbranch_vccnz .LBB108_20
; %bb.2:
	s_load_dword s6, s[4:5], 0xd3c
	v_mov_b32_e32 v2, 0x10000
	v_mov_b32_e32 v3, 0
	v_cmp_lt_u64_e32 vcc, s[10:11], v[2:3]
	v_mov_b32_e32 v1, s3
	s_waitcnt lgkmcnt(0)
	s_and_b32 s8, s6, 0xffff
	s_and_b64 s[6:7], vcc, exec
	s_cselect_b32 s13, s11, 0
	s_cselect_b32 s12, s10, 0x10000
	s_lshl_b32 s9, s8, 1
	s_mul_i32 s6, s8, 3
	s_lshl_b32 s21, s8, 2
	s_add_u32 s7, s2, s6
	v_add_co_u32_e32 v4, vcc, s2, v0
	s_addc_u32 s14, s3, 0
	v_addc_co_u32_e32 v5, vcc, 0, v1, vcc
	s_add_u32 s7, s0, s7
	v_mov_b32_e32 v6, s1
	v_add_co_u32_e32 v1, vcc, s0, v4
	s_addc_u32 s14, s1, s14
	v_addc_co_u32_e32 v6, vcc, v6, v5, vcc
	s_add_u32 s2, s2, s9
	v_mov_b32_e32 v8, s14
	v_add_co_u32_e32 v7, vcc, s7, v0
	s_addc_u32 s3, s3, 0
	v_addc_co_u32_e32 v8, vcc, 0, v8, vcc
	s_add_u32 s2, s0, s2
	v_add_co_u32_e32 v9, vcc, s6, v0
	s_addc_u32 s3, s1, s3
	v_addc_co_u32_e64 v10, s[6:7], 0, 0, vcc
	v_mov_b32_e32 v12, s3
	v_add_co_u32_e32 v11, vcc, s2, v0
	v_addc_co_u32_e32 v12, vcc, 0, v12, vcc
	s_add_u32 s0, s0, s8
	v_add_co_u32_e32 v13, vcc, s9, v0
	s_addc_u32 s1, s1, 0
	v_addc_co_u32_e64 v14, s[2:3], 0, 0, vcc
	v_mov_b32_e32 v16, s1
	v_add_co_u32_e32 v15, vcc, s0, v4
	v_addc_co_u32_e32 v16, vcc, v16, v5, vcc
	v_add_co_u32_e32 v17, vcc, s8, v0
	v_addc_co_u32_e64 v18, s[0:1], 0, 0, vcc
	s_mov_b64 s[14:15], 0
	v_pk_mov_b32 v[4:5], s[10:11], s[10:11] op_sel:[0,1]
	s_bfe_i32 s22, s19, 0x80000
	s_branch .LBB108_4
.LBB108_3:                              ;   in Loop: Header=BB108_4 Depth=1
	s_or_b64 exec, exec, s[0:1]
	s_add_u32 s14, s14, s21
	s_addc_u32 s15, s15, 0
	v_cmp_lt_i64_e32 vcc, s[14:15], v[4:5]
	v_cmp_lt_u64_e64 s[0:1], s[14:15], v[2:3]
	s_and_b64 s[0:1], vcc, s[0:1]
	s_and_b64 vcc, exec, s[0:1]
	s_cbranch_vccz .LBB108_20
.LBB108_4:                              ; =>This Inner Loop Header: Depth=1
	s_waitcnt vmcnt(0)
	v_mov_b32_e32 v19, s15
	v_add_co_u32_e32 v20, vcc, s14, v0
	v_addc_co_u32_e32 v21, vcc, 0, v19, vcc
	v_cmp_gt_u64_e32 vcc, s[12:13], v[20:21]
	v_mov_b32_e32 v19, 0
	s_and_saveexec_b64 s[2:3], vcc
	s_cbranch_execz .LBB108_6
; %bb.5:                                ;   in Loop: Header=BB108_4 Depth=1
	v_mov_b32_e32 v19, s15
	v_add_co_u32_e64 v20, s[0:1], s14, v1
	v_addc_co_u32_e64 v21, s[0:1], v6, v19, s[0:1]
	global_load_ubyte v19, v[20:21], off
.LBB108_6:                              ;   in Loop: Header=BB108_4 Depth=1
	s_or_b64 exec, exec, s[2:3]
	v_mov_b32_e32 v21, s15
	v_add_co_u32_e64 v20, s[0:1], s14, v17
	v_addc_co_u32_e64 v21, s[0:1], v18, v21, s[0:1]
	v_cmp_gt_u64_e64 s[0:1], s[12:13], v[20:21]
	v_mov_b32_e32 v21, 0
	s_and_saveexec_b64 s[6:7], s[0:1]
	s_cbranch_execz .LBB108_8
; %bb.7:                                ;   in Loop: Header=BB108_4 Depth=1
	v_mov_b32_e32 v21, s15
	v_add_co_u32_e64 v20, s[2:3], s14, v15
	v_addc_co_u32_e64 v21, s[2:3], v16, v21, s[2:3]
	global_load_ubyte v21, v[20:21], off
.LBB108_8:                              ;   in Loop: Header=BB108_4 Depth=1
	s_or_b64 exec, exec, s[6:7]
	v_mov_b32_e32 v20, s15
	v_add_co_u32_e64 v22, s[2:3], s14, v13
	v_addc_co_u32_e64 v23, s[2:3], v14, v20, s[2:3]
	v_cmp_gt_u64_e64 s[2:3], s[12:13], v[22:23]
	v_mov_b32_e32 v20, 0
	v_mov_b32_e32 v22, 0
	s_and_saveexec_b64 s[8:9], s[2:3]
	s_cbranch_execz .LBB108_10
; %bb.9:                                ;   in Loop: Header=BB108_4 Depth=1
	v_mov_b32_e32 v23, s15
	v_add_co_u32_e64 v22, s[6:7], s14, v11
	v_addc_co_u32_e64 v23, s[6:7], v12, v23, s[6:7]
	global_load_ubyte v22, v[22:23], off
.LBB108_10:                             ;   in Loop: Header=BB108_4 Depth=1
	s_or_b64 exec, exec, s[8:9]
	v_mov_b32_e32 v23, s15
	v_add_co_u32_e64 v24, s[6:7], s14, v9
	v_addc_co_u32_e64 v25, s[6:7], v10, v23, s[6:7]
	v_cmp_gt_u64_e64 s[6:7], s[12:13], v[24:25]
	s_and_saveexec_b64 s[16:17], s[6:7]
	s_cbranch_execnz .LBB108_15
; %bb.11:                               ;   in Loop: Header=BB108_4 Depth=1
	s_or_b64 exec, exec, s[16:17]
	s_and_saveexec_b64 s[8:9], vcc
	s_cbranch_execnz .LBB108_16
.LBB108_12:                             ;   in Loop: Header=BB108_4 Depth=1
	s_or_b64 exec, exec, s[8:9]
	s_and_saveexec_b64 s[8:9], s[0:1]
	s_cbranch_execnz .LBB108_17
.LBB108_13:                             ;   in Loop: Header=BB108_4 Depth=1
	s_or_b64 exec, exec, s[8:9]
	s_and_saveexec_b64 s[0:1], s[2:3]
	s_cbranch_execnz .LBB108_18
.LBB108_14:                             ;   in Loop: Header=BB108_4 Depth=1
	s_or_b64 exec, exec, s[0:1]
	s_and_saveexec_b64 s[0:1], s[6:7]
	s_cbranch_execz .LBB108_3
	s_branch .LBB108_19
.LBB108_15:                             ;   in Loop: Header=BB108_4 Depth=1
	v_mov_b32_e32 v20, s15
	v_add_co_u32_e64 v24, s[8:9], s14, v7
	v_addc_co_u32_e64 v25, s[8:9], v8, v20, s[8:9]
	global_load_ubyte v20, v[24:25], off
	s_or_b64 exec, exec, s[16:17]
	s_and_saveexec_b64 s[8:9], vcc
	s_cbranch_execz .LBB108_12
.LBB108_16:                             ;   in Loop: Header=BB108_4 Depth=1
	v_mov_b32_e32 v23, s15
	v_add_co_u32_e32 v24, vcc, s14, v1
	s_waitcnt vmcnt(0)
	v_min_i16_sdwa v19, sext(v19), s22 dst_sel:DWORD dst_unused:UNUSED_PAD src0_sel:BYTE_0 src1_sel:DWORD
	v_addc_co_u32_e32 v25, vcc, v6, v23, vcc
	global_store_byte v[24:25], v19, off
	s_or_b64 exec, exec, s[8:9]
	s_and_saveexec_b64 s[8:9], s[0:1]
	s_cbranch_execz .LBB108_13
.LBB108_17:                             ;   in Loop: Header=BB108_4 Depth=1
	s_waitcnt vmcnt(0)
	v_min_i16_sdwa v19, sext(v21), s22 dst_sel:DWORD dst_unused:UNUSED_PAD src0_sel:BYTE_0 src1_sel:DWORD
	v_mov_b32_e32 v21, s15
	v_add_co_u32_e32 v24, vcc, s14, v15
	v_addc_co_u32_e32 v25, vcc, v16, v21, vcc
	global_store_byte v[24:25], v19, off
	s_or_b64 exec, exec, s[8:9]
	s_and_saveexec_b64 s[0:1], s[2:3]
	s_cbranch_execz .LBB108_14
.LBB108_18:                             ;   in Loop: Header=BB108_4 Depth=1
	s_waitcnt vmcnt(0)
	v_min_i16_sdwa v19, sext(v22), s22 dst_sel:DWORD dst_unused:UNUSED_PAD src0_sel:BYTE_0 src1_sel:DWORD
	v_mov_b32_e32 v21, s15
	v_add_co_u32_e32 v22, vcc, s14, v11
	v_addc_co_u32_e32 v23, vcc, v12, v21, vcc
	global_store_byte v[22:23], v19, off
	s_or_b64 exec, exec, s[0:1]
	s_and_saveexec_b64 s[0:1], s[6:7]
	s_cbranch_execz .LBB108_3
.LBB108_19:                             ;   in Loop: Header=BB108_4 Depth=1
	s_waitcnt vmcnt(0)
	v_min_i16_sdwa v19, sext(v20), s22 dst_sel:DWORD dst_unused:UNUSED_PAD src0_sel:BYTE_0 src1_sel:DWORD
	v_mov_b32_e32 v21, s15
	v_add_co_u32_e32 v20, vcc, s14, v7
	v_addc_co_u32_e32 v21, vcc, v8, v21, vcc
	global_store_byte v[20:21], v19, off
	s_branch .LBB108_3
.LBB108_20:
	s_cbranch_execz .LBB108_22
	s_branch .LBB108_25
.LBB108_21:
.LBB108_22:
	v_lshlrev_b32_e32 v0, 2, v0
	v_mov_b32_e32 v1, 0
	v_cmp_gt_i64_e32 vcc, s[10:11], v[0:1]
	s_and_saveexec_b64 s[0:1], vcc
	s_cbranch_execz .LBB108_25
; %bb.23:
	s_load_dword s0, s[4:5], 0xd3c
	s_mov_b32 s1, 0
	s_mov_b64 s[2:3], 0
	v_mov_b32_e32 v2, s20
	s_bfe_i32 s6, s19, 0x80000
	s_waitcnt lgkmcnt(0)
	s_and_b32 s0, s0, 0xffff
	s_lshl_b32 s7, s0, 2
	v_mov_b32_e32 v3, s1
	s_mov_b64 s[4:5], 0xffff
	v_mov_b32_e32 v4, 8
.LBB108_24:                             ; =>This Inner Loop Header: Depth=1
	v_add_co_u32_e32 v6, vcc, s18, v0
	v_addc_co_u32_e32 v7, vcc, v2, v1, vcc
	global_load_dword v5, v[6:7], off
	v_add_co_u32_e32 v0, vcc, s7, v0
	v_addc_co_u32_e32 v1, vcc, v3, v1, vcc
	v_cmp_le_i64_e32 vcc, s[10:11], v[0:1]
	v_cmp_lt_u64_e64 s[0:1], s[4:5], v[0:1]
	s_or_b64 s[0:1], vcc, s[0:1]
	s_and_b64 s[0:1], exec, s[0:1]
	s_or_b64 s[2:3], s[0:1], s[2:3]
	s_waitcnt vmcnt(0)
	v_lshrrev_b32_e32 v10, 16, v5
	v_min_i16_sdwa v10, sext(v10), s6 dst_sel:DWORD dst_unused:UNUSED_PAD src0_sel:BYTE_0 src1_sel:DWORD
	v_min_i16_sdwa v8, sext(v5), s6 dst_sel:DWORD dst_unused:UNUSED_PAD src0_sel:BYTE_0 src1_sel:DWORD
	v_lshrrev_b32_e32 v9, 8, v5
	v_lshrrev_b32_e32 v5, 24, v5
	v_and_b32_e32 v10, 0xff, v10
	v_min_i16_sdwa v9, sext(v9), s6 dst_sel:DWORD dst_unused:UNUSED_PAD src0_sel:BYTE_0 src1_sel:DWORD
	v_min_i16_sdwa v5, sext(v5), s6 dst_sel:DWORD dst_unused:UNUSED_PAD src0_sel:BYTE_0 src1_sel:DWORD
	v_lshlrev_b32_e32 v10, 16, v10
	v_and_b32_e32 v8, 0xff, v8
	v_lshlrev_b32_sdwa v9, v4, v9 dst_sel:DWORD dst_unused:UNUSED_PAD src0_sel:DWORD src1_sel:BYTE_0
	v_lshl_or_b32 v5, v5, 24, v10
	v_or3_b32 v5, v5, v9, v8
	global_store_dword v[6:7], v5, off
	s_andn2_b64 exec, exec, s[2:3]
	s_cbranch_execnz .LBB108_24
.LBB108_25:
	s_endpgm
	.section	.rodata,"a",@progbits
	.p2align	6, 0x0
	.amdhsa_kernel _ZN2at6native12_GLOBAL__N_125multi_tensor_apply_kernelINS1_18TensorListMetadataILi1EEENS1_21BinaryOpScalarFunctorIaLi1ELi1ELi0EEEJNS0_7minimumIaEEaEEEvT_T0_DpT1_
		.amdhsa_group_segment_fixed_size 0
		.amdhsa_private_segment_fixed_size 0
		.amdhsa_kernarg_size 3632
		.amdhsa_user_sgpr_count 6
		.amdhsa_user_sgpr_private_segment_buffer 1
		.amdhsa_user_sgpr_dispatch_ptr 0
		.amdhsa_user_sgpr_queue_ptr 0
		.amdhsa_user_sgpr_kernarg_segment_ptr 1
		.amdhsa_user_sgpr_dispatch_id 0
		.amdhsa_user_sgpr_flat_scratch_init 0
		.amdhsa_user_sgpr_kernarg_preload_length 0
		.amdhsa_user_sgpr_kernarg_preload_offset 0
		.amdhsa_user_sgpr_private_segment_size 0
		.amdhsa_uses_dynamic_stack 0
		.amdhsa_system_sgpr_private_segment_wavefront_offset 0
		.amdhsa_system_sgpr_workgroup_id_x 1
		.amdhsa_system_sgpr_workgroup_id_y 0
		.amdhsa_system_sgpr_workgroup_id_z 0
		.amdhsa_system_sgpr_workgroup_info 0
		.amdhsa_system_vgpr_workitem_id 0
		.amdhsa_next_free_vgpr 26
		.amdhsa_next_free_sgpr 23
		.amdhsa_accum_offset 28
		.amdhsa_reserve_vcc 1
		.amdhsa_reserve_flat_scratch 0
		.amdhsa_float_round_mode_32 0
		.amdhsa_float_round_mode_16_64 0
		.amdhsa_float_denorm_mode_32 3
		.amdhsa_float_denorm_mode_16_64 3
		.amdhsa_dx10_clamp 1
		.amdhsa_ieee_mode 1
		.amdhsa_fp16_overflow 0
		.amdhsa_tg_split 0
		.amdhsa_exception_fp_ieee_invalid_op 0
		.amdhsa_exception_fp_denorm_src 0
		.amdhsa_exception_fp_ieee_div_zero 0
		.amdhsa_exception_fp_ieee_overflow 0
		.amdhsa_exception_fp_ieee_underflow 0
		.amdhsa_exception_fp_ieee_inexact 0
		.amdhsa_exception_int_div_zero 0
	.end_amdhsa_kernel
	.section	.text._ZN2at6native12_GLOBAL__N_125multi_tensor_apply_kernelINS1_18TensorListMetadataILi1EEENS1_21BinaryOpScalarFunctorIaLi1ELi1ELi0EEEJNS0_7minimumIaEEaEEEvT_T0_DpT1_,"axG",@progbits,_ZN2at6native12_GLOBAL__N_125multi_tensor_apply_kernelINS1_18TensorListMetadataILi1EEENS1_21BinaryOpScalarFunctorIaLi1ELi1ELi0EEEJNS0_7minimumIaEEaEEEvT_T0_DpT1_,comdat
.Lfunc_end108:
	.size	_ZN2at6native12_GLOBAL__N_125multi_tensor_apply_kernelINS1_18TensorListMetadataILi1EEENS1_21BinaryOpScalarFunctorIaLi1ELi1ELi0EEEJNS0_7minimumIaEEaEEEvT_T0_DpT1_, .Lfunc_end108-_ZN2at6native12_GLOBAL__N_125multi_tensor_apply_kernelINS1_18TensorListMetadataILi1EEENS1_21BinaryOpScalarFunctorIaLi1ELi1ELi0EEEJNS0_7minimumIaEEaEEEvT_T0_DpT1_
                                        ; -- End function
	.section	.AMDGPU.csdata,"",@progbits
; Kernel info:
; codeLenInByte = 1164
; NumSgprs: 27
; NumVgprs: 26
; NumAgprs: 0
; TotalNumVgprs: 26
; ScratchSize: 0
; MemoryBound: 0
; FloatMode: 240
; IeeeMode: 1
; LDSByteSize: 0 bytes/workgroup (compile time only)
; SGPRBlocks: 3
; VGPRBlocks: 3
; NumSGPRsForWavesPerEU: 27
; NumVGPRsForWavesPerEU: 26
; AccumOffset: 28
; Occupancy: 8
; WaveLimiterHint : 0
; COMPUTE_PGM_RSRC2:SCRATCH_EN: 0
; COMPUTE_PGM_RSRC2:USER_SGPR: 6
; COMPUTE_PGM_RSRC2:TRAP_HANDLER: 0
; COMPUTE_PGM_RSRC2:TGID_X_EN: 1
; COMPUTE_PGM_RSRC2:TGID_Y_EN: 0
; COMPUTE_PGM_RSRC2:TGID_Z_EN: 0
; COMPUTE_PGM_RSRC2:TIDIG_COMP_CNT: 0
; COMPUTE_PGM_RSRC3_GFX90A:ACCUM_OFFSET: 6
; COMPUTE_PGM_RSRC3_GFX90A:TG_SPLIT: 0
	.section	.text._ZN2at6native12_GLOBAL__N_125multi_tensor_apply_kernelINS1_18TensorListMetadataILi1EEENS1_21BinaryOpScalarFunctorIiLi1ELi1ELi0EEEJNS0_7minimumIiEEiEEEvT_T0_DpT1_,"axG",@progbits,_ZN2at6native12_GLOBAL__N_125multi_tensor_apply_kernelINS1_18TensorListMetadataILi1EEENS1_21BinaryOpScalarFunctorIiLi1ELi1ELi0EEEJNS0_7minimumIiEEiEEEvT_T0_DpT1_,comdat
	.globl	_ZN2at6native12_GLOBAL__N_125multi_tensor_apply_kernelINS1_18TensorListMetadataILi1EEENS1_21BinaryOpScalarFunctorIiLi1ELi1ELi0EEEJNS0_7minimumIiEEiEEEvT_T0_DpT1_ ; -- Begin function _ZN2at6native12_GLOBAL__N_125multi_tensor_apply_kernelINS1_18TensorListMetadataILi1EEENS1_21BinaryOpScalarFunctorIiLi1ELi1ELi0EEEJNS0_7minimumIiEEiEEEvT_T0_DpT1_
	.p2align	8
	.type	_ZN2at6native12_GLOBAL__N_125multi_tensor_apply_kernelINS1_18TensorListMetadataILi1EEENS1_21BinaryOpScalarFunctorIiLi1ELi1ELi0EEEJNS0_7minimumIiEEiEEEvT_T0_DpT1_,@function
_ZN2at6native12_GLOBAL__N_125multi_tensor_apply_kernelINS1_18TensorListMetadataILi1EEENS1_21BinaryOpScalarFunctorIiLi1ELi1ELi0EEEJNS0_7minimumIiEEiEEEvT_T0_DpT1_: ; @_ZN2at6native12_GLOBAL__N_125multi_tensor_apply_kernelINS1_18TensorListMetadataILi1EEENS1_21BinaryOpScalarFunctorIiLi1ELi1ELi0EEEJNS0_7minimumIiEEiEEEvT_T0_DpT1_
; %bb.0:
	v_mov_b32_e32 v1, s6
	global_load_ubyte v1, v1, s[4:5] offset:1760
	s_add_u32 s0, s4, s6
	s_mul_hi_u32 s1, s6, 3
	s_mul_i32 s6, s6, 3
	s_addc_u32 s2, s5, 0
	s_add_u32 s0, s0, s6
	s_addc_u32 s1, s2, s1
	s_load_dword s0, s[0:1], 0x820
	s_mov_b32 s7, 0
	s_waitcnt vmcnt(0)
	v_readfirstlane_b32 s1, v1
	s_lshl_b32 s1, s1, 3
	s_load_dword s22, s[4:5], 0xd2c
	s_load_dwordx2 s[2:3], s[4:5], s1 offset:0x370
	s_load_dwordx2 s[12:13], s[4:5], s1 offset:0x0
	s_waitcnt lgkmcnt(0)
	s_ashr_i32 s1, s0, 31
	s_lshl_b64 s[14:15], s[0:1], 18
	s_lshl_b64 s[0:1], s[0:1], 16
	s_and_b32 s6, s12, 15
	s_sub_u32 s10, s2, s0
	s_subb_u32 s11, s3, s1
	s_and_b32 s0, s2, 3
	s_mov_b32 s1, s7
	s_or_b64 s[0:1], s[6:7], s[0:1]
	s_cmp_eq_u64 s[0:1], 0
	s_cbranch_scc1 .LBB109_21
; %bb.1:
	v_cmp_lt_i64_e64 s[0:1], s[10:11], 1
	s_and_b64 vcc, exec, s[0:1]
	s_cbranch_vccnz .LBB109_20
; %bb.2:
	s_load_dword s0, s[4:5], 0xd3c
	v_mov_b32_e32 v2, 0x10000
	v_mov_b32_e32 v3, 0
	v_cmp_lt_u64_e32 vcc, s[10:11], v[2:3]
	v_lshlrev_b32_e32 v1, 2, v0
	s_waitcnt lgkmcnt(0)
	s_and_b32 s3, s0, 0xffff
	s_and_b64 s[0:1], vcc, exec
	s_cselect_b32 s17, s11, 0
	s_cselect_b32 s16, s10, 0x10000
	s_lshl_b32 s6, s3, 1
	s_lshl_b32 s23, s3, 2
	s_add_u32 s7, s12, s14
	s_addc_u32 s8, s13, s15
	v_mov_b32_e32 v5, s8
	v_add_co_u32_e32 v4, vcc, s7, v1
	s_mul_i32 s0, s3, 3
	v_addc_co_u32_e32 v5, vcc, 0, v5, vcc
	v_add_co_u32_e32 v1, vcc, s0, v0
	v_addc_co_u32_e64 v10, s[0:1], 0, 0, vcc
	v_add_co_u32_e32 v11, vcc, s6, v0
	v_addc_co_u32_e64 v12, s[0:1], 0, 0, vcc
	v_add_co_u32_e32 v13, vcc, s3, v0
	v_lshlrev_b32_e32 v6, 2, v13
	s_mov_b32 s2, 0
	v_addc_co_u32_e64 v14, s[0:1], 0, 0, vcc
	v_mov_b32_e32 v7, s8
	v_add_co_u32_e32 v6, vcc, s7, v6
	s_lshl_b32 s24, s3, 4
	s_mul_i32 s25, s3, 12
	s_mov_b32 s26, s2
	s_lshl_b32 s27, s3, 3
	s_mov_b32 s28, s2
	v_addc_co_u32_e32 v7, vcc, 0, v7, vcc
	s_mov_b64 s[18:19], 0
	v_pk_mov_b32 v[8:9], s[10:11], s[10:11] op_sel:[0,1]
	v_mov_b32_e32 v15, s2
	s_branch .LBB109_4
.LBB109_3:                              ;   in Loop: Header=BB109_4 Depth=1
	s_or_b64 exec, exec, s[0:1]
	s_add_u32 s18, s18, s23
	s_addc_u32 s19, s19, 0
	v_cmp_lt_i64_e32 vcc, s[18:19], v[8:9]
	v_cmp_lt_u64_e64 s[0:1], s[18:19], v[2:3]
	s_and_b64 s[0:1], vcc, s[0:1]
	v_add_co_u32_e32 v4, vcc, s24, v4
	v_addc_co_u32_e32 v5, vcc, v5, v15, vcc
	v_add_co_u32_e32 v6, vcc, s24, v6
	v_addc_co_u32_e32 v7, vcc, v7, v15, vcc
	s_and_b64 vcc, exec, s[0:1]
	s_cbranch_vccz .LBB109_20
.LBB109_4:                              ; =>This Inner Loop Header: Depth=1
	s_waitcnt vmcnt(0)
	v_mov_b32_e32 v17, s19
	v_add_co_u32_e32 v16, vcc, s18, v0
	v_addc_co_u32_e32 v17, vcc, 0, v17, vcc
	v_cmp_gt_u64_e32 vcc, s[16:17], v[16:17]
	v_mov_b32_e32 v16, 0
	s_and_saveexec_b64 s[0:1], vcc
	s_cbranch_execz .LBB109_6
; %bb.5:                                ;   in Loop: Header=BB109_4 Depth=1
	global_load_dword v16, v[4:5], off
.LBB109_6:                              ;   in Loop: Header=BB109_4 Depth=1
	s_or_b64 exec, exec, s[0:1]
	v_mov_b32_e32 v17, s19
	v_add_co_u32_e64 v18, s[0:1], s18, v13
	v_addc_co_u32_e64 v19, s[0:1], v14, v17, s[0:1]
	v_cmp_gt_u64_e64 s[0:1], s[16:17], v[18:19]
	v_mov_b32_e32 v18, 0
	s_and_saveexec_b64 s[2:3], s[0:1]
	s_cbranch_execz .LBB109_8
; %bb.7:                                ;   in Loop: Header=BB109_4 Depth=1
	global_load_dword v18, v[6:7], off
.LBB109_8:                              ;   in Loop: Header=BB109_4 Depth=1
	s_or_b64 exec, exec, s[2:3]
	v_mov_b32_e32 v17, s19
	v_add_co_u32_e64 v20, s[2:3], s18, v11
	v_addc_co_u32_e64 v21, s[2:3], v12, v17, s[2:3]
	v_cmp_gt_u64_e64 s[2:3], s[16:17], v[20:21]
	v_mov_b32_e32 v17, 0
	v_mov_b32_e32 v19, 0
	s_and_saveexec_b64 s[8:9], s[2:3]
	s_cbranch_execz .LBB109_10
; %bb.9:                                ;   in Loop: Header=BB109_4 Depth=1
	v_mov_b32_e32 v19, s28
	v_add_co_u32_e64 v20, s[6:7], s27, v4
	v_addc_co_u32_e64 v21, s[6:7], v5, v19, s[6:7]
	global_load_dword v19, v[20:21], off
.LBB109_10:                             ;   in Loop: Header=BB109_4 Depth=1
	s_or_b64 exec, exec, s[8:9]
	v_mov_b32_e32 v21, s19
	v_add_co_u32_e64 v20, s[6:7], s18, v1
	v_addc_co_u32_e64 v21, s[6:7], v10, v21, s[6:7]
	v_cmp_gt_u64_e64 s[6:7], s[16:17], v[20:21]
	s_and_saveexec_b64 s[20:21], s[6:7]
	s_cbranch_execnz .LBB109_15
; %bb.11:                               ;   in Loop: Header=BB109_4 Depth=1
	s_or_b64 exec, exec, s[20:21]
	s_and_saveexec_b64 s[8:9], vcc
	s_cbranch_execnz .LBB109_16
.LBB109_12:                             ;   in Loop: Header=BB109_4 Depth=1
	s_or_b64 exec, exec, s[8:9]
	s_and_saveexec_b64 s[8:9], s[0:1]
	s_cbranch_execnz .LBB109_17
.LBB109_13:                             ;   in Loop: Header=BB109_4 Depth=1
	s_or_b64 exec, exec, s[8:9]
	s_and_saveexec_b64 s[0:1], s[2:3]
	s_cbranch_execnz .LBB109_18
.LBB109_14:                             ;   in Loop: Header=BB109_4 Depth=1
	s_or_b64 exec, exec, s[0:1]
	s_and_saveexec_b64 s[0:1], s[6:7]
	s_cbranch_execz .LBB109_3
	s_branch .LBB109_19
.LBB109_15:                             ;   in Loop: Header=BB109_4 Depth=1
	v_mov_b32_e32 v17, s26
	v_add_co_u32_e64 v20, s[8:9], s25, v4
	v_addc_co_u32_e64 v21, s[8:9], v5, v17, s[8:9]
	global_load_dword v17, v[20:21], off
	s_or_b64 exec, exec, s[20:21]
	s_and_saveexec_b64 s[8:9], vcc
	s_cbranch_execz .LBB109_12
.LBB109_16:                             ;   in Loop: Header=BB109_4 Depth=1
	s_waitcnt vmcnt(0)
	v_min_i32_e32 v16, s22, v16
	global_store_dword v[4:5], v16, off
	s_or_b64 exec, exec, s[8:9]
	s_and_saveexec_b64 s[8:9], s[0:1]
	s_cbranch_execz .LBB109_13
.LBB109_17:                             ;   in Loop: Header=BB109_4 Depth=1
	s_waitcnt vmcnt(0)
	v_min_i32_e32 v16, s22, v18
	global_store_dword v[6:7], v16, off
	s_or_b64 exec, exec, s[8:9]
	s_and_saveexec_b64 s[0:1], s[2:3]
	s_cbranch_execz .LBB109_14
.LBB109_18:                             ;   in Loop: Header=BB109_4 Depth=1
	s_waitcnt vmcnt(0)
	v_min_i32_e32 v16, s22, v19
	v_mov_b32_e32 v19, s28
	v_add_co_u32_e32 v18, vcc, s27, v4
	v_addc_co_u32_e32 v19, vcc, v5, v19, vcc
	global_store_dword v[18:19], v16, off
	s_or_b64 exec, exec, s[0:1]
	s_and_saveexec_b64 s[0:1], s[6:7]
	s_cbranch_execz .LBB109_3
.LBB109_19:                             ;   in Loop: Header=BB109_4 Depth=1
	s_waitcnt vmcnt(0)
	v_min_i32_e32 v18, s22, v17
	v_mov_b32_e32 v17, s26
	v_add_co_u32_e32 v16, vcc, s25, v4
	v_addc_co_u32_e32 v17, vcc, v5, v17, vcc
	global_store_dword v[16:17], v18, off
	s_branch .LBB109_3
.LBB109_20:
	s_cbranch_execz .LBB109_22
	s_branch .LBB109_25
.LBB109_21:
.LBB109_22:
	v_mov_b32_e32 v3, 0
	v_lshlrev_b32_e32 v2, 2, v0
	s_mov_b32 s0, 0
	v_cmp_gt_i64_e32 vcc, s[10:11], v[2:3]
	s_and_saveexec_b64 s[2:3], vcc
	s_cbranch_execz .LBB109_25
; %bb.23:
	s_load_dword s1, s[4:5], 0xd3c
	v_lshlrev_b32_e32 v1, 4, v0
	s_mov_b32 s6, s22
	s_mov_b64 s[4:5], 0xffff
	s_waitcnt lgkmcnt(0)
	s_and_b32 s1, s1, 0xffff
	s_add_u32 s2, s12, s14
	s_addc_u32 s3, s13, s15
	v_mov_b32_e32 v2, s3
	v_add_co_u32_e32 v1, vcc, s2, v1
	v_addc_co_u32_e32 v2, vcc, 0, v2, vcc
	v_add_co_u32_e32 v4, vcc, 8, v1
	v_addc_co_u32_e32 v5, vcc, 0, v2, vcc
	s_lshl_b32 s7, s1, 4
	v_add_lshl_u32 v2, v0, s1, 2
	s_lshl_b32 s8, s1, 2
	s_mov_b64 s[2:3], 0
	v_mov_b32_e32 v0, s0
	v_mov_b32_e32 v1, s0
.LBB109_24:                             ; =>This Inner Loop Header: Depth=1
	global_load_dwordx4 v[6:9], v[4:5], off offset:-8
	v_cmp_le_i64_e32 vcc, s[10:11], v[2:3]
	v_cmp_lt_u64_e64 s[0:1], s[4:5], v[2:3]
	s_or_b64 s[0:1], vcc, s[0:1]
	s_and_b64 s[0:1], exec, s[0:1]
	s_or_b64 s[2:3], s[0:1], s[2:3]
	s_waitcnt vmcnt(0)
	v_min_i32_e32 v7, s6, v7
	v_min_i32_e32 v6, s22, v6
	;; [unrolled: 1-line block ×4, first 2 shown]
	global_store_dwordx4 v[4:5], v[6:9], off offset:-8
	v_add_co_u32_e32 v4, vcc, s7, v4
	v_addc_co_u32_e32 v5, vcc, v5, v0, vcc
	v_add_co_u32_e32 v2, vcc, s8, v2
	v_addc_co_u32_e32 v3, vcc, v3, v1, vcc
	s_andn2_b64 exec, exec, s[2:3]
	s_cbranch_execnz .LBB109_24
.LBB109_25:
	s_endpgm
	.section	.rodata,"a",@progbits
	.p2align	6, 0x0
	.amdhsa_kernel _ZN2at6native12_GLOBAL__N_125multi_tensor_apply_kernelINS1_18TensorListMetadataILi1EEENS1_21BinaryOpScalarFunctorIiLi1ELi1ELi0EEEJNS0_7minimumIiEEiEEEvT_T0_DpT1_
		.amdhsa_group_segment_fixed_size 0
		.amdhsa_private_segment_fixed_size 0
		.amdhsa_kernarg_size 3632
		.amdhsa_user_sgpr_count 6
		.amdhsa_user_sgpr_private_segment_buffer 1
		.amdhsa_user_sgpr_dispatch_ptr 0
		.amdhsa_user_sgpr_queue_ptr 0
		.amdhsa_user_sgpr_kernarg_segment_ptr 1
		.amdhsa_user_sgpr_dispatch_id 0
		.amdhsa_user_sgpr_flat_scratch_init 0
		.amdhsa_user_sgpr_kernarg_preload_length 0
		.amdhsa_user_sgpr_kernarg_preload_offset 0
		.amdhsa_user_sgpr_private_segment_size 0
		.amdhsa_uses_dynamic_stack 0
		.amdhsa_system_sgpr_private_segment_wavefront_offset 0
		.amdhsa_system_sgpr_workgroup_id_x 1
		.amdhsa_system_sgpr_workgroup_id_y 0
		.amdhsa_system_sgpr_workgroup_id_z 0
		.amdhsa_system_sgpr_workgroup_info 0
		.amdhsa_system_vgpr_workitem_id 0
		.amdhsa_next_free_vgpr 22
		.amdhsa_next_free_sgpr 29
		.amdhsa_accum_offset 24
		.amdhsa_reserve_vcc 1
		.amdhsa_reserve_flat_scratch 0
		.amdhsa_float_round_mode_32 0
		.amdhsa_float_round_mode_16_64 0
		.amdhsa_float_denorm_mode_32 3
		.amdhsa_float_denorm_mode_16_64 3
		.amdhsa_dx10_clamp 1
		.amdhsa_ieee_mode 1
		.amdhsa_fp16_overflow 0
		.amdhsa_tg_split 0
		.amdhsa_exception_fp_ieee_invalid_op 0
		.amdhsa_exception_fp_denorm_src 0
		.amdhsa_exception_fp_ieee_div_zero 0
		.amdhsa_exception_fp_ieee_overflow 0
		.amdhsa_exception_fp_ieee_underflow 0
		.amdhsa_exception_fp_ieee_inexact 0
		.amdhsa_exception_int_div_zero 0
	.end_amdhsa_kernel
	.section	.text._ZN2at6native12_GLOBAL__N_125multi_tensor_apply_kernelINS1_18TensorListMetadataILi1EEENS1_21BinaryOpScalarFunctorIiLi1ELi1ELi0EEEJNS0_7minimumIiEEiEEEvT_T0_DpT1_,"axG",@progbits,_ZN2at6native12_GLOBAL__N_125multi_tensor_apply_kernelINS1_18TensorListMetadataILi1EEENS1_21BinaryOpScalarFunctorIiLi1ELi1ELi0EEEJNS0_7minimumIiEEiEEEvT_T0_DpT1_,comdat
.Lfunc_end109:
	.size	_ZN2at6native12_GLOBAL__N_125multi_tensor_apply_kernelINS1_18TensorListMetadataILi1EEENS1_21BinaryOpScalarFunctorIiLi1ELi1ELi0EEEJNS0_7minimumIiEEiEEEvT_T0_DpT1_, .Lfunc_end109-_ZN2at6native12_GLOBAL__N_125multi_tensor_apply_kernelINS1_18TensorListMetadataILi1EEENS1_21BinaryOpScalarFunctorIiLi1ELi1ELi0EEEJNS0_7minimumIiEEiEEEvT_T0_DpT1_
                                        ; -- End function
	.section	.AMDGPU.csdata,"",@progbits
; Kernel info:
; codeLenInByte = 1024
; NumSgprs: 33
; NumVgprs: 22
; NumAgprs: 0
; TotalNumVgprs: 22
; ScratchSize: 0
; MemoryBound: 0
; FloatMode: 240
; IeeeMode: 1
; LDSByteSize: 0 bytes/workgroup (compile time only)
; SGPRBlocks: 4
; VGPRBlocks: 2
; NumSGPRsForWavesPerEU: 33
; NumVGPRsForWavesPerEU: 22
; AccumOffset: 24
; Occupancy: 8
; WaveLimiterHint : 0
; COMPUTE_PGM_RSRC2:SCRATCH_EN: 0
; COMPUTE_PGM_RSRC2:USER_SGPR: 6
; COMPUTE_PGM_RSRC2:TRAP_HANDLER: 0
; COMPUTE_PGM_RSRC2:TGID_X_EN: 1
; COMPUTE_PGM_RSRC2:TGID_Y_EN: 0
; COMPUTE_PGM_RSRC2:TGID_Z_EN: 0
; COMPUTE_PGM_RSRC2:TIDIG_COMP_CNT: 0
; COMPUTE_PGM_RSRC3_GFX90A:ACCUM_OFFSET: 5
; COMPUTE_PGM_RSRC3_GFX90A:TG_SPLIT: 0
	.section	.text._ZN2at6native12_GLOBAL__N_125multi_tensor_apply_kernelINS1_18TensorListMetadataILi1EEENS1_21BinaryOpScalarFunctorIlLi1ELi1ELi0EEEJNS0_7minimumIlEElEEEvT_T0_DpT1_,"axG",@progbits,_ZN2at6native12_GLOBAL__N_125multi_tensor_apply_kernelINS1_18TensorListMetadataILi1EEENS1_21BinaryOpScalarFunctorIlLi1ELi1ELi0EEEJNS0_7minimumIlEElEEEvT_T0_DpT1_,comdat
	.globl	_ZN2at6native12_GLOBAL__N_125multi_tensor_apply_kernelINS1_18TensorListMetadataILi1EEENS1_21BinaryOpScalarFunctorIlLi1ELi1ELi0EEEJNS0_7minimumIlEElEEEvT_T0_DpT1_ ; -- Begin function _ZN2at6native12_GLOBAL__N_125multi_tensor_apply_kernelINS1_18TensorListMetadataILi1EEENS1_21BinaryOpScalarFunctorIlLi1ELi1ELi0EEEJNS0_7minimumIlEElEEEvT_T0_DpT1_
	.p2align	8
	.type	_ZN2at6native12_GLOBAL__N_125multi_tensor_apply_kernelINS1_18TensorListMetadataILi1EEENS1_21BinaryOpScalarFunctorIlLi1ELi1ELi0EEEJNS0_7minimumIlEElEEEvT_T0_DpT1_,@function
_ZN2at6native12_GLOBAL__N_125multi_tensor_apply_kernelINS1_18TensorListMetadataILi1EEENS1_21BinaryOpScalarFunctorIlLi1ELi1ELi0EEEJNS0_7minimumIlEElEEEvT_T0_DpT1_: ; @_ZN2at6native12_GLOBAL__N_125multi_tensor_apply_kernelINS1_18TensorListMetadataILi1EEENS1_21BinaryOpScalarFunctorIlLi1ELi1ELi0EEEJNS0_7minimumIlEElEEEvT_T0_DpT1_
; %bb.0:
	v_mov_b32_e32 v1, s6
	global_load_ubyte v1, v1, s[4:5] offset:1760
	s_add_u32 s0, s4, s6
	s_mul_hi_u32 s1, s6, 3
	s_mul_i32 s6, s6, 3
	s_addc_u32 s2, s5, 0
	s_add_u32 s0, s0, s6
	s_addc_u32 s1, s2, s1
	s_load_dword s0, s[0:1], 0x820
	s_mov_b32 s7, 0
	s_waitcnt vmcnt(0)
	v_readfirstlane_b32 s1, v1
	s_lshl_b32 s1, s1, 3
	s_load_dwordx2 s[10:11], s[4:5], 0xd30
	s_load_dwordx2 s[2:3], s[4:5], s1 offset:0x370
	s_load_dwordx2 s[14:15], s[4:5], s1 offset:0x0
	s_waitcnt lgkmcnt(0)
	s_ashr_i32 s1, s0, 31
	s_lshl_b64 s[16:17], s[0:1], 19
	s_lshl_b64 s[0:1], s[0:1], 16
	s_and_b32 s6, s14, 31
	s_sub_u32 s12, s2, s0
	s_subb_u32 s13, s3, s1
	s_and_b32 s0, s2, 3
	s_mov_b32 s1, s7
	s_or_b64 s[0:1], s[6:7], s[0:1]
	s_cmp_eq_u64 s[0:1], 0
	s_cbranch_scc1 .LBB110_21
; %bb.1:
	v_cmp_lt_i64_e64 s[0:1], s[12:13], 1
	s_and_b64 vcc, exec, s[0:1]
	s_cbranch_vccnz .LBB110_20
; %bb.2:
	s_load_dword s0, s[4:5], 0xd44
	v_mov_b32_e32 v2, 0x10000
	v_mov_b32_e32 v3, 0
	v_cmp_lt_u64_e32 vcc, s[12:13], v[2:3]
	v_lshlrev_b32_e32 v1, 3, v0
	s_waitcnt lgkmcnt(0)
	s_and_b32 s3, s0, 0xffff
	s_and_b64 s[0:1], vcc, exec
	s_cselect_b32 s19, s13, 0
	s_cselect_b32 s18, s12, 0x10000
	s_lshl_b32 s6, s3, 1
	s_lshl_b32 s24, s3, 2
	s_add_u32 s7, s14, s16
	s_addc_u32 s8, s15, s17
	v_mov_b32_e32 v3, s8
	v_add_co_u32_e32 v2, vcc, s7, v1
	s_mul_i32 s0, s3, 3
	v_addc_co_u32_e32 v3, vcc, 0, v3, vcc
	v_add_co_u32_e32 v1, vcc, s0, v0
	v_addc_co_u32_e64 v16, s[0:1], 0, 0, vcc
	v_add_co_u32_e32 v17, vcc, s6, v0
	v_addc_co_u32_e64 v18, s[0:1], 0, 0, vcc
	v_add_co_u32_e32 v19, vcc, s3, v0
	v_lshlrev_b32_e32 v4, 3, v19
	s_mov_b32 s2, 0
	v_addc_co_u32_e64 v20, s[0:1], 0, 0, vcc
	v_mov_b32_e32 v5, s8
	v_add_co_u32_e32 v4, vcc, s7, v4
	s_lshl_b32 s25, s3, 5
	s_mul_i32 s26, s3, 24
	s_mov_b32 s27, s2
	s_lshl_b32 s28, s3, 4
	s_mov_b32 s29, s2
	v_addc_co_u32_e32 v5, vcc, 0, v5, vcc
	s_mov_b64 s[20:21], 0
	v_pk_mov_b32 v[6:7], s[12:13], s[12:13] op_sel:[0,1]
	v_mov_b32_e32 v21, s2
	s_branch .LBB110_4
.LBB110_3:                              ;   in Loop: Header=BB110_4 Depth=1
	s_or_b64 exec, exec, s[0:1]
	s_add_u32 s20, s20, s24
	s_waitcnt vmcnt(0)
	v_mov_b32_e32 v8, 0x10000
	s_addc_u32 s21, s21, 0
	v_mov_b32_e32 v9, 0
	v_cmp_lt_i64_e32 vcc, s[20:21], v[6:7]
	v_cmp_lt_u64_e64 s[0:1], s[20:21], v[8:9]
	s_and_b64 s[0:1], vcc, s[0:1]
	v_add_co_u32_e32 v2, vcc, s25, v2
	v_addc_co_u32_e32 v3, vcc, v3, v21, vcc
	v_add_co_u32_e32 v4, vcc, s25, v4
	v_addc_co_u32_e32 v5, vcc, v5, v21, vcc
	s_and_b64 vcc, exec, s[0:1]
	s_cbranch_vccz .LBB110_20
.LBB110_4:                              ; =>This Inner Loop Header: Depth=1
	v_mov_b32_e32 v9, s21
	v_add_co_u32_e32 v8, vcc, s20, v0
	v_addc_co_u32_e32 v9, vcc, 0, v9, vcc
	v_cmp_gt_u64_e32 vcc, s[18:19], v[8:9]
	v_pk_mov_b32 v[8:9], 0, 0
	v_pk_mov_b32 v[12:13], v[8:9], v[8:9] op_sel:[0,1]
	s_and_saveexec_b64 s[0:1], vcc
	s_cbranch_execz .LBB110_6
; %bb.5:                                ;   in Loop: Header=BB110_4 Depth=1
	global_load_dwordx2 v[12:13], v[2:3], off
.LBB110_6:                              ;   in Loop: Header=BB110_4 Depth=1
	s_or_b64 exec, exec, s[0:1]
	v_mov_b32_e32 v11, s21
	v_add_co_u32_e64 v10, s[0:1], s20, v19
	v_addc_co_u32_e64 v11, s[0:1], v20, v11, s[0:1]
	v_cmp_gt_u64_e64 s[0:1], s[18:19], v[10:11]
	s_and_saveexec_b64 s[2:3], s[0:1]
	s_cbranch_execz .LBB110_8
; %bb.7:                                ;   in Loop: Header=BB110_4 Depth=1
	global_load_dwordx2 v[8:9], v[4:5], off
.LBB110_8:                              ;   in Loop: Header=BB110_4 Depth=1
	s_or_b64 exec, exec, s[2:3]
	v_mov_b32_e32 v11, s21
	v_add_co_u32_e64 v10, s[2:3], s20, v17
	v_addc_co_u32_e64 v11, s[2:3], v18, v11, s[2:3]
	v_cmp_gt_u64_e64 s[2:3], s[18:19], v[10:11]
	v_pk_mov_b32 v[10:11], 0, 0
	v_pk_mov_b32 v[14:15], v[10:11], v[10:11] op_sel:[0,1]
	s_and_saveexec_b64 s[8:9], s[2:3]
	s_cbranch_execz .LBB110_10
; %bb.9:                                ;   in Loop: Header=BB110_4 Depth=1
	v_mov_b32_e32 v15, s29
	v_add_co_u32_e64 v14, s[6:7], s28, v2
	v_addc_co_u32_e64 v15, s[6:7], v3, v15, s[6:7]
	global_load_dwordx2 v[14:15], v[14:15], off
.LBB110_10:                             ;   in Loop: Header=BB110_4 Depth=1
	s_or_b64 exec, exec, s[8:9]
	v_mov_b32_e32 v23, s21
	v_add_co_u32_e64 v22, s[6:7], s20, v1
	v_addc_co_u32_e64 v23, s[6:7], v16, v23, s[6:7]
	v_cmp_gt_u64_e64 s[6:7], s[18:19], v[22:23]
	s_and_saveexec_b64 s[22:23], s[6:7]
	s_cbranch_execnz .LBB110_15
; %bb.11:                               ;   in Loop: Header=BB110_4 Depth=1
	s_or_b64 exec, exec, s[22:23]
	s_and_saveexec_b64 s[8:9], vcc
	s_cbranch_execnz .LBB110_16
.LBB110_12:                             ;   in Loop: Header=BB110_4 Depth=1
	s_or_b64 exec, exec, s[8:9]
	s_and_saveexec_b64 s[8:9], s[0:1]
	s_cbranch_execnz .LBB110_17
.LBB110_13:                             ;   in Loop: Header=BB110_4 Depth=1
	s_or_b64 exec, exec, s[8:9]
	s_and_saveexec_b64 s[0:1], s[2:3]
	s_cbranch_execnz .LBB110_18
.LBB110_14:                             ;   in Loop: Header=BB110_4 Depth=1
	s_or_b64 exec, exec, s[0:1]
	s_and_saveexec_b64 s[0:1], s[6:7]
	s_cbranch_execz .LBB110_3
	s_branch .LBB110_19
.LBB110_15:                             ;   in Loop: Header=BB110_4 Depth=1
	v_mov_b32_e32 v11, s27
	v_add_co_u32_e64 v10, s[8:9], s26, v2
	v_addc_co_u32_e64 v11, s[8:9], v3, v11, s[8:9]
	global_load_dwordx2 v[10:11], v[10:11], off
	s_or_b64 exec, exec, s[22:23]
	s_and_saveexec_b64 s[8:9], vcc
	s_cbranch_execz .LBB110_12
.LBB110_16:                             ;   in Loop: Header=BB110_4 Depth=1
	v_mov_b32_e32 v22, s11
	s_waitcnt vmcnt(0)
	v_cmp_gt_i64_e32 vcc, s[10:11], v[12:13]
	v_cndmask_b32_e32 v13, v22, v13, vcc
	v_mov_b32_e32 v22, s10
	v_cndmask_b32_e32 v12, v22, v12, vcc
	global_store_dwordx2 v[2:3], v[12:13], off
	s_or_b64 exec, exec, s[8:9]
	s_and_saveexec_b64 s[8:9], s[0:1]
	s_cbranch_execz .LBB110_13
.LBB110_17:                             ;   in Loop: Header=BB110_4 Depth=1
	s_waitcnt vmcnt(0)
	v_mov_b32_e32 v12, s11
	v_cmp_gt_i64_e32 vcc, s[10:11], v[8:9]
	v_cndmask_b32_e32 v9, v12, v9, vcc
	v_mov_b32_e32 v12, s10
	v_cndmask_b32_e32 v8, v12, v8, vcc
	global_store_dwordx2 v[4:5], v[8:9], off
	s_or_b64 exec, exec, s[8:9]
	s_and_saveexec_b64 s[0:1], s[2:3]
	s_cbranch_execz .LBB110_14
.LBB110_18:                             ;   in Loop: Header=BB110_4 Depth=1
	s_waitcnt vmcnt(0)
	v_mov_b32_e32 v8, s11
	v_cmp_gt_i64_e32 vcc, s[10:11], v[14:15]
	v_cndmask_b32_e32 v9, v8, v15, vcc
	v_mov_b32_e32 v8, s10
	v_cndmask_b32_e32 v8, v8, v14, vcc
	v_mov_b32_e32 v13, s29
	v_add_co_u32_e32 v12, vcc, s28, v2
	v_addc_co_u32_e32 v13, vcc, v3, v13, vcc
	global_store_dwordx2 v[12:13], v[8:9], off
	s_or_b64 exec, exec, s[0:1]
	s_and_saveexec_b64 s[0:1], s[6:7]
	s_cbranch_execz .LBB110_3
.LBB110_19:                             ;   in Loop: Header=BB110_4 Depth=1
	s_waitcnt vmcnt(0)
	v_mov_b32_e32 v8, s11
	v_cmp_gt_i64_e32 vcc, s[10:11], v[10:11]
	v_cndmask_b32_e32 v9, v8, v11, vcc
	v_mov_b32_e32 v8, s10
	v_cndmask_b32_e32 v8, v8, v10, vcc
	v_mov_b32_e32 v11, s27
	v_add_co_u32_e32 v10, vcc, s26, v2
	v_addc_co_u32_e32 v11, vcc, v3, v11, vcc
	global_store_dwordx2 v[10:11], v[8:9], off
	s_branch .LBB110_3
.LBB110_20:
	s_cbranch_execz .LBB110_22
	s_branch .LBB110_25
.LBB110_21:
.LBB110_22:
	v_mov_b32_e32 v3, 0
	v_lshlrev_b32_e32 v2, 2, v0
	s_mov_b32 s0, 0
	v_cmp_gt_i64_e32 vcc, s[12:13], v[2:3]
	s_and_saveexec_b64 s[2:3], vcc
	s_cbranch_execz .LBB110_25
; %bb.23:
	s_load_dword s1, s[4:5], 0xd44
	v_lshlrev_b32_e32 v1, 5, v0
	s_mov_b64 s[6:7], 0
	v_mov_b32_e32 v5, s10
	s_mov_b64 s[8:9], 0xffff
	s_waitcnt lgkmcnt(0)
	s_and_b32 s1, s1, 0xffff
	s_lshl_b32 s18, s1, 2
	s_add_u32 s2, s14, s16
	s_addc_u32 s3, s15, s17
	v_add_lshl_u32 v2, v0, s1, 2
	v_mov_b32_e32 v0, s3
	v_add_co_u32_e32 v1, vcc, s2, v1
	v_addc_co_u32_e32 v4, vcc, 0, v0, vcc
	v_add_co_u32_e32 v0, vcc, 16, v1
	v_addc_co_u32_e32 v1, vcc, 0, v4, vcc
	s_lshl_b32 s14, s1, 5
	v_mov_b32_e32 v4, s11
	v_mov_b32_e32 v6, s0
	;; [unrolled: 1-line block ×3, first 2 shown]
.LBB110_24:                             ; =>This Inner Loop Header: Depth=1
	global_load_dwordx4 v[8:11], v[0:1], off offset:-16
	global_load_dwordx4 v[12:15], v[0:1], off
	v_cmp_le_i64_e32 vcc, s[12:13], v[2:3]
	v_cmp_lt_u64_e64 s[0:1], s[8:9], v[2:3]
	s_or_b64 s[0:1], vcc, s[0:1]
	v_add_co_u32_e64 v2, s[2:3], s18, v2
	s_and_b64 s[0:1], exec, s[0:1]
	v_addc_co_u32_e64 v3, s[2:3], v3, v6, s[2:3]
	s_or_b64 s[6:7], s[0:1], s[6:7]
	s_waitcnt vmcnt(1)
	v_cmp_gt_i64_e32 vcc, s[10:11], v[8:9]
	v_cmp_gt_i64_e64 s[0:1], s[10:11], v[10:11]
	v_cndmask_b32_e32 v9, v4, v9, vcc
	v_cndmask_b32_e64 v11, v4, v11, s[0:1]
	s_waitcnt vmcnt(0)
	v_cmp_gt_i64_e64 s[2:3], s[10:11], v[12:13]
	v_cmp_gt_i64_e64 s[4:5], s[10:11], v[14:15]
	v_cndmask_b32_e32 v8, v5, v8, vcc
	v_cndmask_b32_e64 v10, v5, v10, s[0:1]
	v_cndmask_b32_e64 v13, v4, v13, s[2:3]
	;; [unrolled: 1-line block ×5, first 2 shown]
	global_store_dwordx4 v[0:1], v[8:11], off offset:-16
	global_store_dwordx4 v[0:1], v[12:15], off
	v_add_co_u32_e32 v0, vcc, s14, v0
	v_addc_co_u32_e32 v1, vcc, v1, v7, vcc
	s_andn2_b64 exec, exec, s[6:7]
	s_cbranch_execnz .LBB110_24
.LBB110_25:
	s_endpgm
	.section	.rodata,"a",@progbits
	.p2align	6, 0x0
	.amdhsa_kernel _ZN2at6native12_GLOBAL__N_125multi_tensor_apply_kernelINS1_18TensorListMetadataILi1EEENS1_21BinaryOpScalarFunctorIlLi1ELi1ELi0EEEJNS0_7minimumIlEElEEEvT_T0_DpT1_
		.amdhsa_group_segment_fixed_size 0
		.amdhsa_private_segment_fixed_size 0
		.amdhsa_kernarg_size 3640
		.amdhsa_user_sgpr_count 6
		.amdhsa_user_sgpr_private_segment_buffer 1
		.amdhsa_user_sgpr_dispatch_ptr 0
		.amdhsa_user_sgpr_queue_ptr 0
		.amdhsa_user_sgpr_kernarg_segment_ptr 1
		.amdhsa_user_sgpr_dispatch_id 0
		.amdhsa_user_sgpr_flat_scratch_init 0
		.amdhsa_user_sgpr_kernarg_preload_length 0
		.amdhsa_user_sgpr_kernarg_preload_offset 0
		.amdhsa_user_sgpr_private_segment_size 0
		.amdhsa_uses_dynamic_stack 0
		.amdhsa_system_sgpr_private_segment_wavefront_offset 0
		.amdhsa_system_sgpr_workgroup_id_x 1
		.amdhsa_system_sgpr_workgroup_id_y 0
		.amdhsa_system_sgpr_workgroup_id_z 0
		.amdhsa_system_sgpr_workgroup_info 0
		.amdhsa_system_vgpr_workitem_id 0
		.amdhsa_next_free_vgpr 24
		.amdhsa_next_free_sgpr 30
		.amdhsa_accum_offset 24
		.amdhsa_reserve_vcc 1
		.amdhsa_reserve_flat_scratch 0
		.amdhsa_float_round_mode_32 0
		.amdhsa_float_round_mode_16_64 0
		.amdhsa_float_denorm_mode_32 3
		.amdhsa_float_denorm_mode_16_64 3
		.amdhsa_dx10_clamp 1
		.amdhsa_ieee_mode 1
		.amdhsa_fp16_overflow 0
		.amdhsa_tg_split 0
		.amdhsa_exception_fp_ieee_invalid_op 0
		.amdhsa_exception_fp_denorm_src 0
		.amdhsa_exception_fp_ieee_div_zero 0
		.amdhsa_exception_fp_ieee_overflow 0
		.amdhsa_exception_fp_ieee_underflow 0
		.amdhsa_exception_fp_ieee_inexact 0
		.amdhsa_exception_int_div_zero 0
	.end_amdhsa_kernel
	.section	.text._ZN2at6native12_GLOBAL__N_125multi_tensor_apply_kernelINS1_18TensorListMetadataILi1EEENS1_21BinaryOpScalarFunctorIlLi1ELi1ELi0EEEJNS0_7minimumIlEElEEEvT_T0_DpT1_,"axG",@progbits,_ZN2at6native12_GLOBAL__N_125multi_tensor_apply_kernelINS1_18TensorListMetadataILi1EEENS1_21BinaryOpScalarFunctorIlLi1ELi1ELi0EEEJNS0_7minimumIlEElEEEvT_T0_DpT1_,comdat
.Lfunc_end110:
	.size	_ZN2at6native12_GLOBAL__N_125multi_tensor_apply_kernelINS1_18TensorListMetadataILi1EEENS1_21BinaryOpScalarFunctorIlLi1ELi1ELi0EEEJNS0_7minimumIlEElEEEvT_T0_DpT1_, .Lfunc_end110-_ZN2at6native12_GLOBAL__N_125multi_tensor_apply_kernelINS1_18TensorListMetadataILi1EEENS1_21BinaryOpScalarFunctorIlLi1ELi1ELi0EEEJNS0_7minimumIlEElEEEvT_T0_DpT1_
                                        ; -- End function
	.section	.AMDGPU.csdata,"",@progbits
; Kernel info:
; codeLenInByte = 1216
; NumSgprs: 34
; NumVgprs: 24
; NumAgprs: 0
; TotalNumVgprs: 24
; ScratchSize: 0
; MemoryBound: 0
; FloatMode: 240
; IeeeMode: 1
; LDSByteSize: 0 bytes/workgroup (compile time only)
; SGPRBlocks: 4
; VGPRBlocks: 2
; NumSGPRsForWavesPerEU: 34
; NumVGPRsForWavesPerEU: 24
; AccumOffset: 24
; Occupancy: 8
; WaveLimiterHint : 0
; COMPUTE_PGM_RSRC2:SCRATCH_EN: 0
; COMPUTE_PGM_RSRC2:USER_SGPR: 6
; COMPUTE_PGM_RSRC2:TRAP_HANDLER: 0
; COMPUTE_PGM_RSRC2:TGID_X_EN: 1
; COMPUTE_PGM_RSRC2:TGID_Y_EN: 0
; COMPUTE_PGM_RSRC2:TGID_Z_EN: 0
; COMPUTE_PGM_RSRC2:TIDIG_COMP_CNT: 0
; COMPUTE_PGM_RSRC3_GFX90A:ACCUM_OFFSET: 5
; COMPUTE_PGM_RSRC3_GFX90A:TG_SPLIT: 0
	.section	.text._ZN2at6native12_GLOBAL__N_125multi_tensor_apply_kernelINS1_18TensorListMetadataILi1EEENS1_21BinaryOpScalarFunctorIsLi1ELi1ELi0EEEJNS0_7minimumIsEEsEEEvT_T0_DpT1_,"axG",@progbits,_ZN2at6native12_GLOBAL__N_125multi_tensor_apply_kernelINS1_18TensorListMetadataILi1EEENS1_21BinaryOpScalarFunctorIsLi1ELi1ELi0EEEJNS0_7minimumIsEEsEEEvT_T0_DpT1_,comdat
	.globl	_ZN2at6native12_GLOBAL__N_125multi_tensor_apply_kernelINS1_18TensorListMetadataILi1EEENS1_21BinaryOpScalarFunctorIsLi1ELi1ELi0EEEJNS0_7minimumIsEEsEEEvT_T0_DpT1_ ; -- Begin function _ZN2at6native12_GLOBAL__N_125multi_tensor_apply_kernelINS1_18TensorListMetadataILi1EEENS1_21BinaryOpScalarFunctorIsLi1ELi1ELi0EEEJNS0_7minimumIsEEsEEEvT_T0_DpT1_
	.p2align	8
	.type	_ZN2at6native12_GLOBAL__N_125multi_tensor_apply_kernelINS1_18TensorListMetadataILi1EEENS1_21BinaryOpScalarFunctorIsLi1ELi1ELi0EEEJNS0_7minimumIsEEsEEEvT_T0_DpT1_,@function
_ZN2at6native12_GLOBAL__N_125multi_tensor_apply_kernelINS1_18TensorListMetadataILi1EEENS1_21BinaryOpScalarFunctorIsLi1ELi1ELi0EEEJNS0_7minimumIsEEsEEEvT_T0_DpT1_: ; @_ZN2at6native12_GLOBAL__N_125multi_tensor_apply_kernelINS1_18TensorListMetadataILi1EEENS1_21BinaryOpScalarFunctorIsLi1ELi1ELi0EEEJNS0_7minimumIsEEsEEEvT_T0_DpT1_
; %bb.0:
	v_mov_b32_e32 v1, s6
	global_load_ubyte v1, v1, s[4:5] offset:1760
	s_load_dword s0, s[4:5], 0xd28
	s_mul_i32 s2, s6, 3
	s_mul_hi_u32 s1, s6, 3
	s_mov_b32 s7, 0
	s_waitcnt lgkmcnt(0)
	s_lshr_b32 s22, s0, 16
	s_add_u32 s0, s4, s6
	s_addc_u32 s3, s5, 0
	s_add_u32 s0, s0, s2
	s_addc_u32 s1, s3, s1
	s_load_dword s0, s[0:1], 0x820
	s_waitcnt vmcnt(0)
	v_readfirstlane_b32 s2, v1
	s_lshl_b32 s1, s2, 3
	s_load_dwordx2 s[2:3], s[4:5], s1 offset:0x370
	s_load_dwordx2 s[12:13], s[4:5], s1 offset:0x0
	s_waitcnt lgkmcnt(0)
	s_ashr_i32 s1, s0, 31
	s_lshl_b64 s[14:15], s[0:1], 17
	s_lshl_b64 s[0:1], s[0:1], 16
	s_and_b32 s6, s12, 7
	s_sub_u32 s10, s2, s0
	s_subb_u32 s11, s3, s1
	s_and_b32 s0, s2, 3
	s_mov_b32 s1, s7
	s_or_b64 s[0:1], s[6:7], s[0:1]
	s_cmp_eq_u64 s[0:1], 0
	s_cbranch_scc1 .LBB111_21
; %bb.1:
	v_cmp_lt_i64_e64 s[0:1], s[10:11], 1
	s_and_b64 vcc, exec, s[0:1]
	s_cbranch_vccnz .LBB111_20
; %bb.2:
	s_load_dword s0, s[4:5], 0xd3c
	v_mov_b32_e32 v2, 0x10000
	v_mov_b32_e32 v3, 0
	v_cmp_lt_u64_e32 vcc, s[10:11], v[2:3]
	v_lshlrev_b32_e32 v1, 1, v0
	s_waitcnt lgkmcnt(0)
	s_and_b32 s2, s0, 0xffff
	s_and_b64 s[0:1], vcc, exec
	s_cselect_b32 s17, s11, 0
	s_cselect_b32 s16, s10, 0x10000
	s_lshl_b32 s3, s2, 1
	s_lshl_b32 s24, s2, 2
	s_add_u32 s6, s12, s14
	s_addc_u32 s7, s13, s15
	v_mov_b32_e32 v5, s7
	v_add_co_u32_e32 v4, vcc, s6, v1
	s_mul_i32 s0, s2, 3
	v_addc_co_u32_e32 v5, vcc, 0, v5, vcc
	v_add_co_u32_e32 v1, vcc, s0, v0
	v_addc_co_u32_e64 v10, s[0:1], 0, 0, vcc
	v_add_co_u32_e32 v11, vcc, s3, v0
	v_addc_co_u32_e64 v12, s[0:1], 0, 0, vcc
	v_add_co_u32_e32 v13, vcc, s2, v0
	v_lshlrev_b32_e32 v6, 1, v13
	s_mov_b32 s23, 0
	v_addc_co_u32_e64 v14, s[0:1], 0, 0, vcc
	v_mov_b32_e32 v7, s7
	v_add_co_u32_e32 v6, vcc, s6, v6
	s_lshl_b32 s25, s2, 3
	s_mul_i32 s26, s2, 6
	s_mov_b32 s27, s23
	v_addc_co_u32_e32 v7, vcc, 0, v7, vcc
	s_mov_b64 s[18:19], 0
	v_pk_mov_b32 v[8:9], s[10:11], s[10:11] op_sel:[0,1]
	v_mov_b32_e32 v15, s23
	s_branch .LBB111_4
.LBB111_3:                              ;   in Loop: Header=BB111_4 Depth=1
	s_or_b64 exec, exec, s[0:1]
	s_add_u32 s18, s18, s24
	s_addc_u32 s19, s19, 0
	v_cmp_lt_i64_e32 vcc, s[18:19], v[8:9]
	v_cmp_lt_u64_e64 s[0:1], s[18:19], v[2:3]
	s_and_b64 s[0:1], vcc, s[0:1]
	v_add_co_u32_e32 v4, vcc, s25, v4
	v_addc_co_u32_e32 v5, vcc, v5, v15, vcc
	v_add_co_u32_e32 v6, vcc, s25, v6
	v_addc_co_u32_e32 v7, vcc, v7, v15, vcc
	s_and_b64 vcc, exec, s[0:1]
	s_cbranch_vccz .LBB111_20
.LBB111_4:                              ; =>This Inner Loop Header: Depth=1
	s_waitcnt vmcnt(0)
	v_mov_b32_e32 v17, s19
	v_add_co_u32_e32 v16, vcc, s18, v0
	v_addc_co_u32_e32 v17, vcc, 0, v17, vcc
	v_cmp_gt_u64_e32 vcc, s[16:17], v[16:17]
	v_mov_b32_e32 v16, 0
	s_and_saveexec_b64 s[0:1], vcc
	s_cbranch_execz .LBB111_6
; %bb.5:                                ;   in Loop: Header=BB111_4 Depth=1
	global_load_ushort v16, v[4:5], off
.LBB111_6:                              ;   in Loop: Header=BB111_4 Depth=1
	s_or_b64 exec, exec, s[0:1]
	v_mov_b32_e32 v17, s19
	v_add_co_u32_e64 v18, s[0:1], s18, v13
	v_addc_co_u32_e64 v19, s[0:1], v14, v17, s[0:1]
	v_cmp_gt_u64_e64 s[0:1], s[16:17], v[18:19]
	v_mov_b32_e32 v18, 0
	s_and_saveexec_b64 s[2:3], s[0:1]
	s_cbranch_execz .LBB111_8
; %bb.7:                                ;   in Loop: Header=BB111_4 Depth=1
	global_load_ushort v18, v[6:7], off
.LBB111_8:                              ;   in Loop: Header=BB111_4 Depth=1
	s_or_b64 exec, exec, s[2:3]
	v_mov_b32_e32 v17, s19
	v_add_co_u32_e64 v20, s[2:3], s18, v11
	v_addc_co_u32_e64 v21, s[2:3], v12, v17, s[2:3]
	v_cmp_gt_u64_e64 s[2:3], s[16:17], v[20:21]
	v_mov_b32_e32 v17, 0
	v_mov_b32_e32 v19, 0
	s_and_saveexec_b64 s[8:9], s[2:3]
	s_cbranch_execz .LBB111_10
; %bb.9:                                ;   in Loop: Header=BB111_4 Depth=1
	v_mov_b32_e32 v19, s23
	v_add_co_u32_e64 v20, s[6:7], s24, v4
	v_addc_co_u32_e64 v21, s[6:7], v5, v19, s[6:7]
	global_load_ushort v19, v[20:21], off
.LBB111_10:                             ;   in Loop: Header=BB111_4 Depth=1
	s_or_b64 exec, exec, s[8:9]
	v_mov_b32_e32 v21, s19
	v_add_co_u32_e64 v20, s[6:7], s18, v1
	v_addc_co_u32_e64 v21, s[6:7], v10, v21, s[6:7]
	v_cmp_gt_u64_e64 s[6:7], s[16:17], v[20:21]
	s_and_saveexec_b64 s[20:21], s[6:7]
	s_cbranch_execnz .LBB111_15
; %bb.11:                               ;   in Loop: Header=BB111_4 Depth=1
	s_or_b64 exec, exec, s[20:21]
	s_and_saveexec_b64 s[8:9], vcc
	s_cbranch_execnz .LBB111_16
.LBB111_12:                             ;   in Loop: Header=BB111_4 Depth=1
	s_or_b64 exec, exec, s[8:9]
	s_and_saveexec_b64 s[8:9], s[0:1]
	s_cbranch_execnz .LBB111_17
.LBB111_13:                             ;   in Loop: Header=BB111_4 Depth=1
	s_or_b64 exec, exec, s[8:9]
	s_and_saveexec_b64 s[0:1], s[2:3]
	s_cbranch_execnz .LBB111_18
.LBB111_14:                             ;   in Loop: Header=BB111_4 Depth=1
	s_or_b64 exec, exec, s[0:1]
	s_and_saveexec_b64 s[0:1], s[6:7]
	s_cbranch_execz .LBB111_3
	s_branch .LBB111_19
.LBB111_15:                             ;   in Loop: Header=BB111_4 Depth=1
	v_mov_b32_e32 v17, s27
	v_add_co_u32_e64 v20, s[8:9], s26, v4
	v_addc_co_u32_e64 v21, s[8:9], v5, v17, s[8:9]
	global_load_ushort v17, v[20:21], off
	s_or_b64 exec, exec, s[20:21]
	s_and_saveexec_b64 s[8:9], vcc
	s_cbranch_execz .LBB111_12
.LBB111_16:                             ;   in Loop: Header=BB111_4 Depth=1
	s_waitcnt vmcnt(0)
	v_min_i16_e32 v16, s22, v16
	global_store_short v[4:5], v16, off
	s_or_b64 exec, exec, s[8:9]
	s_and_saveexec_b64 s[8:9], s[0:1]
	s_cbranch_execz .LBB111_13
.LBB111_17:                             ;   in Loop: Header=BB111_4 Depth=1
	s_waitcnt vmcnt(0)
	v_min_i16_e32 v16, s22, v18
	global_store_short v[6:7], v16, off
	s_or_b64 exec, exec, s[8:9]
	s_and_saveexec_b64 s[0:1], s[2:3]
	s_cbranch_execz .LBB111_14
.LBB111_18:                             ;   in Loop: Header=BB111_4 Depth=1
	s_waitcnt vmcnt(0)
	v_min_i16_e32 v16, s22, v19
	v_mov_b32_e32 v19, s23
	v_add_co_u32_e32 v18, vcc, s24, v4
	v_addc_co_u32_e32 v19, vcc, v5, v19, vcc
	global_store_short v[18:19], v16, off
	s_or_b64 exec, exec, s[0:1]
	s_and_saveexec_b64 s[0:1], s[6:7]
	s_cbranch_execz .LBB111_3
.LBB111_19:                             ;   in Loop: Header=BB111_4 Depth=1
	s_waitcnt vmcnt(0)
	v_min_i16_e32 v18, s22, v17
	v_mov_b32_e32 v17, s27
	v_add_co_u32_e32 v16, vcc, s26, v4
	v_addc_co_u32_e32 v17, vcc, v5, v17, vcc
	global_store_short v[16:17], v18, off
	s_branch .LBB111_3
.LBB111_20:
	s_cbranch_execz .LBB111_22
	s_branch .LBB111_25
.LBB111_21:
.LBB111_22:
	v_mov_b32_e32 v3, 0
	v_lshlrev_b32_e32 v2, 2, v0
	s_mov_b32 s0, 0
	v_cmp_gt_i64_e32 vcc, s[10:11], v[2:3]
	s_and_saveexec_b64 s[2:3], vcc
	s_cbranch_execz .LBB111_25
; %bb.23:
	s_load_dword s1, s[4:5], 0xd3c
	v_lshlrev_b32_e32 v1, 3, v0
	s_mov_b64 s[4:5], 0xffff
	s_waitcnt lgkmcnt(0)
	s_and_b32 s1, s1, 0xffff
	s_add_u32 s2, s12, s14
	s_addc_u32 s3, s13, s15
	v_mov_b32_e32 v2, s3
	v_add_co_u32_e32 v4, vcc, s2, v1
	v_addc_co_u32_e32 v5, vcc, 0, v2, vcc
	s_lshl_b32 s6, s1, 3
	v_add_lshl_u32 v2, v0, s1, 2
	s_lshl_b32 s7, s1, 2
	s_mov_b64 s[2:3], 0
	v_mov_b32_e32 v0, s0
	v_mov_b32_e32 v1, s0
.LBB111_24:                             ; =>This Inner Loop Header: Depth=1
	global_load_dwordx2 v[6:7], v[4:5], off
	v_cmp_le_i64_e32 vcc, s[10:11], v[2:3]
	v_cmp_lt_u64_e64 s[0:1], s[4:5], v[2:3]
	s_or_b64 s[0:1], vcc, s[0:1]
	s_and_b64 s[0:1], exec, s[0:1]
	s_or_b64 s[2:3], s[0:1], s[2:3]
	s_waitcnt vmcnt(0)
	v_min_i16_sdwa v8, v6, s22 dst_sel:WORD_1 dst_unused:UNUSED_PAD src0_sel:WORD_1 src1_sel:DWORD
	v_min_i16_sdwa v9, v7, s22 dst_sel:WORD_1 dst_unused:UNUSED_PAD src0_sel:WORD_1 src1_sel:DWORD
	v_min_i16_e32 v7, s22, v7
	v_min_i16_e32 v6, s22, v6
	v_or_b32_e32 v7, v9, v7
	v_or_b32_e32 v6, v8, v6
	global_store_dwordx2 v[4:5], v[6:7], off
	v_add_co_u32_e32 v4, vcc, s6, v4
	v_addc_co_u32_e32 v5, vcc, v5, v0, vcc
	v_add_co_u32_e32 v2, vcc, s7, v2
	v_addc_co_u32_e32 v3, vcc, v3, v1, vcc
	s_andn2_b64 exec, exec, s[2:3]
	s_cbranch_execnz .LBB111_24
.LBB111_25:
	s_endpgm
	.section	.rodata,"a",@progbits
	.p2align	6, 0x0
	.amdhsa_kernel _ZN2at6native12_GLOBAL__N_125multi_tensor_apply_kernelINS1_18TensorListMetadataILi1EEENS1_21BinaryOpScalarFunctorIsLi1ELi1ELi0EEEJNS0_7minimumIsEEsEEEvT_T0_DpT1_
		.amdhsa_group_segment_fixed_size 0
		.amdhsa_private_segment_fixed_size 0
		.amdhsa_kernarg_size 3632
		.amdhsa_user_sgpr_count 6
		.amdhsa_user_sgpr_private_segment_buffer 1
		.amdhsa_user_sgpr_dispatch_ptr 0
		.amdhsa_user_sgpr_queue_ptr 0
		.amdhsa_user_sgpr_kernarg_segment_ptr 1
		.amdhsa_user_sgpr_dispatch_id 0
		.amdhsa_user_sgpr_flat_scratch_init 0
		.amdhsa_user_sgpr_kernarg_preload_length 0
		.amdhsa_user_sgpr_kernarg_preload_offset 0
		.amdhsa_user_sgpr_private_segment_size 0
		.amdhsa_uses_dynamic_stack 0
		.amdhsa_system_sgpr_private_segment_wavefront_offset 0
		.amdhsa_system_sgpr_workgroup_id_x 1
		.amdhsa_system_sgpr_workgroup_id_y 0
		.amdhsa_system_sgpr_workgroup_id_z 0
		.amdhsa_system_sgpr_workgroup_info 0
		.amdhsa_system_vgpr_workitem_id 0
		.amdhsa_next_free_vgpr 22
		.amdhsa_next_free_sgpr 28
		.amdhsa_accum_offset 24
		.amdhsa_reserve_vcc 1
		.amdhsa_reserve_flat_scratch 0
		.amdhsa_float_round_mode_32 0
		.amdhsa_float_round_mode_16_64 0
		.amdhsa_float_denorm_mode_32 3
		.amdhsa_float_denorm_mode_16_64 3
		.amdhsa_dx10_clamp 1
		.amdhsa_ieee_mode 1
		.amdhsa_fp16_overflow 0
		.amdhsa_tg_split 0
		.amdhsa_exception_fp_ieee_invalid_op 0
		.amdhsa_exception_fp_denorm_src 0
		.amdhsa_exception_fp_ieee_div_zero 0
		.amdhsa_exception_fp_ieee_overflow 0
		.amdhsa_exception_fp_ieee_underflow 0
		.amdhsa_exception_fp_ieee_inexact 0
		.amdhsa_exception_int_div_zero 0
	.end_amdhsa_kernel
	.section	.text._ZN2at6native12_GLOBAL__N_125multi_tensor_apply_kernelINS1_18TensorListMetadataILi1EEENS1_21BinaryOpScalarFunctorIsLi1ELi1ELi0EEEJNS0_7minimumIsEEsEEEvT_T0_DpT1_,"axG",@progbits,_ZN2at6native12_GLOBAL__N_125multi_tensor_apply_kernelINS1_18TensorListMetadataILi1EEENS1_21BinaryOpScalarFunctorIsLi1ELi1ELi0EEEJNS0_7minimumIsEEsEEEvT_T0_DpT1_,comdat
.Lfunc_end111:
	.size	_ZN2at6native12_GLOBAL__N_125multi_tensor_apply_kernelINS1_18TensorListMetadataILi1EEENS1_21BinaryOpScalarFunctorIsLi1ELi1ELi0EEEJNS0_7minimumIsEEsEEEvT_T0_DpT1_, .Lfunc_end111-_ZN2at6native12_GLOBAL__N_125multi_tensor_apply_kernelINS1_18TensorListMetadataILi1EEENS1_21BinaryOpScalarFunctorIsLi1ELi1ELi0EEEJNS0_7minimumIsEEsEEEvT_T0_DpT1_
                                        ; -- End function
	.section	.AMDGPU.csdata,"",@progbits
; Kernel info:
; codeLenInByte = 1028
; NumSgprs: 32
; NumVgprs: 22
; NumAgprs: 0
; TotalNumVgprs: 22
; ScratchSize: 0
; MemoryBound: 0
; FloatMode: 240
; IeeeMode: 1
; LDSByteSize: 0 bytes/workgroup (compile time only)
; SGPRBlocks: 3
; VGPRBlocks: 2
; NumSGPRsForWavesPerEU: 32
; NumVGPRsForWavesPerEU: 22
; AccumOffset: 24
; Occupancy: 8
; WaveLimiterHint : 0
; COMPUTE_PGM_RSRC2:SCRATCH_EN: 0
; COMPUTE_PGM_RSRC2:USER_SGPR: 6
; COMPUTE_PGM_RSRC2:TRAP_HANDLER: 0
; COMPUTE_PGM_RSRC2:TGID_X_EN: 1
; COMPUTE_PGM_RSRC2:TGID_Y_EN: 0
; COMPUTE_PGM_RSRC2:TGID_Z_EN: 0
; COMPUTE_PGM_RSRC2:TIDIG_COMP_CNT: 0
; COMPUTE_PGM_RSRC3_GFX90A:ACCUM_OFFSET: 5
; COMPUTE_PGM_RSRC3_GFX90A:TG_SPLIT: 0
	.section	.text._ZN2at6native12_GLOBAL__N_125multi_tensor_apply_kernelINS1_18TensorListMetadataILi1EEENS1_21BinaryOpScalarFunctorIdLi1ELi1ELi0EEEJNS0_7minimumIdEEdEEEvT_T0_DpT1_,"axG",@progbits,_ZN2at6native12_GLOBAL__N_125multi_tensor_apply_kernelINS1_18TensorListMetadataILi1EEENS1_21BinaryOpScalarFunctorIdLi1ELi1ELi0EEEJNS0_7minimumIdEEdEEEvT_T0_DpT1_,comdat
	.globl	_ZN2at6native12_GLOBAL__N_125multi_tensor_apply_kernelINS1_18TensorListMetadataILi1EEENS1_21BinaryOpScalarFunctorIdLi1ELi1ELi0EEEJNS0_7minimumIdEEdEEEvT_T0_DpT1_ ; -- Begin function _ZN2at6native12_GLOBAL__N_125multi_tensor_apply_kernelINS1_18TensorListMetadataILi1EEENS1_21BinaryOpScalarFunctorIdLi1ELi1ELi0EEEJNS0_7minimumIdEEdEEEvT_T0_DpT1_
	.p2align	8
	.type	_ZN2at6native12_GLOBAL__N_125multi_tensor_apply_kernelINS1_18TensorListMetadataILi1EEENS1_21BinaryOpScalarFunctorIdLi1ELi1ELi0EEEJNS0_7minimumIdEEdEEEvT_T0_DpT1_,@function
_ZN2at6native12_GLOBAL__N_125multi_tensor_apply_kernelINS1_18TensorListMetadataILi1EEENS1_21BinaryOpScalarFunctorIdLi1ELi1ELi0EEEJNS0_7minimumIdEEdEEEvT_T0_DpT1_: ; @_ZN2at6native12_GLOBAL__N_125multi_tensor_apply_kernelINS1_18TensorListMetadataILi1EEENS1_21BinaryOpScalarFunctorIdLi1ELi1ELi0EEEJNS0_7minimumIdEEdEEEvT_T0_DpT1_
; %bb.0:
	v_mov_b32_e32 v1, s6
	global_load_ubyte v1, v1, s[4:5] offset:1760
	s_add_u32 s0, s4, s6
	s_mul_hi_u32 s1, s6, 3
	s_mul_i32 s6, s6, 3
	s_addc_u32 s2, s5, 0
	s_add_u32 s0, s0, s6
	s_addc_u32 s1, s2, s1
	s_load_dword s0, s[0:1], 0x820
	s_mov_b32 s7, 0
	s_waitcnt vmcnt(0)
	v_readfirstlane_b32 s1, v1
	s_lshl_b32 s1, s1, 3
	s_load_dwordx2 s[14:15], s[4:5], 0xd30
	s_load_dwordx2 s[2:3], s[4:5], s1 offset:0x370
	s_load_dwordx2 s[10:11], s[4:5], s1 offset:0x0
	s_waitcnt lgkmcnt(0)
	s_ashr_i32 s1, s0, 31
	s_lshl_b64 s[12:13], s[0:1], 19
	s_lshl_b64 s[0:1], s[0:1], 16
	s_and_b32 s6, s10, 31
	s_sub_u32 s16, s2, s0
	s_subb_u32 s17, s3, s1
	s_and_b32 s0, s2, 3
	s_mov_b32 s1, s7
	s_or_b64 s[0:1], s[6:7], s[0:1]
	s_cmp_eq_u64 s[0:1], 0
	s_cbranch_scc1 .LBB112_21
; %bb.1:
	v_cmp_lt_i64_e64 s[0:1], s[16:17], 1
	s_and_b64 vcc, exec, s[0:1]
	s_cbranch_vccnz .LBB112_20
; %bb.2:
	s_load_dword s0, s[4:5], 0xd44
	v_mov_b32_e32 v2, 0x10000
	v_mov_b32_e32 v3, 0
	v_cmp_lt_u64_e32 vcc, s[16:17], v[2:3]
	v_lshlrev_b32_e32 v1, 3, v0
	s_waitcnt lgkmcnt(0)
	s_and_b32 s3, s0, 0xffff
	s_and_b64 s[0:1], vcc, exec
	s_cselect_b32 s19, s17, 0
	s_cselect_b32 s18, s16, 0x10000
	s_lshl_b32 s6, s3, 1
	s_lshl_b32 s24, s3, 2
	s_add_u32 s7, s10, s12
	s_addc_u32 s8, s11, s13
	v_mov_b32_e32 v3, s8
	v_add_co_u32_e32 v2, vcc, s7, v1
	s_mul_i32 s0, s3, 3
	v_addc_co_u32_e32 v3, vcc, 0, v3, vcc
	v_add_co_u32_e32 v1, vcc, s0, v0
	v_addc_co_u32_e64 v16, s[0:1], 0, 0, vcc
	v_add_co_u32_e32 v17, vcc, s6, v0
	v_addc_co_u32_e64 v18, s[0:1], 0, 0, vcc
	v_add_co_u32_e32 v19, vcc, s3, v0
	v_lshlrev_b32_e32 v4, 3, v19
	s_mov_b32 s2, 0
	v_addc_co_u32_e64 v20, s[0:1], 0, 0, vcc
	v_mov_b32_e32 v5, s8
	v_add_co_u32_e32 v4, vcc, s7, v4
	s_lshl_b32 s25, s3, 5
	s_mul_i32 s26, s3, 24
	s_mov_b32 s27, s2
	s_lshl_b32 s28, s3, 4
	s_mov_b32 s29, s2
	v_addc_co_u32_e32 v5, vcc, 0, v5, vcc
	s_mov_b64 s[20:21], 0
	v_pk_mov_b32 v[6:7], s[16:17], s[16:17] op_sel:[0,1]
	v_mov_b32_e32 v21, s2
	s_branch .LBB112_4
.LBB112_3:                              ;   in Loop: Header=BB112_4 Depth=1
	s_or_b64 exec, exec, s[2:3]
	s_add_u32 s20, s20, s24
	s_waitcnt vmcnt(0)
	v_mov_b32_e32 v8, 0x10000
	s_addc_u32 s21, s21, 0
	v_mov_b32_e32 v9, 0
	v_cmp_lt_i64_e32 vcc, s[20:21], v[6:7]
	v_cmp_lt_u64_e64 s[0:1], s[20:21], v[8:9]
	s_and_b64 s[0:1], vcc, s[0:1]
	v_add_co_u32_e32 v2, vcc, s25, v2
	v_addc_co_u32_e32 v3, vcc, v3, v21, vcc
	v_add_co_u32_e32 v4, vcc, s25, v4
	v_addc_co_u32_e32 v5, vcc, v5, v21, vcc
	s_and_b64 vcc, exec, s[0:1]
	s_cbranch_vccz .LBB112_20
.LBB112_4:                              ; =>This Inner Loop Header: Depth=1
	v_mov_b32_e32 v9, s21
	v_add_co_u32_e32 v8, vcc, s20, v0
	v_addc_co_u32_e32 v9, vcc, 0, v9, vcc
	v_cmp_gt_u64_e32 vcc, s[18:19], v[8:9]
	v_pk_mov_b32 v[8:9], 0, 0
	v_pk_mov_b32 v[12:13], v[8:9], v[8:9] op_sel:[0,1]
	s_and_saveexec_b64 s[0:1], vcc
	s_cbranch_execz .LBB112_6
; %bb.5:                                ;   in Loop: Header=BB112_4 Depth=1
	global_load_dwordx2 v[12:13], v[2:3], off
.LBB112_6:                              ;   in Loop: Header=BB112_4 Depth=1
	s_or_b64 exec, exec, s[0:1]
	v_mov_b32_e32 v11, s21
	v_add_co_u32_e64 v10, s[0:1], s20, v19
	v_addc_co_u32_e64 v11, s[0:1], v20, v11, s[0:1]
	v_cmp_gt_u64_e64 s[0:1], s[18:19], v[10:11]
	s_and_saveexec_b64 s[2:3], s[0:1]
	s_cbranch_execz .LBB112_8
; %bb.7:                                ;   in Loop: Header=BB112_4 Depth=1
	global_load_dwordx2 v[8:9], v[4:5], off
.LBB112_8:                              ;   in Loop: Header=BB112_4 Depth=1
	s_or_b64 exec, exec, s[2:3]
	v_mov_b32_e32 v11, s21
	v_add_co_u32_e64 v10, s[2:3], s20, v17
	v_addc_co_u32_e64 v11, s[2:3], v18, v11, s[2:3]
	v_cmp_gt_u64_e64 s[2:3], s[18:19], v[10:11]
	v_pk_mov_b32 v[10:11], 0, 0
	v_pk_mov_b32 v[14:15], v[10:11], v[10:11] op_sel:[0,1]
	s_and_saveexec_b64 s[8:9], s[2:3]
	s_cbranch_execz .LBB112_10
; %bb.9:                                ;   in Loop: Header=BB112_4 Depth=1
	v_mov_b32_e32 v15, s29
	v_add_co_u32_e64 v14, s[6:7], s28, v2
	v_addc_co_u32_e64 v15, s[6:7], v3, v15, s[6:7]
	global_load_dwordx2 v[14:15], v[14:15], off
.LBB112_10:                             ;   in Loop: Header=BB112_4 Depth=1
	s_or_b64 exec, exec, s[8:9]
	v_mov_b32_e32 v23, s21
	v_add_co_u32_e64 v22, s[6:7], s20, v1
	v_addc_co_u32_e64 v23, s[6:7], v16, v23, s[6:7]
	v_cmp_gt_u64_e64 s[6:7], s[18:19], v[22:23]
	s_and_saveexec_b64 s[22:23], s[6:7]
	s_cbranch_execnz .LBB112_15
; %bb.11:                               ;   in Loop: Header=BB112_4 Depth=1
	s_or_b64 exec, exec, s[22:23]
	s_and_saveexec_b64 s[22:23], vcc
	s_cbranch_execnz .LBB112_16
.LBB112_12:                             ;   in Loop: Header=BB112_4 Depth=1
	s_or_b64 exec, exec, s[22:23]
	s_and_saveexec_b64 s[8:9], s[0:1]
	s_cbranch_execnz .LBB112_17
.LBB112_13:                             ;   in Loop: Header=BB112_4 Depth=1
	s_or_b64 exec, exec, s[8:9]
	s_and_saveexec_b64 s[8:9], s[2:3]
	s_cbranch_execnz .LBB112_18
.LBB112_14:                             ;   in Loop: Header=BB112_4 Depth=1
	s_or_b64 exec, exec, s[8:9]
	s_and_saveexec_b64 s[2:3], s[6:7]
	s_cbranch_execz .LBB112_3
	s_branch .LBB112_19
.LBB112_15:                             ;   in Loop: Header=BB112_4 Depth=1
	v_mov_b32_e32 v11, s27
	v_add_co_u32_e64 v10, s[8:9], s26, v2
	v_addc_co_u32_e64 v11, s[8:9], v3, v11, s[8:9]
	global_load_dwordx2 v[10:11], v[10:11], off
	s_or_b64 exec, exec, s[22:23]
	s_and_saveexec_b64 s[22:23], vcc
	s_cbranch_execz .LBB112_12
.LBB112_16:                             ;   in Loop: Header=BB112_4 Depth=1
	s_waitcnt vmcnt(0)
	v_cmp_u_f64_e32 vcc, v[12:13], v[12:13]
	v_cmp_gt_f64_e64 s[8:9], s[14:15], v[12:13]
	v_mov_b32_e32 v22, s15
	s_or_b64 vcc, vcc, s[8:9]
	v_cndmask_b32_e32 v13, v22, v13, vcc
	v_mov_b32_e32 v22, s14
	v_cndmask_b32_e32 v12, v22, v12, vcc
	global_store_dwordx2 v[2:3], v[12:13], off
	s_or_b64 exec, exec, s[22:23]
	s_and_saveexec_b64 s[8:9], s[0:1]
	s_cbranch_execz .LBB112_13
.LBB112_17:                             ;   in Loop: Header=BB112_4 Depth=1
	s_waitcnt vmcnt(0)
	v_cmp_u_f64_e32 vcc, v[8:9], v[8:9]
	v_cmp_gt_f64_e64 s[0:1], s[14:15], v[8:9]
	v_mov_b32_e32 v12, s15
	s_or_b64 vcc, vcc, s[0:1]
	v_cndmask_b32_e32 v9, v12, v9, vcc
	v_mov_b32_e32 v12, s14
	v_cndmask_b32_e32 v8, v12, v8, vcc
	global_store_dwordx2 v[4:5], v[8:9], off
	s_or_b64 exec, exec, s[8:9]
	s_and_saveexec_b64 s[8:9], s[2:3]
	s_cbranch_execz .LBB112_14
.LBB112_18:                             ;   in Loop: Header=BB112_4 Depth=1
	s_waitcnt vmcnt(0)
	v_cmp_u_f64_e32 vcc, v[14:15], v[14:15]
	v_cmp_gt_f64_e64 s[0:1], s[14:15], v[14:15]
	v_mov_b32_e32 v8, s15
	s_or_b64 vcc, vcc, s[0:1]
	v_cndmask_b32_e32 v9, v8, v15, vcc
	v_mov_b32_e32 v8, s14
	v_cndmask_b32_e32 v8, v8, v14, vcc
	v_mov_b32_e32 v13, s29
	v_add_co_u32_e32 v12, vcc, s28, v2
	v_addc_co_u32_e32 v13, vcc, v3, v13, vcc
	global_store_dwordx2 v[12:13], v[8:9], off
	s_or_b64 exec, exec, s[8:9]
	s_and_saveexec_b64 s[2:3], s[6:7]
	s_cbranch_execz .LBB112_3
.LBB112_19:                             ;   in Loop: Header=BB112_4 Depth=1
	s_waitcnt vmcnt(0)
	v_cmp_u_f64_e32 vcc, v[10:11], v[10:11]
	v_cmp_gt_f64_e64 s[0:1], s[14:15], v[10:11]
	v_mov_b32_e32 v8, s15
	s_or_b64 vcc, vcc, s[0:1]
	v_cndmask_b32_e32 v9, v8, v11, vcc
	v_mov_b32_e32 v8, s14
	v_cndmask_b32_e32 v8, v8, v10, vcc
	v_mov_b32_e32 v11, s27
	v_add_co_u32_e32 v10, vcc, s26, v2
	v_addc_co_u32_e32 v11, vcc, v3, v11, vcc
	global_store_dwordx2 v[10:11], v[8:9], off
	s_branch .LBB112_3
.LBB112_20:
	s_cbranch_execz .LBB112_22
	s_branch .LBB112_25
.LBB112_21:
.LBB112_22:
	v_mov_b32_e32 v3, 0
	v_lshlrev_b32_e32 v2, 2, v0
	s_mov_b32 s0, 0
	v_cmp_gt_i64_e32 vcc, s[16:17], v[2:3]
	s_and_saveexec_b64 s[2:3], vcc
	s_cbranch_execz .LBB112_25
; %bb.23:
	s_load_dword s1, s[4:5], 0xd44
	v_lshlrev_b32_e32 v1, 5, v0
	s_mov_b64 s[18:19], 0
	v_mov_b32_e32 v5, s14
	s_mov_b64 s[20:21], 0xffff
	s_waitcnt lgkmcnt(0)
	s_and_b32 s1, s1, 0xffff
	s_lshl_b32 s22, s1, 2
	s_add_u32 s2, s10, s12
	s_addc_u32 s3, s11, s13
	v_add_lshl_u32 v2, v0, s1, 2
	v_mov_b32_e32 v0, s3
	v_add_co_u32_e32 v1, vcc, s2, v1
	v_addc_co_u32_e32 v4, vcc, 0, v0, vcc
	v_add_co_u32_e32 v0, vcc, 16, v1
	v_addc_co_u32_e32 v1, vcc, 0, v4, vcc
	s_lshl_b32 s23, s1, 5
	v_mov_b32_e32 v4, s15
	v_mov_b32_e32 v6, s0
	;; [unrolled: 1-line block ×3, first 2 shown]
.LBB112_24:                             ; =>This Inner Loop Header: Depth=1
	global_load_dwordx4 v[8:11], v[0:1], off offset:-16
	global_load_dwordx4 v[12:15], v[0:1], off
	v_cmp_le_i64_e32 vcc, s[16:17], v[2:3]
	v_cmp_lt_u64_e64 s[0:1], s[20:21], v[2:3]
	v_add_co_u32_e64 v2, s[2:3], s22, v2
	v_addc_co_u32_e64 v3, s[2:3], v3, v6, s[2:3]
	s_or_b64 s[24:25], vcc, s[0:1]
	s_waitcnt vmcnt(1)
	v_cmp_u_f64_e32 vcc, v[8:9], v[8:9]
	v_cmp_gt_f64_e64 s[0:1], s[14:15], v[8:9]
	v_cmp_u_f64_e64 s[2:3], v[10:11], v[10:11]
	v_cmp_gt_f64_e64 s[4:5], s[14:15], v[10:11]
	s_waitcnt vmcnt(0)
	v_cmp_u_f64_e64 s[6:7], v[12:13], v[12:13]
	v_cmp_gt_f64_e64 s[8:9], s[14:15], v[12:13]
	v_cmp_u_f64_e64 s[10:11], v[14:15], v[14:15]
	v_cmp_gt_f64_e64 s[12:13], s[14:15], v[14:15]
	s_or_b64 vcc, vcc, s[0:1]
	s_or_b64 s[0:1], s[2:3], s[4:5]
	v_cndmask_b32_e32 v9, v4, v9, vcc
	v_cndmask_b32_e64 v11, v4, v11, s[0:1]
	s_or_b64 s[2:3], s[6:7], s[8:9]
	s_or_b64 s[4:5], s[10:11], s[12:13]
	v_cndmask_b32_e32 v8, v5, v8, vcc
	v_cndmask_b32_e64 v10, v5, v10, s[0:1]
	v_cndmask_b32_e64 v13, v4, v13, s[2:3]
	;; [unrolled: 1-line block ×5, first 2 shown]
	s_and_b64 s[0:1], exec, s[24:25]
	global_store_dwordx4 v[0:1], v[8:11], off offset:-16
	global_store_dwordx4 v[0:1], v[12:15], off
	v_add_co_u32_e32 v0, vcc, s23, v0
	s_or_b64 s[18:19], s[0:1], s[18:19]
	v_addc_co_u32_e32 v1, vcc, v1, v7, vcc
	s_andn2_b64 exec, exec, s[18:19]
	s_cbranch_execnz .LBB112_24
.LBB112_25:
	s_endpgm
	.section	.rodata,"a",@progbits
	.p2align	6, 0x0
	.amdhsa_kernel _ZN2at6native12_GLOBAL__N_125multi_tensor_apply_kernelINS1_18TensorListMetadataILi1EEENS1_21BinaryOpScalarFunctorIdLi1ELi1ELi0EEEJNS0_7minimumIdEEdEEEvT_T0_DpT1_
		.amdhsa_group_segment_fixed_size 0
		.amdhsa_private_segment_fixed_size 0
		.amdhsa_kernarg_size 3640
		.amdhsa_user_sgpr_count 6
		.amdhsa_user_sgpr_private_segment_buffer 1
		.amdhsa_user_sgpr_dispatch_ptr 0
		.amdhsa_user_sgpr_queue_ptr 0
		.amdhsa_user_sgpr_kernarg_segment_ptr 1
		.amdhsa_user_sgpr_dispatch_id 0
		.amdhsa_user_sgpr_flat_scratch_init 0
		.amdhsa_user_sgpr_kernarg_preload_length 0
		.amdhsa_user_sgpr_kernarg_preload_offset 0
		.amdhsa_user_sgpr_private_segment_size 0
		.amdhsa_uses_dynamic_stack 0
		.amdhsa_system_sgpr_private_segment_wavefront_offset 0
		.amdhsa_system_sgpr_workgroup_id_x 1
		.amdhsa_system_sgpr_workgroup_id_y 0
		.amdhsa_system_sgpr_workgroup_id_z 0
		.amdhsa_system_sgpr_workgroup_info 0
		.amdhsa_system_vgpr_workitem_id 0
		.amdhsa_next_free_vgpr 24
		.amdhsa_next_free_sgpr 30
		.amdhsa_accum_offset 24
		.amdhsa_reserve_vcc 1
		.amdhsa_reserve_flat_scratch 0
		.amdhsa_float_round_mode_32 0
		.amdhsa_float_round_mode_16_64 0
		.amdhsa_float_denorm_mode_32 3
		.amdhsa_float_denorm_mode_16_64 3
		.amdhsa_dx10_clamp 1
		.amdhsa_ieee_mode 1
		.amdhsa_fp16_overflow 0
		.amdhsa_tg_split 0
		.amdhsa_exception_fp_ieee_invalid_op 0
		.amdhsa_exception_fp_denorm_src 0
		.amdhsa_exception_fp_ieee_div_zero 0
		.amdhsa_exception_fp_ieee_overflow 0
		.amdhsa_exception_fp_ieee_underflow 0
		.amdhsa_exception_fp_ieee_inexact 0
		.amdhsa_exception_int_div_zero 0
	.end_amdhsa_kernel
	.section	.text._ZN2at6native12_GLOBAL__N_125multi_tensor_apply_kernelINS1_18TensorListMetadataILi1EEENS1_21BinaryOpScalarFunctorIdLi1ELi1ELi0EEEJNS0_7minimumIdEEdEEEvT_T0_DpT1_,"axG",@progbits,_ZN2at6native12_GLOBAL__N_125multi_tensor_apply_kernelINS1_18TensorListMetadataILi1EEENS1_21BinaryOpScalarFunctorIdLi1ELi1ELi0EEEJNS0_7minimumIdEEdEEEvT_T0_DpT1_,comdat
.Lfunc_end112:
	.size	_ZN2at6native12_GLOBAL__N_125multi_tensor_apply_kernelINS1_18TensorListMetadataILi1EEENS1_21BinaryOpScalarFunctorIdLi1ELi1ELi0EEEJNS0_7minimumIdEEdEEEvT_T0_DpT1_, .Lfunc_end112-_ZN2at6native12_GLOBAL__N_125multi_tensor_apply_kernelINS1_18TensorListMetadataILi1EEENS1_21BinaryOpScalarFunctorIdLi1ELi1ELi0EEEJNS0_7minimumIdEEdEEEvT_T0_DpT1_
                                        ; -- End function
	.section	.AMDGPU.csdata,"",@progbits
; Kernel info:
; codeLenInByte = 1312
; NumSgprs: 34
; NumVgprs: 24
; NumAgprs: 0
; TotalNumVgprs: 24
; ScratchSize: 0
; MemoryBound: 0
; FloatMode: 240
; IeeeMode: 1
; LDSByteSize: 0 bytes/workgroup (compile time only)
; SGPRBlocks: 4
; VGPRBlocks: 2
; NumSGPRsForWavesPerEU: 34
; NumVGPRsForWavesPerEU: 24
; AccumOffset: 24
; Occupancy: 8
; WaveLimiterHint : 0
; COMPUTE_PGM_RSRC2:SCRATCH_EN: 0
; COMPUTE_PGM_RSRC2:USER_SGPR: 6
; COMPUTE_PGM_RSRC2:TRAP_HANDLER: 0
; COMPUTE_PGM_RSRC2:TGID_X_EN: 1
; COMPUTE_PGM_RSRC2:TGID_Y_EN: 0
; COMPUTE_PGM_RSRC2:TGID_Z_EN: 0
; COMPUTE_PGM_RSRC2:TIDIG_COMP_CNT: 0
; COMPUTE_PGM_RSRC3_GFX90A:ACCUM_OFFSET: 5
; COMPUTE_PGM_RSRC3_GFX90A:TG_SPLIT: 0
	.section	.text._ZN2at6native12_GLOBAL__N_125multi_tensor_apply_kernelINS1_18TensorListMetadataILi1EEENS1_21BinaryOpScalarFunctorIfLi1ELi1ELi0EEEJNS0_7minimumIfEEfEEEvT_T0_DpT1_,"axG",@progbits,_ZN2at6native12_GLOBAL__N_125multi_tensor_apply_kernelINS1_18TensorListMetadataILi1EEENS1_21BinaryOpScalarFunctorIfLi1ELi1ELi0EEEJNS0_7minimumIfEEfEEEvT_T0_DpT1_,comdat
	.globl	_ZN2at6native12_GLOBAL__N_125multi_tensor_apply_kernelINS1_18TensorListMetadataILi1EEENS1_21BinaryOpScalarFunctorIfLi1ELi1ELi0EEEJNS0_7minimumIfEEfEEEvT_T0_DpT1_ ; -- Begin function _ZN2at6native12_GLOBAL__N_125multi_tensor_apply_kernelINS1_18TensorListMetadataILi1EEENS1_21BinaryOpScalarFunctorIfLi1ELi1ELi0EEEJNS0_7minimumIfEEfEEEvT_T0_DpT1_
	.p2align	8
	.type	_ZN2at6native12_GLOBAL__N_125multi_tensor_apply_kernelINS1_18TensorListMetadataILi1EEENS1_21BinaryOpScalarFunctorIfLi1ELi1ELi0EEEJNS0_7minimumIfEEfEEEvT_T0_DpT1_,@function
_ZN2at6native12_GLOBAL__N_125multi_tensor_apply_kernelINS1_18TensorListMetadataILi1EEENS1_21BinaryOpScalarFunctorIfLi1ELi1ELi0EEEJNS0_7minimumIfEEfEEEvT_T0_DpT1_: ; @_ZN2at6native12_GLOBAL__N_125multi_tensor_apply_kernelINS1_18TensorListMetadataILi1EEENS1_21BinaryOpScalarFunctorIfLi1ELi1ELi0EEEJNS0_7minimumIfEEfEEEvT_T0_DpT1_
; %bb.0:
	v_mov_b32_e32 v1, s6
	global_load_ubyte v1, v1, s[4:5] offset:1760
	s_add_u32 s0, s4, s6
	s_mul_hi_u32 s1, s6, 3
	s_mul_i32 s6, s6, 3
	s_addc_u32 s2, s5, 0
	s_add_u32 s0, s0, s6
	s_addc_u32 s1, s2, s1
	s_load_dword s0, s[0:1], 0x820
	s_mov_b32 s7, 0
	s_waitcnt vmcnt(0)
	v_readfirstlane_b32 s1, v1
	s_lshl_b32 s1, s1, 3
	s_load_dword s22, s[4:5], 0xd2c
	s_load_dwordx2 s[2:3], s[4:5], s1 offset:0x370
	s_load_dwordx2 s[10:11], s[4:5], s1 offset:0x0
	s_waitcnt lgkmcnt(0)
	s_ashr_i32 s1, s0, 31
	s_lshl_b64 s[12:13], s[0:1], 18
	s_lshl_b64 s[0:1], s[0:1], 16
	s_and_b32 s6, s10, 15
	s_sub_u32 s14, s2, s0
	s_subb_u32 s15, s3, s1
	s_and_b32 s0, s2, 3
	s_mov_b32 s1, s7
	s_or_b64 s[0:1], s[6:7], s[0:1]
	s_cmp_eq_u64 s[0:1], 0
	s_cbranch_scc1 .LBB113_21
; %bb.1:
	v_cmp_lt_i64_e64 s[0:1], s[14:15], 1
	s_and_b64 vcc, exec, s[0:1]
	s_cbranch_vccnz .LBB113_20
; %bb.2:
	s_load_dword s0, s[4:5], 0xd3c
	v_mov_b32_e32 v2, 0x10000
	v_mov_b32_e32 v3, 0
	v_cmp_lt_u64_e32 vcc, s[14:15], v[2:3]
	v_lshlrev_b32_e32 v1, 2, v0
	s_waitcnt lgkmcnt(0)
	s_and_b32 s3, s0, 0xffff
	s_and_b64 s[0:1], vcc, exec
	s_cselect_b32 s17, s15, 0
	s_cselect_b32 s16, s14, 0x10000
	s_lshl_b32 s6, s3, 1
	s_lshl_b32 s23, s3, 2
	s_add_u32 s7, s10, s12
	s_addc_u32 s8, s11, s13
	v_mov_b32_e32 v5, s8
	v_add_co_u32_e32 v4, vcc, s7, v1
	s_mul_i32 s0, s3, 3
	v_addc_co_u32_e32 v5, vcc, 0, v5, vcc
	v_add_co_u32_e32 v1, vcc, s0, v0
	v_addc_co_u32_e64 v10, s[0:1], 0, 0, vcc
	v_add_co_u32_e32 v11, vcc, s6, v0
	v_addc_co_u32_e64 v12, s[0:1], 0, 0, vcc
	v_add_co_u32_e32 v13, vcc, s3, v0
	v_lshlrev_b32_e32 v6, 2, v13
	s_mov_b32 s2, 0
	v_addc_co_u32_e64 v14, s[0:1], 0, 0, vcc
	v_mov_b32_e32 v7, s8
	v_add_co_u32_e32 v6, vcc, s7, v6
	s_lshl_b32 s24, s3, 4
	s_mul_i32 s25, s3, 12
	s_mov_b32 s26, s2
	s_lshl_b32 s27, s3, 3
	s_mov_b32 s28, s2
	v_addc_co_u32_e32 v7, vcc, 0, v7, vcc
	s_mov_b64 s[18:19], 0
	v_pk_mov_b32 v[8:9], s[14:15], s[14:15] op_sel:[0,1]
	v_mov_b32_e32 v15, s2
	s_branch .LBB113_4
.LBB113_3:                              ;   in Loop: Header=BB113_4 Depth=1
	s_or_b64 exec, exec, s[2:3]
	s_add_u32 s18, s18, s23
	s_addc_u32 s19, s19, 0
	v_cmp_lt_i64_e32 vcc, s[18:19], v[8:9]
	v_cmp_lt_u64_e64 s[0:1], s[18:19], v[2:3]
	s_and_b64 s[0:1], vcc, s[0:1]
	v_add_co_u32_e32 v4, vcc, s24, v4
	v_addc_co_u32_e32 v5, vcc, v5, v15, vcc
	v_add_co_u32_e32 v6, vcc, s24, v6
	v_addc_co_u32_e32 v7, vcc, v7, v15, vcc
	s_and_b64 vcc, exec, s[0:1]
	s_cbranch_vccz .LBB113_20
.LBB113_4:                              ; =>This Inner Loop Header: Depth=1
	s_waitcnt vmcnt(0)
	v_mov_b32_e32 v17, s19
	v_add_co_u32_e32 v16, vcc, s18, v0
	v_addc_co_u32_e32 v17, vcc, 0, v17, vcc
	v_cmp_gt_u64_e32 vcc, s[16:17], v[16:17]
	v_mov_b32_e32 v17, 0
	s_and_saveexec_b64 s[0:1], vcc
	s_cbranch_execz .LBB113_6
; %bb.5:                                ;   in Loop: Header=BB113_4 Depth=1
	global_load_dword v17, v[4:5], off
.LBB113_6:                              ;   in Loop: Header=BB113_4 Depth=1
	s_or_b64 exec, exec, s[0:1]
	v_mov_b32_e32 v16, s19
	v_add_co_u32_e64 v18, s[0:1], s18, v13
	v_addc_co_u32_e64 v19, s[0:1], v14, v16, s[0:1]
	v_cmp_gt_u64_e64 s[0:1], s[16:17], v[18:19]
	v_mov_b32_e32 v18, 0
	s_and_saveexec_b64 s[2:3], s[0:1]
	s_cbranch_execz .LBB113_8
; %bb.7:                                ;   in Loop: Header=BB113_4 Depth=1
	global_load_dword v18, v[6:7], off
.LBB113_8:                              ;   in Loop: Header=BB113_4 Depth=1
	s_or_b64 exec, exec, s[2:3]
	v_mov_b32_e32 v16, s19
	v_add_co_u32_e64 v20, s[2:3], s18, v11
	v_addc_co_u32_e64 v21, s[2:3], v12, v16, s[2:3]
	v_cmp_gt_u64_e64 s[2:3], s[16:17], v[20:21]
	v_mov_b32_e32 v16, 0
	v_mov_b32_e32 v19, 0
	s_and_saveexec_b64 s[8:9], s[2:3]
	s_cbranch_execz .LBB113_10
; %bb.9:                                ;   in Loop: Header=BB113_4 Depth=1
	v_mov_b32_e32 v19, s28
	v_add_co_u32_e64 v20, s[6:7], s27, v4
	v_addc_co_u32_e64 v21, s[6:7], v5, v19, s[6:7]
	global_load_dword v19, v[20:21], off
.LBB113_10:                             ;   in Loop: Header=BB113_4 Depth=1
	s_or_b64 exec, exec, s[8:9]
	v_mov_b32_e32 v21, s19
	v_add_co_u32_e64 v20, s[6:7], s18, v1
	v_addc_co_u32_e64 v21, s[6:7], v10, v21, s[6:7]
	v_cmp_gt_u64_e64 s[6:7], s[16:17], v[20:21]
	s_and_saveexec_b64 s[20:21], s[6:7]
	s_cbranch_execnz .LBB113_15
; %bb.11:                               ;   in Loop: Header=BB113_4 Depth=1
	s_or_b64 exec, exec, s[20:21]
	s_and_saveexec_b64 s[20:21], vcc
	s_cbranch_execnz .LBB113_16
.LBB113_12:                             ;   in Loop: Header=BB113_4 Depth=1
	s_or_b64 exec, exec, s[20:21]
	s_and_saveexec_b64 s[8:9], s[0:1]
	s_cbranch_execnz .LBB113_17
.LBB113_13:                             ;   in Loop: Header=BB113_4 Depth=1
	s_or_b64 exec, exec, s[8:9]
	s_and_saveexec_b64 s[8:9], s[2:3]
	s_cbranch_execnz .LBB113_18
.LBB113_14:                             ;   in Loop: Header=BB113_4 Depth=1
	s_or_b64 exec, exec, s[8:9]
	s_and_saveexec_b64 s[2:3], s[6:7]
	s_cbranch_execz .LBB113_3
	s_branch .LBB113_19
.LBB113_15:                             ;   in Loop: Header=BB113_4 Depth=1
	v_mov_b32_e32 v16, s26
	v_add_co_u32_e64 v20, s[8:9], s25, v4
	v_addc_co_u32_e64 v21, s[8:9], v5, v16, s[8:9]
	global_load_dword v16, v[20:21], off
	s_or_b64 exec, exec, s[20:21]
	s_and_saveexec_b64 s[20:21], vcc
	s_cbranch_execz .LBB113_12
.LBB113_16:                             ;   in Loop: Header=BB113_4 Depth=1
	s_waitcnt vmcnt(0)
	v_cmp_u_f32_e32 vcc, v17, v17
	v_cmp_gt_f32_e64 s[8:9], s22, v17
	v_mov_b32_e32 v20, s22
	s_or_b64 vcc, vcc, s[8:9]
	v_cndmask_b32_e32 v17, v20, v17, vcc
	global_store_dword v[4:5], v17, off
	s_or_b64 exec, exec, s[20:21]
	s_and_saveexec_b64 s[8:9], s[0:1]
	s_cbranch_execz .LBB113_13
.LBB113_17:                             ;   in Loop: Header=BB113_4 Depth=1
	s_waitcnt vmcnt(0)
	v_cmp_u_f32_e32 vcc, v18, v18
	v_cmp_gt_f32_e64 s[0:1], s22, v18
	v_mov_b32_e32 v17, s22
	s_or_b64 vcc, vcc, s[0:1]
	v_cndmask_b32_e32 v17, v17, v18, vcc
	global_store_dword v[6:7], v17, off
	s_or_b64 exec, exec, s[8:9]
	s_and_saveexec_b64 s[8:9], s[2:3]
	s_cbranch_execz .LBB113_14
.LBB113_18:                             ;   in Loop: Header=BB113_4 Depth=1
	s_waitcnt vmcnt(0)
	v_cmp_u_f32_e32 vcc, v19, v19
	v_cmp_gt_f32_e64 s[0:1], s22, v19
	v_mov_b32_e32 v17, s22
	s_or_b64 vcc, vcc, s[0:1]
	v_cndmask_b32_e32 v17, v17, v19, vcc
	v_mov_b32_e32 v19, s28
	v_add_co_u32_e32 v18, vcc, s27, v4
	v_addc_co_u32_e32 v19, vcc, v5, v19, vcc
	global_store_dword v[18:19], v17, off
	s_or_b64 exec, exec, s[8:9]
	s_and_saveexec_b64 s[2:3], s[6:7]
	s_cbranch_execz .LBB113_3
.LBB113_19:                             ;   in Loop: Header=BB113_4 Depth=1
	s_waitcnt vmcnt(0)
	v_cmp_u_f32_e32 vcc, v16, v16
	v_cmp_gt_f32_e64 s[0:1], s22, v16
	v_mov_b32_e32 v17, s22
	s_or_b64 vcc, vcc, s[0:1]
	v_cndmask_b32_e32 v18, v17, v16, vcc
	v_mov_b32_e32 v17, s26
	v_add_co_u32_e32 v16, vcc, s25, v4
	v_addc_co_u32_e32 v17, vcc, v5, v17, vcc
	global_store_dword v[16:17], v18, off
	s_branch .LBB113_3
.LBB113_20:
	s_cbranch_execz .LBB113_22
	s_branch .LBB113_25
.LBB113_21:
.LBB113_22:
	v_mov_b32_e32 v3, 0
	v_lshlrev_b32_e32 v2, 2, v0
	s_mov_b32 s0, 0
	v_cmp_gt_i64_e32 vcc, s[14:15], v[2:3]
	s_and_saveexec_b64 s[2:3], vcc
	s_cbranch_execz .LBB113_25
; %bb.23:
	s_load_dword s1, s[4:5], 0xd3c
	v_lshlrev_b32_e32 v1, 4, v0
	s_mov_b32 s20, s22
	s_mov_b64 s[16:17], 0
	s_mov_b64 s[18:19], 0xffff
	s_waitcnt lgkmcnt(0)
	s_and_b32 s1, s1, 0xffff
	s_add_u32 s2, s10, s12
	s_addc_u32 s3, s11, s13
	v_mov_b32_e32 v2, s3
	v_add_co_u32_e32 v1, vcc, s2, v1
	v_addc_co_u32_e32 v2, vcc, 0, v2, vcc
	v_add_co_u32_e32 v4, vcc, 8, v1
	v_addc_co_u32_e32 v5, vcc, 0, v2, vcc
	s_lshl_b32 s21, s1, 4
	v_add_lshl_u32 v2, v0, s1, 2
	s_lshl_b32 s23, s1, 2
	v_mov_b32_e32 v0, s22
	v_mov_b32_e32 v1, s22
	;; [unrolled: 1-line block ×4, first 2 shown]
.LBB113_24:                             ; =>This Inner Loop Header: Depth=1
	global_load_dwordx4 v[8:11], v[4:5], off offset:-8
	v_cmp_le_i64_e32 vcc, s[14:15], v[2:3]
	v_cmp_lt_u64_e64 s[0:1], s[18:19], v[2:3]
	v_add_co_u32_e64 v2, s[2:3], s23, v2
	v_addc_co_u32_e64 v3, s[2:3], v3, v7, s[2:3]
	s_or_b64 s[24:25], vcc, s[0:1]
	s_waitcnt vmcnt(0)
	v_cmp_u_f32_e32 vcc, v9, v9
	v_cmp_gt_f32_e64 s[2:3], s20, v9
	v_cmp_u_f32_e64 s[0:1], v8, v8
	v_cmp_gt_f32_e64 s[4:5], s22, v8
	s_or_b64 vcc, vcc, s[2:3]
	v_cmp_u_f32_e64 s[6:7], v11, v11
	v_cmp_gt_f32_e64 s[10:11], s20, v11
	v_cndmask_b32_e32 v9, v0, v9, vcc
	s_or_b64 vcc, s[0:1], s[4:5]
	v_cmp_u_f32_e64 s[8:9], v10, v10
	v_cmp_gt_f32_e64 s[12:13], s22, v10
	v_cndmask_b32_e32 v8, v1, v8, vcc
	s_or_b64 vcc, s[6:7], s[10:11]
	v_cndmask_b32_e32 v11, v0, v11, vcc
	s_or_b64 vcc, s[8:9], s[12:13]
	v_cndmask_b32_e32 v10, v1, v10, vcc
	global_store_dwordx4 v[4:5], v[8:11], off offset:-8
	s_and_b64 s[0:1], exec, s[24:25]
	v_add_co_u32_e32 v4, vcc, s21, v4
	s_or_b64 s[16:17], s[0:1], s[16:17]
	v_addc_co_u32_e32 v5, vcc, v5, v6, vcc
	s_andn2_b64 exec, exec, s[16:17]
	s_cbranch_execnz .LBB113_24
.LBB113_25:
	s_endpgm
	.section	.rodata,"a",@progbits
	.p2align	6, 0x0
	.amdhsa_kernel _ZN2at6native12_GLOBAL__N_125multi_tensor_apply_kernelINS1_18TensorListMetadataILi1EEENS1_21BinaryOpScalarFunctorIfLi1ELi1ELi0EEEJNS0_7minimumIfEEfEEEvT_T0_DpT1_
		.amdhsa_group_segment_fixed_size 0
		.amdhsa_private_segment_fixed_size 0
		.amdhsa_kernarg_size 3632
		.amdhsa_user_sgpr_count 6
		.amdhsa_user_sgpr_private_segment_buffer 1
		.amdhsa_user_sgpr_dispatch_ptr 0
		.amdhsa_user_sgpr_queue_ptr 0
		.amdhsa_user_sgpr_kernarg_segment_ptr 1
		.amdhsa_user_sgpr_dispatch_id 0
		.amdhsa_user_sgpr_flat_scratch_init 0
		.amdhsa_user_sgpr_kernarg_preload_length 0
		.amdhsa_user_sgpr_kernarg_preload_offset 0
		.amdhsa_user_sgpr_private_segment_size 0
		.amdhsa_uses_dynamic_stack 0
		.amdhsa_system_sgpr_private_segment_wavefront_offset 0
		.amdhsa_system_sgpr_workgroup_id_x 1
		.amdhsa_system_sgpr_workgroup_id_y 0
		.amdhsa_system_sgpr_workgroup_id_z 0
		.amdhsa_system_sgpr_workgroup_info 0
		.amdhsa_system_vgpr_workitem_id 0
		.amdhsa_next_free_vgpr 22
		.amdhsa_next_free_sgpr 29
		.amdhsa_accum_offset 24
		.amdhsa_reserve_vcc 1
		.amdhsa_reserve_flat_scratch 0
		.amdhsa_float_round_mode_32 0
		.amdhsa_float_round_mode_16_64 0
		.amdhsa_float_denorm_mode_32 3
		.amdhsa_float_denorm_mode_16_64 3
		.amdhsa_dx10_clamp 1
		.amdhsa_ieee_mode 1
		.amdhsa_fp16_overflow 0
		.amdhsa_tg_split 0
		.amdhsa_exception_fp_ieee_invalid_op 0
		.amdhsa_exception_fp_denorm_src 0
		.amdhsa_exception_fp_ieee_div_zero 0
		.amdhsa_exception_fp_ieee_overflow 0
		.amdhsa_exception_fp_ieee_underflow 0
		.amdhsa_exception_fp_ieee_inexact 0
		.amdhsa_exception_int_div_zero 0
	.end_amdhsa_kernel
	.section	.text._ZN2at6native12_GLOBAL__N_125multi_tensor_apply_kernelINS1_18TensorListMetadataILi1EEENS1_21BinaryOpScalarFunctorIfLi1ELi1ELi0EEEJNS0_7minimumIfEEfEEEvT_T0_DpT1_,"axG",@progbits,_ZN2at6native12_GLOBAL__N_125multi_tensor_apply_kernelINS1_18TensorListMetadataILi1EEENS1_21BinaryOpScalarFunctorIfLi1ELi1ELi0EEEJNS0_7minimumIfEEfEEEvT_T0_DpT1_,comdat
.Lfunc_end113:
	.size	_ZN2at6native12_GLOBAL__N_125multi_tensor_apply_kernelINS1_18TensorListMetadataILi1EEENS1_21BinaryOpScalarFunctorIfLi1ELi1ELi0EEEJNS0_7minimumIfEEfEEEvT_T0_DpT1_, .Lfunc_end113-_ZN2at6native12_GLOBAL__N_125multi_tensor_apply_kernelINS1_18TensorListMetadataILi1EEENS1_21BinaryOpScalarFunctorIfLi1ELi1ELi0EEEJNS0_7minimumIfEEfEEEvT_T0_DpT1_
                                        ; -- End function
	.section	.AMDGPU.csdata,"",@progbits
; Kernel info:
; codeLenInByte = 1196
; NumSgprs: 33
; NumVgprs: 22
; NumAgprs: 0
; TotalNumVgprs: 22
; ScratchSize: 0
; MemoryBound: 0
; FloatMode: 240
; IeeeMode: 1
; LDSByteSize: 0 bytes/workgroup (compile time only)
; SGPRBlocks: 4
; VGPRBlocks: 2
; NumSGPRsForWavesPerEU: 33
; NumVGPRsForWavesPerEU: 22
; AccumOffset: 24
; Occupancy: 8
; WaveLimiterHint : 0
; COMPUTE_PGM_RSRC2:SCRATCH_EN: 0
; COMPUTE_PGM_RSRC2:USER_SGPR: 6
; COMPUTE_PGM_RSRC2:TRAP_HANDLER: 0
; COMPUTE_PGM_RSRC2:TGID_X_EN: 1
; COMPUTE_PGM_RSRC2:TGID_Y_EN: 0
; COMPUTE_PGM_RSRC2:TGID_Z_EN: 0
; COMPUTE_PGM_RSRC2:TIDIG_COMP_CNT: 0
; COMPUTE_PGM_RSRC3_GFX90A:ACCUM_OFFSET: 5
; COMPUTE_PGM_RSRC3_GFX90A:TG_SPLIT: 0
	.section	.text._ZN2at6native12_GLOBAL__N_125multi_tensor_apply_kernelINS1_18TensorListMetadataILi1EEENS1_21BinaryOpScalarFunctorIN3c104HalfELi1ELi1ELi0EEEJNS0_7minimumIfEEfEEEvT_T0_DpT1_,"axG",@progbits,_ZN2at6native12_GLOBAL__N_125multi_tensor_apply_kernelINS1_18TensorListMetadataILi1EEENS1_21BinaryOpScalarFunctorIN3c104HalfELi1ELi1ELi0EEEJNS0_7minimumIfEEfEEEvT_T0_DpT1_,comdat
	.globl	_ZN2at6native12_GLOBAL__N_125multi_tensor_apply_kernelINS1_18TensorListMetadataILi1EEENS1_21BinaryOpScalarFunctorIN3c104HalfELi1ELi1ELi0EEEJNS0_7minimumIfEEfEEEvT_T0_DpT1_ ; -- Begin function _ZN2at6native12_GLOBAL__N_125multi_tensor_apply_kernelINS1_18TensorListMetadataILi1EEENS1_21BinaryOpScalarFunctorIN3c104HalfELi1ELi1ELi0EEEJNS0_7minimumIfEEfEEEvT_T0_DpT1_
	.p2align	8
	.type	_ZN2at6native12_GLOBAL__N_125multi_tensor_apply_kernelINS1_18TensorListMetadataILi1EEENS1_21BinaryOpScalarFunctorIN3c104HalfELi1ELi1ELi0EEEJNS0_7minimumIfEEfEEEvT_T0_DpT1_,@function
_ZN2at6native12_GLOBAL__N_125multi_tensor_apply_kernelINS1_18TensorListMetadataILi1EEENS1_21BinaryOpScalarFunctorIN3c104HalfELi1ELi1ELi0EEEJNS0_7minimumIfEEfEEEvT_T0_DpT1_: ; @_ZN2at6native12_GLOBAL__N_125multi_tensor_apply_kernelINS1_18TensorListMetadataILi1EEENS1_21BinaryOpScalarFunctorIN3c104HalfELi1ELi1ELi0EEEJNS0_7minimumIfEEfEEEvT_T0_DpT1_
; %bb.0:
	v_mov_b32_e32 v1, s6
	global_load_ubyte v1, v1, s[4:5] offset:1760
	s_add_u32 s0, s4, s6
	s_mul_hi_u32 s1, s6, 3
	s_mul_i32 s6, s6, 3
	s_addc_u32 s2, s5, 0
	s_add_u32 s0, s0, s6
	s_addc_u32 s1, s2, s1
	s_load_dword s0, s[0:1], 0x820
	s_mov_b32 s7, 0
	s_waitcnt vmcnt(0)
	v_readfirstlane_b32 s1, v1
	s_lshl_b32 s1, s1, 3
	s_load_dword s22, s[4:5], 0xd2c
	s_load_dwordx2 s[2:3], s[4:5], s1 offset:0x370
	s_load_dwordx2 s[10:11], s[4:5], s1 offset:0x0
	s_waitcnt lgkmcnt(0)
	s_ashr_i32 s1, s0, 31
	s_lshl_b64 s[12:13], s[0:1], 17
	s_lshl_b64 s[0:1], s[0:1], 16
	s_and_b32 s6, s10, 7
	s_sub_u32 s14, s2, s0
	s_subb_u32 s15, s3, s1
	s_and_b32 s0, s2, 3
	s_mov_b32 s1, s7
	s_or_b64 s[0:1], s[6:7], s[0:1]
	s_cmp_eq_u64 s[0:1], 0
	s_cbranch_scc1 .LBB114_21
; %bb.1:
	v_cmp_lt_i64_e64 s[0:1], s[14:15], 1
	s_and_b64 vcc, exec, s[0:1]
	s_cbranch_vccnz .LBB114_20
; %bb.2:
	s_load_dword s0, s[4:5], 0xd3c
	v_mov_b32_e32 v2, 0x10000
	v_mov_b32_e32 v3, 0
	v_cmp_lt_u64_e32 vcc, s[14:15], v[2:3]
	v_lshlrev_b32_e32 v4, 1, v0
	s_waitcnt lgkmcnt(0)
	s_and_b32 s2, s0, 0xffff
	s_and_b64 s[0:1], vcc, exec
	s_cselect_b32 s17, s15, 0
	s_cselect_b32 s16, s14, 0x10000
	s_lshl_b32 s3, s2, 1
	s_lshl_b32 s24, s2, 2
	s_add_u32 s6, s10, s12
	s_addc_u32 s7, s11, s13
	v_mov_b32_e32 v5, s7
	v_add_co_u32_e32 v4, vcc, s6, v4
	s_mul_i32 s0, s2, 3
	v_addc_co_u32_e32 v5, vcc, 0, v5, vcc
	v_add_co_u32_e32 v10, vcc, s0, v0
	v_addc_co_u32_e64 v11, s[0:1], 0, 0, vcc
	v_add_co_u32_e32 v12, vcc, s3, v0
	v_cvt_f16_f32_e32 v1, s22
	v_addc_co_u32_e64 v13, s[0:1], 0, 0, vcc
	v_add_co_u32_e32 v14, vcc, s2, v0
	v_lshlrev_b32_e32 v6, 1, v14
	s_mov_b32 s23, 0
	v_addc_co_u32_e64 v15, s[0:1], 0, 0, vcc
	v_mov_b32_e32 v7, s7
	v_add_co_u32_e32 v6, vcc, s6, v6
	s_lshl_b32 s25, s2, 3
	s_mul_i32 s26, s2, 6
	s_mov_b32 s27, s23
	v_addc_co_u32_e32 v7, vcc, 0, v7, vcc
	s_mov_b64 s[18:19], 0
	v_pk_mov_b32 v[8:9], s[14:15], s[14:15] op_sel:[0,1]
	v_mov_b32_e32 v16, s23
	s_branch .LBB114_4
.LBB114_3:                              ;   in Loop: Header=BB114_4 Depth=1
	s_or_b64 exec, exec, s[2:3]
	s_add_u32 s18, s18, s24
	s_addc_u32 s19, s19, 0
	v_cmp_lt_i64_e32 vcc, s[18:19], v[8:9]
	v_cmp_lt_u64_e64 s[0:1], s[18:19], v[2:3]
	s_and_b64 s[0:1], vcc, s[0:1]
	v_add_co_u32_e32 v4, vcc, s25, v4
	v_addc_co_u32_e32 v5, vcc, v5, v16, vcc
	v_add_co_u32_e32 v6, vcc, s25, v6
	v_addc_co_u32_e32 v7, vcc, v7, v16, vcc
	s_and_b64 vcc, exec, s[0:1]
	s_cbranch_vccz .LBB114_20
.LBB114_4:                              ; =>This Inner Loop Header: Depth=1
	s_waitcnt vmcnt(0)
	v_mov_b32_e32 v17, s19
	v_add_co_u32_e32 v18, vcc, s18, v0
	v_addc_co_u32_e32 v19, vcc, 0, v17, vcc
	v_cmp_gt_u64_e32 vcc, s[16:17], v[18:19]
	v_mov_b32_e32 v18, 0
	s_and_saveexec_b64 s[0:1], vcc
	s_cbranch_execz .LBB114_6
; %bb.5:                                ;   in Loop: Header=BB114_4 Depth=1
	global_load_ushort v18, v[4:5], off
.LBB114_6:                              ;   in Loop: Header=BB114_4 Depth=1
	s_or_b64 exec, exec, s[0:1]
	v_mov_b32_e32 v17, s19
	v_add_co_u32_e64 v20, s[0:1], s18, v14
	v_addc_co_u32_e64 v21, s[0:1], v15, v17, s[0:1]
	v_cmp_gt_u64_e64 s[0:1], s[16:17], v[20:21]
	v_mov_b32_e32 v19, 0
	s_and_saveexec_b64 s[2:3], s[0:1]
	s_cbranch_execz .LBB114_8
; %bb.7:                                ;   in Loop: Header=BB114_4 Depth=1
	global_load_ushort v19, v[6:7], off
.LBB114_8:                              ;   in Loop: Header=BB114_4 Depth=1
	s_or_b64 exec, exec, s[2:3]
	v_mov_b32_e32 v17, s19
	v_add_co_u32_e64 v20, s[2:3], s18, v12
	v_addc_co_u32_e64 v21, s[2:3], v13, v17, s[2:3]
	v_cmp_gt_u64_e64 s[2:3], s[16:17], v[20:21]
	v_mov_b32_e32 v17, 0
	v_mov_b32_e32 v20, 0
	s_and_saveexec_b64 s[8:9], s[2:3]
	s_cbranch_execz .LBB114_10
; %bb.9:                                ;   in Loop: Header=BB114_4 Depth=1
	v_mov_b32_e32 v21, s23
	v_add_co_u32_e64 v20, s[6:7], s24, v4
	v_addc_co_u32_e64 v21, s[6:7], v5, v21, s[6:7]
	global_load_ushort v20, v[20:21], off
.LBB114_10:                             ;   in Loop: Header=BB114_4 Depth=1
	s_or_b64 exec, exec, s[8:9]
	v_mov_b32_e32 v21, s19
	v_add_co_u32_e64 v22, s[6:7], s18, v10
	v_addc_co_u32_e64 v23, s[6:7], v11, v21, s[6:7]
	v_cmp_gt_u64_e64 s[6:7], s[16:17], v[22:23]
	s_and_saveexec_b64 s[20:21], s[6:7]
	s_cbranch_execnz .LBB114_15
; %bb.11:                               ;   in Loop: Header=BB114_4 Depth=1
	s_or_b64 exec, exec, s[20:21]
	s_and_saveexec_b64 s[20:21], vcc
	s_cbranch_execnz .LBB114_16
.LBB114_12:                             ;   in Loop: Header=BB114_4 Depth=1
	s_or_b64 exec, exec, s[20:21]
	s_and_saveexec_b64 s[8:9], s[0:1]
	s_cbranch_execnz .LBB114_17
.LBB114_13:                             ;   in Loop: Header=BB114_4 Depth=1
	s_or_b64 exec, exec, s[8:9]
	s_and_saveexec_b64 s[8:9], s[2:3]
	s_cbranch_execnz .LBB114_18
.LBB114_14:                             ;   in Loop: Header=BB114_4 Depth=1
	s_or_b64 exec, exec, s[8:9]
	s_and_saveexec_b64 s[2:3], s[6:7]
	s_cbranch_execz .LBB114_3
	s_branch .LBB114_19
.LBB114_15:                             ;   in Loop: Header=BB114_4 Depth=1
	v_mov_b32_e32 v17, s27
	v_add_co_u32_e64 v22, s[8:9], s26, v4
	v_addc_co_u32_e64 v23, s[8:9], v5, v17, s[8:9]
	global_load_ushort v17, v[22:23], off
	s_or_b64 exec, exec, s[20:21]
	s_and_saveexec_b64 s[20:21], vcc
	s_cbranch_execz .LBB114_12
.LBB114_16:                             ;   in Loop: Header=BB114_4 Depth=1
	s_waitcnt vmcnt(0)
	v_cvt_f32_f16_e32 v21, v18
	v_cmp_u_f16_e32 vcc, v18, v18
	v_cmp_gt_f32_e64 s[8:9], s22, v21
	s_or_b64 vcc, vcc, s[8:9]
	v_cndmask_b32_e32 v18, v1, v18, vcc
	global_store_short v[4:5], v18, off
	s_or_b64 exec, exec, s[20:21]
	s_and_saveexec_b64 s[8:9], s[0:1]
	s_cbranch_execz .LBB114_13
.LBB114_17:                             ;   in Loop: Header=BB114_4 Depth=1
	s_waitcnt vmcnt(0)
	v_cvt_f32_f16_e32 v18, v19
	v_cmp_u_f16_e32 vcc, v19, v19
	v_cmp_gt_f32_e64 s[0:1], s22, v18
	s_or_b64 vcc, vcc, s[0:1]
	v_cndmask_b32_e32 v18, v1, v19, vcc
	global_store_short v[6:7], v18, off
	s_or_b64 exec, exec, s[8:9]
	s_and_saveexec_b64 s[8:9], s[2:3]
	s_cbranch_execz .LBB114_14
.LBB114_18:                             ;   in Loop: Header=BB114_4 Depth=1
	s_waitcnt vmcnt(0)
	v_cvt_f32_f16_e32 v18, v20
	v_cmp_u_f16_e32 vcc, v20, v20
	v_mov_b32_e32 v19, s23
	v_cmp_gt_f32_e64 s[0:1], s22, v18
	s_or_b64 vcc, vcc, s[0:1]
	v_cndmask_b32_e32 v20, v1, v20, vcc
	v_add_co_u32_e32 v18, vcc, s24, v4
	v_addc_co_u32_e32 v19, vcc, v5, v19, vcc
	global_store_short v[18:19], v20, off
	s_or_b64 exec, exec, s[8:9]
	s_and_saveexec_b64 s[2:3], s[6:7]
	s_cbranch_execz .LBB114_3
.LBB114_19:                             ;   in Loop: Header=BB114_4 Depth=1
	s_waitcnt vmcnt(0)
	v_cvt_f32_f16_e32 v18, v17
	v_cmp_u_f16_e32 vcc, v17, v17
	v_mov_b32_e32 v19, s27
	v_cmp_gt_f32_e64 s[0:1], s22, v18
	s_or_b64 vcc, vcc, s[0:1]
	v_cndmask_b32_e32 v17, v1, v17, vcc
	v_add_co_u32_e32 v18, vcc, s26, v4
	v_addc_co_u32_e32 v19, vcc, v5, v19, vcc
	global_store_short v[18:19], v17, off
	s_branch .LBB114_3
.LBB114_20:
	s_cbranch_execz .LBB114_22
	s_branch .LBB114_25
.LBB114_21:
.LBB114_22:
	v_mov_b32_e32 v3, 0
	v_lshlrev_b32_e32 v2, 2, v0
	s_mov_b32 s0, 0
	v_cmp_gt_i64_e32 vcc, s[14:15], v[2:3]
	s_and_saveexec_b64 s[2:3], vcc
	s_cbranch_execz .LBB114_25
; %bb.23:
	s_load_dword s1, s[4:5], 0xd3c
	v_cvt_f16_f32_e32 v1, s22
	v_lshlrev_b32_e32 v2, 3, v0
	s_mov_b32 s20, s22
	s_mov_b32 s21, s22
	s_waitcnt lgkmcnt(0)
	s_and_b32 s1, s1, 0xffff
	s_add_u32 s2, s10, s12
	s_addc_u32 s3, s11, s13
	v_pack_b32_f16 v1, v1, v1
	v_mov_b32_e32 v5, s3
	v_add_co_u32_e32 v4, vcc, s2, v2
	s_mov_b32 s23, s22
	v_addc_co_u32_e32 v5, vcc, 0, v5, vcc
	s_lshl_b32 s24, s1, 3
	v_add_lshl_u32 v2, v0, s1, 2
	s_lshl_b32 s25, s1, 2
	s_mov_b64 s[16:17], 0
	v_lshrrev_b32_e32 v0, 16, v1
	s_mov_b32 s26, 0x5040100
	s_mov_b64 s[18:19], 0xffff
	v_mov_b32_e32 v6, s0
	v_mov_b32_e32 v7, s0
.LBB114_24:                             ; =>This Inner Loop Header: Depth=1
	global_load_dwordx2 v[8:9], v[4:5], off
	v_cmp_le_i64_e32 vcc, s[14:15], v[2:3]
	v_cmp_lt_u64_e64 s[0:1], s[18:19], v[2:3]
	s_or_b64 s[28:29], vcc, s[0:1]
	s_waitcnt vmcnt(0)
	v_cvt_f32_f16_e32 v13, v9
	v_lshrrev_b32_e32 v11, 16, v9
	v_cvt_f32_f16_e32 v12, v8
	v_lshrrev_b32_e32 v10, 16, v8
	v_cvt_f32_f16_e32 v15, v11
	v_cvt_f32_f16_e32 v14, v10
	v_cmp_u_f16_e32 vcc, v9, v9
	v_cmp_gt_f32_e64 s[6:7], s21, v13
	v_cmp_u_f16_e64 s[0:1], v8, v8
	v_cmp_gt_f32_e64 s[8:9], s22, v12
	s_or_b64 vcc, vcc, s[6:7]
	v_cmp_u_f16_e64 s[2:3], v11, v11
	v_cmp_gt_f32_e64 s[10:11], s23, v15
	v_cndmask_b32_e32 v9, v1, v9, vcc
	s_or_b64 vcc, s[0:1], s[8:9]
	v_cmp_u_f16_e64 s[4:5], v10, v10
	v_cmp_gt_f32_e64 s[12:13], s20, v14
	v_cndmask_b32_e32 v8, v1, v8, vcc
	s_or_b64 vcc, s[2:3], s[10:11]
	v_cndmask_b32_e32 v11, v0, v11, vcc
	s_or_b64 vcc, s[4:5], s[12:13]
	v_cndmask_b32_e32 v10, v0, v10, vcc
	v_perm_b32 v9, v11, v9, s26
	v_perm_b32 v8, v10, v8, s26
	global_store_dwordx2 v[4:5], v[8:9], off
	v_add_co_u32_e32 v4, vcc, s24, v4
	v_addc_co_u32_e32 v5, vcc, v5, v6, vcc
	s_and_b64 s[0:1], exec, s[28:29]
	v_add_co_u32_e32 v2, vcc, s25, v2
	s_or_b64 s[16:17], s[0:1], s[16:17]
	v_addc_co_u32_e32 v3, vcc, v3, v7, vcc
	s_andn2_b64 exec, exec, s[16:17]
	s_cbranch_execnz .LBB114_24
.LBB114_25:
	s_endpgm
	.section	.rodata,"a",@progbits
	.p2align	6, 0x0
	.amdhsa_kernel _ZN2at6native12_GLOBAL__N_125multi_tensor_apply_kernelINS1_18TensorListMetadataILi1EEENS1_21BinaryOpScalarFunctorIN3c104HalfELi1ELi1ELi0EEEJNS0_7minimumIfEEfEEEvT_T0_DpT1_
		.amdhsa_group_segment_fixed_size 0
		.amdhsa_private_segment_fixed_size 0
		.amdhsa_kernarg_size 3632
		.amdhsa_user_sgpr_count 6
		.amdhsa_user_sgpr_private_segment_buffer 1
		.amdhsa_user_sgpr_dispatch_ptr 0
		.amdhsa_user_sgpr_queue_ptr 0
		.amdhsa_user_sgpr_kernarg_segment_ptr 1
		.amdhsa_user_sgpr_dispatch_id 0
		.amdhsa_user_sgpr_flat_scratch_init 0
		.amdhsa_user_sgpr_kernarg_preload_length 0
		.amdhsa_user_sgpr_kernarg_preload_offset 0
		.amdhsa_user_sgpr_private_segment_size 0
		.amdhsa_uses_dynamic_stack 0
		.amdhsa_system_sgpr_private_segment_wavefront_offset 0
		.amdhsa_system_sgpr_workgroup_id_x 1
		.amdhsa_system_sgpr_workgroup_id_y 0
		.amdhsa_system_sgpr_workgroup_id_z 0
		.amdhsa_system_sgpr_workgroup_info 0
		.amdhsa_system_vgpr_workitem_id 0
		.amdhsa_next_free_vgpr 24
		.amdhsa_next_free_sgpr 30
		.amdhsa_accum_offset 24
		.amdhsa_reserve_vcc 1
		.amdhsa_reserve_flat_scratch 0
		.amdhsa_float_round_mode_32 0
		.amdhsa_float_round_mode_16_64 0
		.amdhsa_float_denorm_mode_32 3
		.amdhsa_float_denorm_mode_16_64 3
		.amdhsa_dx10_clamp 1
		.amdhsa_ieee_mode 1
		.amdhsa_fp16_overflow 0
		.amdhsa_tg_split 0
		.amdhsa_exception_fp_ieee_invalid_op 0
		.amdhsa_exception_fp_denorm_src 0
		.amdhsa_exception_fp_ieee_div_zero 0
		.amdhsa_exception_fp_ieee_overflow 0
		.amdhsa_exception_fp_ieee_underflow 0
		.amdhsa_exception_fp_ieee_inexact 0
		.amdhsa_exception_int_div_zero 0
	.end_amdhsa_kernel
	.section	.text._ZN2at6native12_GLOBAL__N_125multi_tensor_apply_kernelINS1_18TensorListMetadataILi1EEENS1_21BinaryOpScalarFunctorIN3c104HalfELi1ELi1ELi0EEEJNS0_7minimumIfEEfEEEvT_T0_DpT1_,"axG",@progbits,_ZN2at6native12_GLOBAL__N_125multi_tensor_apply_kernelINS1_18TensorListMetadataILi1EEENS1_21BinaryOpScalarFunctorIN3c104HalfELi1ELi1ELi0EEEJNS0_7minimumIfEEfEEEvT_T0_DpT1_,comdat
.Lfunc_end114:
	.size	_ZN2at6native12_GLOBAL__N_125multi_tensor_apply_kernelINS1_18TensorListMetadataILi1EEENS1_21BinaryOpScalarFunctorIN3c104HalfELi1ELi1ELi0EEEJNS0_7minimumIfEEfEEEvT_T0_DpT1_, .Lfunc_end114-_ZN2at6native12_GLOBAL__N_125multi_tensor_apply_kernelINS1_18TensorListMetadataILi1EEENS1_21BinaryOpScalarFunctorIN3c104HalfELi1ELi1ELi0EEEJNS0_7minimumIfEEfEEEvT_T0_DpT1_
                                        ; -- End function
	.section	.AMDGPU.csdata,"",@progbits
; Kernel info:
; codeLenInByte = 1240
; NumSgprs: 34
; NumVgprs: 24
; NumAgprs: 0
; TotalNumVgprs: 24
; ScratchSize: 0
; MemoryBound: 0
; FloatMode: 240
; IeeeMode: 1
; LDSByteSize: 0 bytes/workgroup (compile time only)
; SGPRBlocks: 4
; VGPRBlocks: 2
; NumSGPRsForWavesPerEU: 34
; NumVGPRsForWavesPerEU: 24
; AccumOffset: 24
; Occupancy: 8
; WaveLimiterHint : 0
; COMPUTE_PGM_RSRC2:SCRATCH_EN: 0
; COMPUTE_PGM_RSRC2:USER_SGPR: 6
; COMPUTE_PGM_RSRC2:TRAP_HANDLER: 0
; COMPUTE_PGM_RSRC2:TGID_X_EN: 1
; COMPUTE_PGM_RSRC2:TGID_Y_EN: 0
; COMPUTE_PGM_RSRC2:TGID_Z_EN: 0
; COMPUTE_PGM_RSRC2:TIDIG_COMP_CNT: 0
; COMPUTE_PGM_RSRC3_GFX90A:ACCUM_OFFSET: 5
; COMPUTE_PGM_RSRC3_GFX90A:TG_SPLIT: 0
	.section	.text._ZN2at6native12_GLOBAL__N_125multi_tensor_apply_kernelINS1_18TensorListMetadataILi1EEENS1_21BinaryOpScalarFunctorIN3c108BFloat16ELi1ELi1ELi0EEEJNS0_7minimumIfEEfEEEvT_T0_DpT1_,"axG",@progbits,_ZN2at6native12_GLOBAL__N_125multi_tensor_apply_kernelINS1_18TensorListMetadataILi1EEENS1_21BinaryOpScalarFunctorIN3c108BFloat16ELi1ELi1ELi0EEEJNS0_7minimumIfEEfEEEvT_T0_DpT1_,comdat
	.globl	_ZN2at6native12_GLOBAL__N_125multi_tensor_apply_kernelINS1_18TensorListMetadataILi1EEENS1_21BinaryOpScalarFunctorIN3c108BFloat16ELi1ELi1ELi0EEEJNS0_7minimumIfEEfEEEvT_T0_DpT1_ ; -- Begin function _ZN2at6native12_GLOBAL__N_125multi_tensor_apply_kernelINS1_18TensorListMetadataILi1EEENS1_21BinaryOpScalarFunctorIN3c108BFloat16ELi1ELi1ELi0EEEJNS0_7minimumIfEEfEEEvT_T0_DpT1_
	.p2align	8
	.type	_ZN2at6native12_GLOBAL__N_125multi_tensor_apply_kernelINS1_18TensorListMetadataILi1EEENS1_21BinaryOpScalarFunctorIN3c108BFloat16ELi1ELi1ELi0EEEJNS0_7minimumIfEEfEEEvT_T0_DpT1_,@function
_ZN2at6native12_GLOBAL__N_125multi_tensor_apply_kernelINS1_18TensorListMetadataILi1EEENS1_21BinaryOpScalarFunctorIN3c108BFloat16ELi1ELi1ELi0EEEJNS0_7minimumIfEEfEEEvT_T0_DpT1_: ; @_ZN2at6native12_GLOBAL__N_125multi_tensor_apply_kernelINS1_18TensorListMetadataILi1EEENS1_21BinaryOpScalarFunctorIN3c108BFloat16ELi1ELi1ELi0EEEJNS0_7minimumIfEEfEEEvT_T0_DpT1_
; %bb.0:
	v_mov_b32_e32 v1, s6
	global_load_ubyte v1, v1, s[4:5] offset:1760
	s_add_u32 s0, s4, s6
	s_mul_hi_u32 s1, s6, 3
	s_mul_i32 s6, s6, 3
	s_addc_u32 s2, s5, 0
	s_add_u32 s0, s0, s6
	s_addc_u32 s1, s2, s1
	s_load_dword s0, s[0:1], 0x820
	s_mov_b32 s7, 0
	s_waitcnt vmcnt(0)
	v_readfirstlane_b32 s1, v1
	s_lshl_b32 s1, s1, 3
	s_load_dword s22, s[4:5], 0xd2c
	s_load_dwordx2 s[2:3], s[4:5], s1 offset:0x370
	s_load_dwordx2 s[12:13], s[4:5], s1 offset:0x0
	s_waitcnt lgkmcnt(0)
	s_ashr_i32 s1, s0, 31
	s_lshl_b64 s[14:15], s[0:1], 17
	s_lshl_b64 s[0:1], s[0:1], 16
	s_and_b32 s6, s12, 7
	s_sub_u32 s10, s2, s0
	s_subb_u32 s11, s3, s1
	s_and_b32 s0, s2, 3
	s_mov_b32 s1, s7
	s_or_b64 s[0:1], s[6:7], s[0:1]
	s_cmp_eq_u64 s[0:1], 0
	s_cbranch_scc1 .LBB115_21
; %bb.1:
	v_cmp_lt_i64_e64 s[0:1], s[10:11], 1
	s_and_b64 vcc, exec, s[0:1]
	s_cbranch_vccnz .LBB115_20
; %bb.2:
	s_load_dword s0, s[4:5], 0xd3c
	v_mov_b32_e32 v2, 0x10000
	v_mov_b32_e32 v3, 0
	v_cmp_lt_u64_e32 vcc, s[10:11], v[2:3]
	v_lshlrev_b32_e32 v1, 1, v0
	s_waitcnt lgkmcnt(0)
	s_and_b32 s2, s0, 0xffff
	s_and_b64 s[0:1], vcc, exec
	s_cselect_b32 s17, s11, 0
	s_cselect_b32 s16, s10, 0x10000
	s_lshl_b32 s3, s2, 1
	s_lshl_b32 s24, s2, 2
	s_add_u32 s6, s12, s14
	s_addc_u32 s7, s13, s15
	v_mov_b32_e32 v5, s7
	v_add_co_u32_e32 v4, vcc, s6, v1
	s_mul_i32 s0, s2, 3
	v_addc_co_u32_e32 v5, vcc, 0, v5, vcc
	v_add_co_u32_e32 v1, vcc, s0, v0
	v_addc_co_u32_e64 v10, s[0:1], 0, 0, vcc
	v_add_co_u32_e32 v11, vcc, s3, v0
	v_addc_co_u32_e64 v12, s[0:1], 0, 0, vcc
	v_add_co_u32_e32 v13, vcc, s2, v0
	v_lshlrev_b32_e32 v6, 1, v13
	s_mov_b32 s23, 0
	v_addc_co_u32_e64 v14, s[0:1], 0, 0, vcc
	v_mov_b32_e32 v7, s7
	v_add_co_u32_e32 v6, vcc, s6, v6
	s_lshl_b32 s25, s2, 3
	s_mul_i32 s26, s2, 6
	s_mov_b32 s27, s23
	v_addc_co_u32_e32 v7, vcc, 0, v7, vcc
	s_mov_b64 s[18:19], 0
	s_movk_i32 s28, 0x7fff
	v_pk_mov_b32 v[8:9], s[10:11], s[10:11] op_sel:[0,1]
	v_mov_b32_e32 v15, s23
	v_mov_b32_e32 v16, 0x7fc0
	s_branch .LBB115_4
.LBB115_3:                              ;   in Loop: Header=BB115_4 Depth=1
	s_or_b64 exec, exec, s[2:3]
	s_add_u32 s18, s18, s24
	s_addc_u32 s19, s19, 0
	v_cmp_lt_i64_e32 vcc, s[18:19], v[8:9]
	v_cmp_lt_u64_e64 s[0:1], s[18:19], v[2:3]
	s_and_b64 s[0:1], vcc, s[0:1]
	v_add_co_u32_e32 v4, vcc, s25, v4
	v_addc_co_u32_e32 v5, vcc, v5, v15, vcc
	v_add_co_u32_e32 v6, vcc, s25, v6
	v_addc_co_u32_e32 v7, vcc, v7, v15, vcc
	s_and_b64 vcc, exec, s[0:1]
	s_cbranch_vccz .LBB115_20
.LBB115_4:                              ; =>This Inner Loop Header: Depth=1
	s_waitcnt vmcnt(0)
	v_mov_b32_e32 v17, s19
	v_add_co_u32_e32 v18, vcc, s18, v0
	v_addc_co_u32_e32 v19, vcc, 0, v17, vcc
	v_cmp_gt_u64_e64 s[6:7], s[16:17], v[18:19]
	v_mov_b32_e32 v19, 0
	s_and_saveexec_b64 s[0:1], s[6:7]
	s_cbranch_execz .LBB115_6
; %bb.5:                                ;   in Loop: Header=BB115_4 Depth=1
	global_load_ushort v19, v[4:5], off
.LBB115_6:                              ;   in Loop: Header=BB115_4 Depth=1
	s_or_b64 exec, exec, s[0:1]
	v_mov_b32_e32 v17, s19
	v_add_co_u32_e32 v20, vcc, s18, v13
	v_addc_co_u32_e32 v21, vcc, v14, v17, vcc
	v_cmp_gt_u64_e64 s[2:3], s[16:17], v[20:21]
	v_mov_b32_e32 v18, 0
	s_and_saveexec_b64 s[0:1], s[2:3]
	s_cbranch_execz .LBB115_8
; %bb.7:                                ;   in Loop: Header=BB115_4 Depth=1
	global_load_ushort v18, v[6:7], off
.LBB115_8:                              ;   in Loop: Header=BB115_4 Depth=1
	s_or_b64 exec, exec, s[0:1]
	v_mov_b32_e32 v17, s19
	v_add_co_u32_e32 v20, vcc, s18, v11
	v_addc_co_u32_e32 v21, vcc, v12, v17, vcc
	v_cmp_gt_u64_e64 s[0:1], s[16:17], v[20:21]
	v_mov_b32_e32 v17, 0
	v_mov_b32_e32 v20, 0
	s_and_saveexec_b64 s[8:9], s[0:1]
	s_cbranch_execz .LBB115_10
; %bb.9:                                ;   in Loop: Header=BB115_4 Depth=1
	v_mov_b32_e32 v21, s23
	v_add_co_u32_e32 v20, vcc, s24, v4
	v_addc_co_u32_e32 v21, vcc, v5, v21, vcc
	global_load_ushort v20, v[20:21], off
.LBB115_10:                             ;   in Loop: Header=BB115_4 Depth=1
	s_or_b64 exec, exec, s[8:9]
	v_mov_b32_e32 v21, s19
	v_add_co_u32_e32 v22, vcc, s18, v1
	v_addc_co_u32_e32 v23, vcc, v10, v21, vcc
	v_cmp_gt_u64_e32 vcc, s[16:17], v[22:23]
	s_and_saveexec_b64 s[20:21], vcc
	s_cbranch_execnz .LBB115_15
; %bb.11:                               ;   in Loop: Header=BB115_4 Depth=1
	s_or_b64 exec, exec, s[20:21]
	s_and_saveexec_b64 s[20:21], s[6:7]
	s_cbranch_execnz .LBB115_16
.LBB115_12:                             ;   in Loop: Header=BB115_4 Depth=1
	s_or_b64 exec, exec, s[20:21]
	s_and_saveexec_b64 s[8:9], s[2:3]
	s_cbranch_execnz .LBB115_17
.LBB115_13:                             ;   in Loop: Header=BB115_4 Depth=1
	s_or_b64 exec, exec, s[8:9]
	s_and_saveexec_b64 s[6:7], s[0:1]
	s_cbranch_execnz .LBB115_18
.LBB115_14:                             ;   in Loop: Header=BB115_4 Depth=1
	s_or_b64 exec, exec, s[6:7]
	s_and_saveexec_b64 s[2:3], vcc
	s_cbranch_execz .LBB115_3
	s_branch .LBB115_19
.LBB115_15:                             ;   in Loop: Header=BB115_4 Depth=1
	v_mov_b32_e32 v17, s27
	v_add_co_u32_e64 v22, s[8:9], s26, v4
	v_addc_co_u32_e64 v23, s[8:9], v5, v17, s[8:9]
	global_load_ushort v17, v[22:23], off
	s_or_b64 exec, exec, s[20:21]
	s_and_saveexec_b64 s[20:21], s[6:7]
	s_cbranch_execz .LBB115_12
.LBB115_16:                             ;   in Loop: Header=BB115_4 Depth=1
	s_waitcnt vmcnt(0)
	v_lshlrev_b32_e32 v19, 16, v19
	v_cmp_u_f32_e64 s[6:7], v19, v19
	v_cmp_gt_f32_e64 s[8:9], s22, v19
	v_mov_b32_e32 v21, s22
	s_or_b64 s[6:7], s[6:7], s[8:9]
	v_cndmask_b32_e64 v19, v21, v19, s[6:7]
	v_bfe_u32 v21, v19, 16, 1
	v_add3_u32 v21, v19, v21, s28
	v_lshrrev_b32_e32 v21, 16, v21
	v_cmp_o_f32_e64 s[6:7], v19, v19
	v_cndmask_b32_e64 v19, v16, v21, s[6:7]
	global_store_short v[4:5], v19, off
	s_or_b64 exec, exec, s[20:21]
	s_and_saveexec_b64 s[8:9], s[2:3]
	s_cbranch_execz .LBB115_13
.LBB115_17:                             ;   in Loop: Header=BB115_4 Depth=1
	s_waitcnt vmcnt(0)
	v_lshlrev_b32_e32 v18, 16, v18
	v_cmp_u_f32_e64 s[2:3], v18, v18
	v_cmp_gt_f32_e64 s[6:7], s22, v18
	v_mov_b32_e32 v19, s22
	s_or_b64 s[2:3], s[2:3], s[6:7]
	v_cndmask_b32_e64 v18, v19, v18, s[2:3]
	v_bfe_u32 v19, v18, 16, 1
	v_add3_u32 v19, v18, v19, s28
	v_lshrrev_b32_e32 v19, 16, v19
	v_cmp_o_f32_e64 s[2:3], v18, v18
	v_cndmask_b32_e64 v18, v16, v19, s[2:3]
	global_store_short v[6:7], v18, off
	s_or_b64 exec, exec, s[8:9]
	s_and_saveexec_b64 s[6:7], s[0:1]
	s_cbranch_execz .LBB115_14
.LBB115_18:                             ;   in Loop: Header=BB115_4 Depth=1
	s_waitcnt vmcnt(0)
	v_lshlrev_b32_e32 v18, 16, v20
	v_cmp_u_f32_e64 s[0:1], v18, v18
	v_cmp_gt_f32_e64 s[2:3], s22, v18
	v_mov_b32_e32 v19, s22
	s_or_b64 s[0:1], s[0:1], s[2:3]
	v_cndmask_b32_e64 v18, v19, v18, s[0:1]
	v_bfe_u32 v19, v18, 16, 1
	v_add3_u32 v19, v18, v19, s28
	v_lshrrev_b32_e32 v19, 16, v19
	v_cmp_o_f32_e64 s[0:1], v18, v18
	v_cndmask_b32_e64 v20, v16, v19, s[0:1]
	v_mov_b32_e32 v19, s23
	v_add_co_u32_e64 v18, s[0:1], s24, v4
	v_addc_co_u32_e64 v19, s[0:1], v5, v19, s[0:1]
	global_store_short v[18:19], v20, off
	s_or_b64 exec, exec, s[6:7]
	s_and_saveexec_b64 s[2:3], vcc
	s_cbranch_execz .LBB115_3
.LBB115_19:                             ;   in Loop: Header=BB115_4 Depth=1
	s_waitcnt vmcnt(0)
	v_lshlrev_b32_e32 v17, 16, v17
	v_cmp_u_f32_e32 vcc, v17, v17
	v_cmp_gt_f32_e64 s[0:1], s22, v17
	v_mov_b32_e32 v18, s22
	s_or_b64 vcc, vcc, s[0:1]
	v_cndmask_b32_e32 v17, v18, v17, vcc
	v_bfe_u32 v18, v17, 16, 1
	v_add3_u32 v18, v17, v18, s28
	v_lshrrev_b32_e32 v18, 16, v18
	v_cmp_o_f32_e32 vcc, v17, v17
	v_cndmask_b32_e32 v17, v16, v18, vcc
	v_mov_b32_e32 v19, s27
	v_add_co_u32_e32 v18, vcc, s26, v4
	v_addc_co_u32_e32 v19, vcc, v5, v19, vcc
	global_store_short v[18:19], v17, off
	s_branch .LBB115_3
.LBB115_20:
	s_cbranch_execz .LBB115_22
	s_branch .LBB115_25
.LBB115_21:
.LBB115_22:
	v_mov_b32_e32 v3, 0
	v_lshlrev_b32_e32 v2, 2, v0
	s_mov_b32 s0, 0
	v_cmp_gt_i64_e32 vcc, s[10:11], v[2:3]
	s_and_saveexec_b64 s[2:3], vcc
	s_cbranch_execz .LBB115_25
; %bb.23:
	s_load_dword s1, s[4:5], 0xd3c
	v_lshlrev_b32_e32 v1, 3, v0
	s_movk_i32 s18, 0x7fff
	v_mov_b32_e32 v6, 0x7fc0
	v_mov_b32_e32 v7, s0
	s_waitcnt lgkmcnt(0)
	s_and_b32 s1, s1, 0xffff
	s_add_u32 s2, s12, s14
	s_addc_u32 s3, s13, s15
	v_mov_b32_e32 v2, s3
	v_add_co_u32_e32 v4, vcc, s2, v1
	v_addc_co_u32_e32 v5, vcc, 0, v2, vcc
	s_lshl_b32 s16, s1, 3
	v_add_lshl_u32 v2, v0, s1, 2
	s_lshl_b32 s17, s1, 2
	s_mov_b64 s[12:13], 0
	v_mov_b32_e32 v0, s22
	v_mov_b32_e32 v1, 0x7fc00000
	s_mov_b64 s[14:15], 0xffff
	v_mov_b32_e32 v8, s0
.LBB115_24:                             ; =>This Inner Loop Header: Depth=1
	global_load_dwordx2 v[10:11], v[4:5], off
	v_cmp_le_i64_e32 vcc, s[10:11], v[2:3]
	v_cmp_lt_u64_e64 s[0:1], s[14:15], v[2:3]
	s_or_b64 s[20:21], vcc, s[0:1]
	s_waitcnt vmcnt(0)
	v_lshlrev_b32_e32 v9, 16, v10
	v_and_b32_e32 v12, 0xffff0000, v10
	v_alignbit_b32 v10, v11, v10, 16
	v_and_b32_e32 v11, 0xffff0000, v11
	v_cmp_u_f32_e32 vcc, v9, v9
	v_cmp_gt_f32_e64 s[0:1], s22, v9
	v_cmp_u_f32_e64 s[2:3], v12, v12
	v_cmp_gt_f32_e64 s[4:5], s22, v12
	v_cmp_u_f32_e64 s[6:7], v11, v11
	v_cmp_gt_f32_e64 s[8:9], s22, v11
	s_or_b64 vcc, vcc, s[0:1]
	v_cndmask_b32_e32 v9, v0, v9, vcc
	s_or_b64 vcc, s[2:3], s[4:5]
	s_or_b64 s[2:3], s[6:7], s[8:9]
	v_and_b32_e32 v10, 0xffff0000, v10
	v_cndmask_b32_e64 v11, v0, v11, s[2:3]
	v_cndmask_b32_e32 v12, v0, v12, vcc
	v_cmp_u_f32_e32 vcc, v10, v10
	v_cmp_gt_f32_e64 s[0:1], s22, v10
	v_bfe_u32 v15, v11, 16, 1
	v_bfe_u32 v14, v12, 16, 1
	s_or_b64 vcc, vcc, s[0:1]
	v_add3_u32 v15, v11, v15, s18
	v_bfe_u32 v13, v9, 16, 1
	v_cndmask_b32_e32 v10, v0, v10, vcc
	v_add3_u32 v14, v12, v14, s18
	v_and_b32_e32 v15, 0xffff0000, v15
	v_cmp_o_f32_e32 vcc, v11, v11
	v_add3_u32 v13, v9, v13, s18
	v_bfe_u32 v16, v10, 16, 1
	v_and_b32_e32 v14, 0xffff0000, v14
	v_cndmask_b32_e32 v11, v1, v15, vcc
	v_cmp_o_f32_e32 vcc, v12, v12
	v_lshrrev_b32_e32 v13, 16, v13
	v_add3_u32 v16, v10, v16, s18
	v_cndmask_b32_e32 v12, v1, v14, vcc
	v_cmp_o_f32_e32 vcc, v9, v9
	v_lshrrev_b32_e32 v16, 16, v16
	v_cndmask_b32_e32 v9, v6, v13, vcc
	v_cmp_o_f32_e32 vcc, v10, v10
	v_cndmask_b32_e32 v10, v6, v16, vcc
	v_or_b32_e32 v9, v9, v12
	v_or3_b32 v11, 0, v10, v11
	v_or3_b32 v10, v9, 0, 0
	global_store_dwordx2 v[4:5], v[10:11], off
	v_add_co_u32_e32 v4, vcc, s16, v4
	v_addc_co_u32_e32 v5, vcc, v5, v7, vcc
	s_and_b64 s[0:1], exec, s[20:21]
	v_add_co_u32_e32 v2, vcc, s17, v2
	s_or_b64 s[12:13], s[0:1], s[12:13]
	v_addc_co_u32_e32 v3, vcc, v3, v8, vcc
	s_andn2_b64 exec, exec, s[12:13]
	s_cbranch_execnz .LBB115_24
.LBB115_25:
	s_endpgm
	.section	.rodata,"a",@progbits
	.p2align	6, 0x0
	.amdhsa_kernel _ZN2at6native12_GLOBAL__N_125multi_tensor_apply_kernelINS1_18TensorListMetadataILi1EEENS1_21BinaryOpScalarFunctorIN3c108BFloat16ELi1ELi1ELi0EEEJNS0_7minimumIfEEfEEEvT_T0_DpT1_
		.amdhsa_group_segment_fixed_size 0
		.amdhsa_private_segment_fixed_size 0
		.amdhsa_kernarg_size 3632
		.amdhsa_user_sgpr_count 6
		.amdhsa_user_sgpr_private_segment_buffer 1
		.amdhsa_user_sgpr_dispatch_ptr 0
		.amdhsa_user_sgpr_queue_ptr 0
		.amdhsa_user_sgpr_kernarg_segment_ptr 1
		.amdhsa_user_sgpr_dispatch_id 0
		.amdhsa_user_sgpr_flat_scratch_init 0
		.amdhsa_user_sgpr_kernarg_preload_length 0
		.amdhsa_user_sgpr_kernarg_preload_offset 0
		.amdhsa_user_sgpr_private_segment_size 0
		.amdhsa_uses_dynamic_stack 0
		.amdhsa_system_sgpr_private_segment_wavefront_offset 0
		.amdhsa_system_sgpr_workgroup_id_x 1
		.amdhsa_system_sgpr_workgroup_id_y 0
		.amdhsa_system_sgpr_workgroup_id_z 0
		.amdhsa_system_sgpr_workgroup_info 0
		.amdhsa_system_vgpr_workitem_id 0
		.amdhsa_next_free_vgpr 24
		.amdhsa_next_free_sgpr 29
		.amdhsa_accum_offset 24
		.amdhsa_reserve_vcc 1
		.amdhsa_reserve_flat_scratch 0
		.amdhsa_float_round_mode_32 0
		.amdhsa_float_round_mode_16_64 0
		.amdhsa_float_denorm_mode_32 3
		.amdhsa_float_denorm_mode_16_64 3
		.amdhsa_dx10_clamp 1
		.amdhsa_ieee_mode 1
		.amdhsa_fp16_overflow 0
		.amdhsa_tg_split 0
		.amdhsa_exception_fp_ieee_invalid_op 0
		.amdhsa_exception_fp_denorm_src 0
		.amdhsa_exception_fp_ieee_div_zero 0
		.amdhsa_exception_fp_ieee_overflow 0
		.amdhsa_exception_fp_ieee_underflow 0
		.amdhsa_exception_fp_ieee_inexact 0
		.amdhsa_exception_int_div_zero 0
	.end_amdhsa_kernel
	.section	.text._ZN2at6native12_GLOBAL__N_125multi_tensor_apply_kernelINS1_18TensorListMetadataILi1EEENS1_21BinaryOpScalarFunctorIN3c108BFloat16ELi1ELi1ELi0EEEJNS0_7minimumIfEEfEEEvT_T0_DpT1_,"axG",@progbits,_ZN2at6native12_GLOBAL__N_125multi_tensor_apply_kernelINS1_18TensorListMetadataILi1EEENS1_21BinaryOpScalarFunctorIN3c108BFloat16ELi1ELi1ELi0EEEJNS0_7minimumIfEEfEEEvT_T0_DpT1_,comdat
.Lfunc_end115:
	.size	_ZN2at6native12_GLOBAL__N_125multi_tensor_apply_kernelINS1_18TensorListMetadataILi1EEENS1_21BinaryOpScalarFunctorIN3c108BFloat16ELi1ELi1ELi0EEEJNS0_7minimumIfEEfEEEvT_T0_DpT1_, .Lfunc_end115-_ZN2at6native12_GLOBAL__N_125multi_tensor_apply_kernelINS1_18TensorListMetadataILi1EEENS1_21BinaryOpScalarFunctorIN3c108BFloat16ELi1ELi1ELi0EEEJNS0_7minimumIfEEfEEEvT_T0_DpT1_
                                        ; -- End function
	.section	.AMDGPU.csdata,"",@progbits
; Kernel info:
; codeLenInByte = 1524
; NumSgprs: 33
; NumVgprs: 24
; NumAgprs: 0
; TotalNumVgprs: 24
; ScratchSize: 0
; MemoryBound: 0
; FloatMode: 240
; IeeeMode: 1
; LDSByteSize: 0 bytes/workgroup (compile time only)
; SGPRBlocks: 4
; VGPRBlocks: 2
; NumSGPRsForWavesPerEU: 33
; NumVGPRsForWavesPerEU: 24
; AccumOffset: 24
; Occupancy: 8
; WaveLimiterHint : 0
; COMPUTE_PGM_RSRC2:SCRATCH_EN: 0
; COMPUTE_PGM_RSRC2:USER_SGPR: 6
; COMPUTE_PGM_RSRC2:TRAP_HANDLER: 0
; COMPUTE_PGM_RSRC2:TGID_X_EN: 1
; COMPUTE_PGM_RSRC2:TGID_Y_EN: 0
; COMPUTE_PGM_RSRC2:TGID_Z_EN: 0
; COMPUTE_PGM_RSRC2:TIDIG_COMP_CNT: 0
; COMPUTE_PGM_RSRC3_GFX90A:ACCUM_OFFSET: 5
; COMPUTE_PGM_RSRC3_GFX90A:TG_SPLIT: 0
	.section	.text._ZN2at6native12_GLOBAL__N_125multi_tensor_apply_kernelINS1_18TensorListMetadataILi2EEENS1_21BinaryOpScalarFunctorIhLi2ELi1ELi1EEEJNS0_7minimumIhEEhEEEvT_T0_DpT1_,"axG",@progbits,_ZN2at6native12_GLOBAL__N_125multi_tensor_apply_kernelINS1_18TensorListMetadataILi2EEENS1_21BinaryOpScalarFunctorIhLi2ELi1ELi1EEEJNS0_7minimumIhEEhEEEvT_T0_DpT1_,comdat
	.globl	_ZN2at6native12_GLOBAL__N_125multi_tensor_apply_kernelINS1_18TensorListMetadataILi2EEENS1_21BinaryOpScalarFunctorIhLi2ELi1ELi1EEEJNS0_7minimumIhEEhEEEvT_T0_DpT1_ ; -- Begin function _ZN2at6native12_GLOBAL__N_125multi_tensor_apply_kernelINS1_18TensorListMetadataILi2EEENS1_21BinaryOpScalarFunctorIhLi2ELi1ELi1EEEJNS0_7minimumIhEEhEEEvT_T0_DpT1_
	.p2align	8
	.type	_ZN2at6native12_GLOBAL__N_125multi_tensor_apply_kernelINS1_18TensorListMetadataILi2EEENS1_21BinaryOpScalarFunctorIhLi2ELi1ELi1EEEJNS0_7minimumIhEEhEEEvT_T0_DpT1_,@function
_ZN2at6native12_GLOBAL__N_125multi_tensor_apply_kernelINS1_18TensorListMetadataILi2EEENS1_21BinaryOpScalarFunctorIhLi2ELi1ELi1EEEJNS0_7minimumIhEEhEEEvT_T0_DpT1_: ; @_ZN2at6native12_GLOBAL__N_125multi_tensor_apply_kernelINS1_18TensorListMetadataILi2EEENS1_21BinaryOpScalarFunctorIhLi2ELi1ELi1EEEJNS0_7minimumIhEEhEEEvT_T0_DpT1_
; %bb.0:
	v_mov_b32_e32 v1, s6
	global_load_ubyte v1, v1, s[4:5] offset:1536
	s_load_dword s0, s[4:5], 0xc48
	s_mul_i32 s2, s6, 3
	s_mul_hi_u32 s1, s6, 3
	s_waitcnt lgkmcnt(0)
	s_lshr_b32 s20, s0, 16
	s_add_u32 s0, s4, s6
	s_addc_u32 s3, s5, 0
	s_add_u32 s0, s0, s2
	s_addc_u32 s1, s3, s1
	s_load_dword s6, s[0:1], 0x740
	s_waitcnt vmcnt(0)
	v_readfirstlane_b32 s2, v1
	s_lshl_b32 s7, s2, 3
	s_load_dwordx2 s[0:1], s[4:5], s7 offset:0x0
	s_load_dwordx2 s[8:9], s[4:5], s7 offset:0x400
	;; [unrolled: 1-line block ×3, first 2 shown]
	s_waitcnt lgkmcnt(0)
	s_ashr_i32 s7, s6, 31
	s_lshl_b64 s[6:7], s[6:7], 16
	s_add_u32 s10, s0, s6
	s_addc_u32 s11, s1, s7
	s_add_u32 s21, s2, s6
	s_addc_u32 s22, s3, s7
	s_or_b64 s[12:13], s[8:9], s[10:11]
	s_or_b32 s12, s21, s12
	s_and_b32 s14, s12, 3
	s_sub_u32 s12, s8, s6
	s_subb_u32 s13, s9, s7
	s_cmp_eq_u32 s14, 0
	s_mov_b64 s[8:9], -1
	s_cbranch_scc1 .LBB116_21
; %bb.1:
	v_cmp_lt_i64_e64 s[8:9], s[12:13], 1
	s_and_b64 vcc, exec, s[8:9]
	s_cbranch_vccnz .LBB116_20
; %bb.2:
	s_load_dword s8, s[4:5], 0xc5c
	v_mov_b32_e32 v2, 0x10000
	v_mov_b32_e32 v3, 0
	v_cmp_lt_u64_e32 vcc, s[12:13], v[2:3]
	v_mov_b32_e32 v1, s7
	s_waitcnt lgkmcnt(0)
	s_and_b32 s16, s8, 0xffff
	s_and_b64 s[8:9], vcc, exec
	v_add_co_u32_e32 v2, vcc, s6, v0
	v_addc_co_u32_e32 v3, vcc, 0, v1, vcc
	v_mov_b32_e32 v20, s1
	v_add_co_u32_e32 v1, vcc, s0, v2
	s_cselect_b32 s15, s13, 0
	s_cselect_b32 s14, s12, 0x10000
	s_lshl_b32 s17, s16, 1
	s_mul_i32 s8, s16, 3
	s_lshl_b32 s23, s16, 2
	v_addc_co_u32_e32 v4, vcc, v20, v3, vcc
	v_mov_b32_e32 v22, s3
	v_add_co_u32_e32 v5, vcc, s2, v2
	s_add_u32 s1, s6, s8
	v_addc_co_u32_e32 v6, vcc, v22, v3, vcc
	s_addc_u32 s3, s7, 0
	v_mov_b32_e32 v7, s3
	v_add_co_u32_e32 v9, vcc, s1, v0
	v_addc_co_u32_e32 v10, vcc, 0, v7, vcc
	v_add_co_u32_e32 v7, vcc, s0, v9
	v_addc_co_u32_e32 v8, vcc, v20, v10, vcc
	;; [unrolled: 2-line block ×3, first 2 shown]
	s_add_u32 s1, s6, s17
	v_add_co_u32_e32 v11, vcc, s8, v0
	s_addc_u32 s3, s7, 0
	v_addc_co_u32_e64 v12, s[8:9], 0, 0, vcc
	v_mov_b32_e32 v13, s3
	v_add_co_u32_e32 v15, vcc, s1, v0
	v_addc_co_u32_e32 v16, vcc, 0, v13, vcc
	v_add_co_u32_e32 v13, vcc, s0, v15
	v_addc_co_u32_e32 v14, vcc, v20, v16, vcc
	;; [unrolled: 2-line block ×3, first 2 shown]
	v_add_co_u32_e32 v17, vcc, s17, v0
	v_addc_co_u32_e64 v18, s[6:7], 0, 0, vcc
	v_add_co_u32_e32 v2, vcc, s16, v2
	v_addc_co_u32_e32 v3, vcc, 0, v3, vcc
	v_add_co_u32_e32 v19, vcc, s0, v2
	v_addc_co_u32_e32 v20, vcc, v20, v3, vcc
	;; [unrolled: 2-line block ×3, first 2 shown]
	v_add_co_u32_e32 v23, vcc, s16, v0
	v_addc_co_u32_e64 v24, s[0:1], 0, 0, vcc
	s_mov_b64 s[16:17], 0
	v_pk_mov_b32 v[2:3], s[12:13], s[12:13] op_sel:[0,1]
	s_branch .LBB116_4
.LBB116_3:                              ;   in Loop: Header=BB116_4 Depth=1
	s_or_b64 exec, exec, s[0:1]
	s_add_u32 s16, s16, s23
	s_waitcnt vmcnt(0)
	v_mov_b32_e32 v26, 0x10000
	s_addc_u32 s17, s17, 0
	v_mov_b32_e32 v27, 0
	v_cmp_lt_i64_e32 vcc, s[16:17], v[2:3]
	v_cmp_lt_u64_e64 s[0:1], s[16:17], v[26:27]
	s_and_b64 s[0:1], vcc, s[0:1]
	s_and_b64 vcc, exec, s[0:1]
	s_cbranch_vccz .LBB116_20
.LBB116_4:                              ; =>This Inner Loop Header: Depth=1
	v_mov_b32_e32 v25, s17
	v_add_co_u32_e32 v26, vcc, s16, v0
	v_addc_co_u32_e32 v27, vcc, 0, v25, vcc
	v_cmp_gt_u64_e32 vcc, s[14:15], v[26:27]
	v_mov_b32_e32 v25, 0
	s_and_saveexec_b64 s[2:3], vcc
	s_cbranch_execz .LBB116_6
; %bb.5:                                ;   in Loop: Header=BB116_4 Depth=1
	v_mov_b32_e32 v25, s17
	v_add_co_u32_e64 v26, s[0:1], s16, v1
	v_addc_co_u32_e64 v27, s[0:1], v4, v25, s[0:1]
	global_load_ubyte v25, v[26:27], off
.LBB116_6:                              ;   in Loop: Header=BB116_4 Depth=1
	s_or_b64 exec, exec, s[2:3]
	v_mov_b32_e32 v27, s17
	v_add_co_u32_e64 v26, s[0:1], s16, v23
	v_addc_co_u32_e64 v27, s[0:1], v24, v27, s[0:1]
	v_cmp_gt_u64_e64 s[0:1], s[14:15], v[26:27]
	v_mov_b32_e32 v27, 0
	s_and_saveexec_b64 s[6:7], s[0:1]
	s_cbranch_execz .LBB116_8
; %bb.7:                                ;   in Loop: Header=BB116_4 Depth=1
	v_mov_b32_e32 v27, s17
	v_add_co_u32_e64 v26, s[2:3], s16, v19
	v_addc_co_u32_e64 v27, s[2:3], v20, v27, s[2:3]
	global_load_ubyte v27, v[26:27], off
.LBB116_8:                              ;   in Loop: Header=BB116_4 Depth=1
	s_or_b64 exec, exec, s[6:7]
	v_mov_b32_e32 v26, s17
	v_add_co_u32_e64 v28, s[2:3], s16, v17
	v_addc_co_u32_e64 v29, s[2:3], v18, v26, s[2:3]
	v_cmp_gt_u64_e64 s[2:3], s[14:15], v[28:29]
	v_mov_b32_e32 v26, 0
	v_mov_b32_e32 v28, 0
	s_and_saveexec_b64 s[8:9], s[2:3]
	s_cbranch_execz .LBB116_10
; %bb.9:                                ;   in Loop: Header=BB116_4 Depth=1
	v_mov_b32_e32 v29, s17
	v_add_co_u32_e64 v28, s[6:7], s16, v13
	v_addc_co_u32_e64 v29, s[6:7], v14, v29, s[6:7]
	global_load_ubyte v28, v[28:29], off
.LBB116_10:                             ;   in Loop: Header=BB116_4 Depth=1
	s_or_b64 exec, exec, s[8:9]
	v_mov_b32_e32 v29, s17
	v_add_co_u32_e64 v30, s[6:7], s16, v11
	v_addc_co_u32_e64 v31, s[6:7], v12, v29, s[6:7]
	v_cmp_gt_u64_e64 s[6:7], s[14:15], v[30:31]
	s_and_saveexec_b64 s[18:19], s[6:7]
	s_cbranch_execnz .LBB116_15
; %bb.11:                               ;   in Loop: Header=BB116_4 Depth=1
	s_or_b64 exec, exec, s[18:19]
	s_and_saveexec_b64 s[8:9], vcc
	s_cbranch_execnz .LBB116_16
.LBB116_12:                             ;   in Loop: Header=BB116_4 Depth=1
	s_or_b64 exec, exec, s[8:9]
	s_and_saveexec_b64 s[8:9], s[0:1]
	s_cbranch_execnz .LBB116_17
.LBB116_13:                             ;   in Loop: Header=BB116_4 Depth=1
	s_or_b64 exec, exec, s[8:9]
	s_and_saveexec_b64 s[0:1], s[2:3]
	s_cbranch_execnz .LBB116_18
.LBB116_14:                             ;   in Loop: Header=BB116_4 Depth=1
	s_or_b64 exec, exec, s[0:1]
	s_and_saveexec_b64 s[0:1], s[6:7]
	s_cbranch_execz .LBB116_3
	s_branch .LBB116_19
.LBB116_15:                             ;   in Loop: Header=BB116_4 Depth=1
	v_mov_b32_e32 v26, s17
	v_add_co_u32_e64 v30, s[8:9], s16, v7
	v_addc_co_u32_e64 v31, s[8:9], v8, v26, s[8:9]
	global_load_ubyte v26, v[30:31], off
	s_or_b64 exec, exec, s[18:19]
	s_and_saveexec_b64 s[8:9], vcc
	s_cbranch_execz .LBB116_12
.LBB116_16:                             ;   in Loop: Header=BB116_4 Depth=1
	v_mov_b32_e32 v29, s17
	v_add_co_u32_e32 v30, vcc, s16, v5
	s_waitcnt vmcnt(0)
	v_min_u16_sdwa v25, v25, s20 dst_sel:DWORD dst_unused:UNUSED_PAD src0_sel:BYTE_0 src1_sel:BYTE_0
	v_addc_co_u32_e32 v31, vcc, v6, v29, vcc
	global_store_byte v[30:31], v25, off
	s_or_b64 exec, exec, s[8:9]
	s_and_saveexec_b64 s[8:9], s[0:1]
	s_cbranch_execz .LBB116_13
.LBB116_17:                             ;   in Loop: Header=BB116_4 Depth=1
	s_waitcnt vmcnt(0)
	v_min_u16_sdwa v25, v27, s20 dst_sel:DWORD dst_unused:UNUSED_PAD src0_sel:BYTE_0 src1_sel:BYTE_0
	v_mov_b32_e32 v27, s17
	v_add_co_u32_e32 v30, vcc, s16, v21
	v_addc_co_u32_e32 v31, vcc, v22, v27, vcc
	global_store_byte v[30:31], v25, off
	s_or_b64 exec, exec, s[8:9]
	s_and_saveexec_b64 s[0:1], s[2:3]
	s_cbranch_execz .LBB116_14
.LBB116_18:                             ;   in Loop: Header=BB116_4 Depth=1
	s_waitcnt vmcnt(0)
	v_min_u16_sdwa v25, v28, s20 dst_sel:DWORD dst_unused:UNUSED_PAD src0_sel:BYTE_0 src1_sel:BYTE_0
	v_mov_b32_e32 v27, s17
	v_add_co_u32_e32 v28, vcc, s16, v15
	v_addc_co_u32_e32 v29, vcc, v16, v27, vcc
	global_store_byte v[28:29], v25, off
	s_or_b64 exec, exec, s[0:1]
	s_and_saveexec_b64 s[0:1], s[6:7]
	s_cbranch_execz .LBB116_3
.LBB116_19:                             ;   in Loop: Header=BB116_4 Depth=1
	s_waitcnt vmcnt(0)
	v_min_u16_sdwa v25, v26, s20 dst_sel:DWORD dst_unused:UNUSED_PAD src0_sel:BYTE_0 src1_sel:BYTE_0
	v_mov_b32_e32 v27, s17
	v_add_co_u32_e32 v26, vcc, s16, v9
	v_addc_co_u32_e32 v27, vcc, v10, v27, vcc
	global_store_byte v[26:27], v25, off
	s_branch .LBB116_3
.LBB116_20:
	s_mov_b64 s[8:9], 0
.LBB116_21:
	s_andn2_b64 vcc, exec, s[8:9]
	s_cbranch_vccnz .LBB116_25
; %bb.22:
	v_lshlrev_b32_e32 v0, 2, v0
	v_mov_b32_e32 v1, 0
	v_cmp_gt_i64_e32 vcc, s[12:13], v[0:1]
	s_and_saveexec_b64 s[0:1], vcc
	s_cbranch_execz .LBB116_25
; %bb.23:
	s_load_dword s0, s[4:5], 0xc5c
	s_mov_b32 s1, 0
	s_mov_b64 s[2:3], 0
	v_mov_b32_e32 v2, s11
	s_movk_i32 s6, 0xff
	s_waitcnt lgkmcnt(0)
	s_and_b32 s0, s0, 0xffff
	s_lshl_b32 s7, s0, 2
	v_mov_b32_e32 v3, s22
	v_mov_b32_e32 v4, s1
	s_mov_b64 s[4:5], 0xffff
.LBB116_24:                             ; =>This Inner Loop Header: Depth=1
	v_add_co_u32_e32 v6, vcc, s10, v0
	v_addc_co_u32_e32 v7, vcc, v2, v1, vcc
	global_load_dword v5, v[6:7], off
	v_add_co_u32_e32 v6, vcc, s21, v0
	v_addc_co_u32_e32 v7, vcc, v3, v1, vcc
	v_add_co_u32_e32 v0, vcc, s7, v0
	v_addc_co_u32_e32 v1, vcc, v4, v1, vcc
	v_cmp_le_i64_e32 vcc, s[12:13], v[0:1]
	v_cmp_lt_u64_e64 s[0:1], s[4:5], v[0:1]
	s_or_b64 s[0:1], vcc, s[0:1]
	s_and_b64 s[0:1], exec, s[0:1]
	s_or_b64 s[2:3], s[0:1], s[2:3]
	s_waitcnt vmcnt(0)
	v_lshrrev_b32_e32 v9, 8, v5
	v_and_b32_sdwa v10, v5, s6 dst_sel:DWORD dst_unused:UNUSED_PAD src0_sel:WORD_1 src1_sel:DWORD
	v_and_b32_e32 v8, 0xff, v5
	v_lshrrev_b32_e32 v5, 24, v5
	v_and_b32_e32 v9, 0xff, v9
	v_min_u16_sdwa v10, v10, s20 dst_sel:DWORD dst_unused:UNUSED_PAD src0_sel:DWORD src1_sel:BYTE_0
	v_min_u16_sdwa v5, v5, s20 dst_sel:DWORD dst_unused:UNUSED_PAD src0_sel:DWORD src1_sel:BYTE_0
	v_lshlrev_b32_e32 v10, 16, v10
	v_min_u16_sdwa v9, v9, s20 dst_sel:DWORD dst_unused:UNUSED_PAD src0_sel:DWORD src1_sel:BYTE_0
	v_min_u16_sdwa v8, v8, s20 dst_sel:DWORD dst_unused:UNUSED_PAD src0_sel:DWORD src1_sel:BYTE_0
	v_lshl_or_b32 v5, v5, 24, v10
	v_lshlrev_b32_e32 v9, 8, v9
	v_or3_b32 v5, v5, v9, v8
	global_store_dword v[6:7], v5, off
	s_andn2_b64 exec, exec, s[2:3]
	s_cbranch_execnz .LBB116_24
.LBB116_25:
	s_endpgm
	.section	.rodata,"a",@progbits
	.p2align	6, 0x0
	.amdhsa_kernel _ZN2at6native12_GLOBAL__N_125multi_tensor_apply_kernelINS1_18TensorListMetadataILi2EEENS1_21BinaryOpScalarFunctorIhLi2ELi1ELi1EEEJNS0_7minimumIhEEhEEEvT_T0_DpT1_
		.amdhsa_group_segment_fixed_size 0
		.amdhsa_private_segment_fixed_size 0
		.amdhsa_kernarg_size 3408
		.amdhsa_user_sgpr_count 6
		.amdhsa_user_sgpr_private_segment_buffer 1
		.amdhsa_user_sgpr_dispatch_ptr 0
		.amdhsa_user_sgpr_queue_ptr 0
		.amdhsa_user_sgpr_kernarg_segment_ptr 1
		.amdhsa_user_sgpr_dispatch_id 0
		.amdhsa_user_sgpr_flat_scratch_init 0
		.amdhsa_user_sgpr_kernarg_preload_length 0
		.amdhsa_user_sgpr_kernarg_preload_offset 0
		.amdhsa_user_sgpr_private_segment_size 0
		.amdhsa_uses_dynamic_stack 0
		.amdhsa_system_sgpr_private_segment_wavefront_offset 0
		.amdhsa_system_sgpr_workgroup_id_x 1
		.amdhsa_system_sgpr_workgroup_id_y 0
		.amdhsa_system_sgpr_workgroup_id_z 0
		.amdhsa_system_sgpr_workgroup_info 0
		.amdhsa_system_vgpr_workitem_id 0
		.amdhsa_next_free_vgpr 32
		.amdhsa_next_free_sgpr 24
		.amdhsa_accum_offset 32
		.amdhsa_reserve_vcc 1
		.amdhsa_reserve_flat_scratch 0
		.amdhsa_float_round_mode_32 0
		.amdhsa_float_round_mode_16_64 0
		.amdhsa_float_denorm_mode_32 3
		.amdhsa_float_denorm_mode_16_64 3
		.amdhsa_dx10_clamp 1
		.amdhsa_ieee_mode 1
		.amdhsa_fp16_overflow 0
		.amdhsa_tg_split 0
		.amdhsa_exception_fp_ieee_invalid_op 0
		.amdhsa_exception_fp_denorm_src 0
		.amdhsa_exception_fp_ieee_div_zero 0
		.amdhsa_exception_fp_ieee_overflow 0
		.amdhsa_exception_fp_ieee_underflow 0
		.amdhsa_exception_fp_ieee_inexact 0
		.amdhsa_exception_int_div_zero 0
	.end_amdhsa_kernel
	.section	.text._ZN2at6native12_GLOBAL__N_125multi_tensor_apply_kernelINS1_18TensorListMetadataILi2EEENS1_21BinaryOpScalarFunctorIhLi2ELi1ELi1EEEJNS0_7minimumIhEEhEEEvT_T0_DpT1_,"axG",@progbits,_ZN2at6native12_GLOBAL__N_125multi_tensor_apply_kernelINS1_18TensorListMetadataILi2EEENS1_21BinaryOpScalarFunctorIhLi2ELi1ELi1EEEJNS0_7minimumIhEEhEEEvT_T0_DpT1_,comdat
.Lfunc_end116:
	.size	_ZN2at6native12_GLOBAL__N_125multi_tensor_apply_kernelINS1_18TensorListMetadataILi2EEENS1_21BinaryOpScalarFunctorIhLi2ELi1ELi1EEEJNS0_7minimumIhEEhEEEvT_T0_DpT1_, .Lfunc_end116-_ZN2at6native12_GLOBAL__N_125multi_tensor_apply_kernelINS1_18TensorListMetadataILi2EEENS1_21BinaryOpScalarFunctorIhLi2ELi1ELi1EEEJNS0_7minimumIhEEhEEEvT_T0_DpT1_
                                        ; -- End function
	.section	.AMDGPU.csdata,"",@progbits
; Kernel info:
; codeLenInByte = 1232
; NumSgprs: 28
; NumVgprs: 32
; NumAgprs: 0
; TotalNumVgprs: 32
; ScratchSize: 0
; MemoryBound: 0
; FloatMode: 240
; IeeeMode: 1
; LDSByteSize: 0 bytes/workgroup (compile time only)
; SGPRBlocks: 3
; VGPRBlocks: 3
; NumSGPRsForWavesPerEU: 28
; NumVGPRsForWavesPerEU: 32
; AccumOffset: 32
; Occupancy: 8
; WaveLimiterHint : 0
; COMPUTE_PGM_RSRC2:SCRATCH_EN: 0
; COMPUTE_PGM_RSRC2:USER_SGPR: 6
; COMPUTE_PGM_RSRC2:TRAP_HANDLER: 0
; COMPUTE_PGM_RSRC2:TGID_X_EN: 1
; COMPUTE_PGM_RSRC2:TGID_Y_EN: 0
; COMPUTE_PGM_RSRC2:TGID_Z_EN: 0
; COMPUTE_PGM_RSRC2:TIDIG_COMP_CNT: 0
; COMPUTE_PGM_RSRC3_GFX90A:ACCUM_OFFSET: 7
; COMPUTE_PGM_RSRC3_GFX90A:TG_SPLIT: 0
	.section	.text._ZN2at6native12_GLOBAL__N_125multi_tensor_apply_kernelINS1_18TensorListMetadataILi2EEENS1_21BinaryOpScalarFunctorIaLi2ELi1ELi1EEEJNS0_7minimumIaEEaEEEvT_T0_DpT1_,"axG",@progbits,_ZN2at6native12_GLOBAL__N_125multi_tensor_apply_kernelINS1_18TensorListMetadataILi2EEENS1_21BinaryOpScalarFunctorIaLi2ELi1ELi1EEEJNS0_7minimumIaEEaEEEvT_T0_DpT1_,comdat
	.globl	_ZN2at6native12_GLOBAL__N_125multi_tensor_apply_kernelINS1_18TensorListMetadataILi2EEENS1_21BinaryOpScalarFunctorIaLi2ELi1ELi1EEEJNS0_7minimumIaEEaEEEvT_T0_DpT1_ ; -- Begin function _ZN2at6native12_GLOBAL__N_125multi_tensor_apply_kernelINS1_18TensorListMetadataILi2EEENS1_21BinaryOpScalarFunctorIaLi2ELi1ELi1EEEJNS0_7minimumIaEEaEEEvT_T0_DpT1_
	.p2align	8
	.type	_ZN2at6native12_GLOBAL__N_125multi_tensor_apply_kernelINS1_18TensorListMetadataILi2EEENS1_21BinaryOpScalarFunctorIaLi2ELi1ELi1EEEJNS0_7minimumIaEEaEEEvT_T0_DpT1_,@function
_ZN2at6native12_GLOBAL__N_125multi_tensor_apply_kernelINS1_18TensorListMetadataILi2EEENS1_21BinaryOpScalarFunctorIaLi2ELi1ELi1EEEJNS0_7minimumIaEEaEEEvT_T0_DpT1_: ; @_ZN2at6native12_GLOBAL__N_125multi_tensor_apply_kernelINS1_18TensorListMetadataILi2EEENS1_21BinaryOpScalarFunctorIaLi2ELi1ELi1EEEJNS0_7minimumIaEEaEEEvT_T0_DpT1_
; %bb.0:
	v_mov_b32_e32 v1, s6
	global_load_ubyte v1, v1, s[4:5] offset:1536
	s_load_dword s0, s[4:5], 0xc48
	s_mul_i32 s2, s6, 3
	s_mul_hi_u32 s1, s6, 3
	s_waitcnt lgkmcnt(0)
	s_lshr_b32 s21, s0, 16
	s_add_u32 s0, s4, s6
	s_addc_u32 s3, s5, 0
	s_add_u32 s0, s0, s2
	s_addc_u32 s1, s3, s1
	s_load_dword s6, s[0:1], 0x740
	s_waitcnt vmcnt(0)
	v_readfirstlane_b32 s2, v1
	s_lshl_b32 s7, s2, 3
	s_load_dwordx2 s[0:1], s[4:5], s7 offset:0x0
	s_load_dwordx2 s[8:9], s[4:5], s7 offset:0x400
	;; [unrolled: 1-line block ×3, first 2 shown]
	s_waitcnt lgkmcnt(0)
	s_ashr_i32 s7, s6, 31
	s_lshl_b64 s[6:7], s[6:7], 16
	s_add_u32 s10, s0, s6
	s_addc_u32 s11, s1, s7
	s_add_u32 s20, s2, s6
	s_addc_u32 s22, s3, s7
	s_or_b64 s[12:13], s[8:9], s[10:11]
	s_or_b32 s12, s20, s12
	s_and_b32 s14, s12, 3
	s_sub_u32 s12, s8, s6
	s_subb_u32 s13, s9, s7
	s_cmp_eq_u32 s14, 0
	s_mov_b64 s[8:9], -1
	s_cbranch_scc1 .LBB117_21
; %bb.1:
	v_cmp_lt_i64_e64 s[8:9], s[12:13], 1
	s_and_b64 vcc, exec, s[8:9]
	s_cbranch_vccnz .LBB117_20
; %bb.2:
	s_load_dword s8, s[4:5], 0xc5c
	v_mov_b32_e32 v2, 0x10000
	v_mov_b32_e32 v3, 0
	v_cmp_lt_u64_e32 vcc, s[12:13], v[2:3]
	v_mov_b32_e32 v1, s7
	s_waitcnt lgkmcnt(0)
	s_and_b32 s16, s8, 0xffff
	s_and_b64 s[8:9], vcc, exec
	v_add_co_u32_e32 v2, vcc, s6, v0
	v_addc_co_u32_e32 v3, vcc, 0, v1, vcc
	v_mov_b32_e32 v20, s1
	v_add_co_u32_e32 v1, vcc, s0, v2
	s_cselect_b32 s15, s13, 0
	s_cselect_b32 s14, s12, 0x10000
	s_lshl_b32 s17, s16, 1
	s_mul_i32 s8, s16, 3
	s_lshl_b32 s23, s16, 2
	v_addc_co_u32_e32 v4, vcc, v20, v3, vcc
	v_mov_b32_e32 v22, s3
	v_add_co_u32_e32 v5, vcc, s2, v2
	s_add_u32 s1, s6, s8
	v_addc_co_u32_e32 v6, vcc, v22, v3, vcc
	s_addc_u32 s3, s7, 0
	v_mov_b32_e32 v7, s3
	v_add_co_u32_e32 v9, vcc, s1, v0
	v_addc_co_u32_e32 v10, vcc, 0, v7, vcc
	v_add_co_u32_e32 v7, vcc, s0, v9
	v_addc_co_u32_e32 v8, vcc, v20, v10, vcc
	;; [unrolled: 2-line block ×3, first 2 shown]
	s_add_u32 s1, s6, s17
	v_add_co_u32_e32 v11, vcc, s8, v0
	s_addc_u32 s3, s7, 0
	v_addc_co_u32_e64 v12, s[8:9], 0, 0, vcc
	v_mov_b32_e32 v13, s3
	v_add_co_u32_e32 v15, vcc, s1, v0
	v_addc_co_u32_e32 v16, vcc, 0, v13, vcc
	v_add_co_u32_e32 v13, vcc, s0, v15
	v_addc_co_u32_e32 v14, vcc, v20, v16, vcc
	;; [unrolled: 2-line block ×3, first 2 shown]
	v_add_co_u32_e32 v17, vcc, s17, v0
	v_addc_co_u32_e64 v18, s[6:7], 0, 0, vcc
	v_add_co_u32_e32 v2, vcc, s16, v2
	v_addc_co_u32_e32 v3, vcc, 0, v3, vcc
	v_add_co_u32_e32 v19, vcc, s0, v2
	v_addc_co_u32_e32 v20, vcc, v20, v3, vcc
	;; [unrolled: 2-line block ×3, first 2 shown]
	v_add_co_u32_e32 v23, vcc, s16, v0
	v_addc_co_u32_e64 v24, s[0:1], 0, 0, vcc
	s_mov_b64 s[16:17], 0
	v_pk_mov_b32 v[2:3], s[12:13], s[12:13] op_sel:[0,1]
	s_branch .LBB117_4
.LBB117_3:                              ;   in Loop: Header=BB117_4 Depth=1
	s_or_b64 exec, exec, s[0:1]
	s_add_u32 s16, s16, s23
	s_waitcnt vmcnt(0)
	v_mov_b32_e32 v26, 0x10000
	s_addc_u32 s17, s17, 0
	v_mov_b32_e32 v27, 0
	v_cmp_lt_i64_e32 vcc, s[16:17], v[2:3]
	v_cmp_lt_u64_e64 s[0:1], s[16:17], v[26:27]
	s_and_b64 s[0:1], vcc, s[0:1]
	s_and_b64 vcc, exec, s[0:1]
	s_cbranch_vccz .LBB117_20
.LBB117_4:                              ; =>This Inner Loop Header: Depth=1
	v_mov_b32_e32 v25, s17
	v_add_co_u32_e32 v26, vcc, s16, v0
	v_addc_co_u32_e32 v27, vcc, 0, v25, vcc
	v_cmp_gt_u64_e32 vcc, s[14:15], v[26:27]
	v_mov_b32_e32 v26, 0
	s_and_saveexec_b64 s[2:3], vcc
	s_cbranch_execz .LBB117_6
; %bb.5:                                ;   in Loop: Header=BB117_4 Depth=1
	v_mov_b32_e32 v25, s17
	v_add_co_u32_e64 v26, s[0:1], s16, v1
	v_addc_co_u32_e64 v27, s[0:1], v4, v25, s[0:1]
	global_load_ubyte v26, v[26:27], off
.LBB117_6:                              ;   in Loop: Header=BB117_4 Depth=1
	s_or_b64 exec, exec, s[2:3]
	v_mov_b32_e32 v25, s17
	v_add_co_u32_e64 v28, s[0:1], s16, v23
	v_addc_co_u32_e64 v29, s[0:1], v24, v25, s[0:1]
	v_cmp_gt_u64_e64 s[0:1], s[14:15], v[28:29]
	v_mov_b32_e32 v27, 0
	s_and_saveexec_b64 s[6:7], s[0:1]
	s_cbranch_execz .LBB117_8
; %bb.7:                                ;   in Loop: Header=BB117_4 Depth=1
	v_mov_b32_e32 v25, s17
	v_add_co_u32_e64 v28, s[2:3], s16, v19
	v_addc_co_u32_e64 v29, s[2:3], v20, v25, s[2:3]
	global_load_ubyte v27, v[28:29], off
.LBB117_8:                              ;   in Loop: Header=BB117_4 Depth=1
	s_or_b64 exec, exec, s[6:7]
	v_mov_b32_e32 v25, s17
	v_add_co_u32_e64 v28, s[2:3], s16, v17
	v_addc_co_u32_e64 v29, s[2:3], v18, v25, s[2:3]
	v_cmp_gt_u64_e64 s[2:3], s[14:15], v[28:29]
	v_mov_b32_e32 v25, 0
	v_mov_b32_e32 v28, 0
	s_and_saveexec_b64 s[8:9], s[2:3]
	s_cbranch_execz .LBB117_10
; %bb.9:                                ;   in Loop: Header=BB117_4 Depth=1
	v_mov_b32_e32 v29, s17
	v_add_co_u32_e64 v28, s[6:7], s16, v13
	v_addc_co_u32_e64 v29, s[6:7], v14, v29, s[6:7]
	global_load_ubyte v28, v[28:29], off
.LBB117_10:                             ;   in Loop: Header=BB117_4 Depth=1
	s_or_b64 exec, exec, s[8:9]
	v_mov_b32_e32 v29, s17
	v_add_co_u32_e64 v30, s[6:7], s16, v11
	v_addc_co_u32_e64 v31, s[6:7], v12, v29, s[6:7]
	v_cmp_gt_u64_e64 s[6:7], s[14:15], v[30:31]
	s_and_saveexec_b64 s[18:19], s[6:7]
	s_cbranch_execnz .LBB117_15
; %bb.11:                               ;   in Loop: Header=BB117_4 Depth=1
	s_or_b64 exec, exec, s[18:19]
	s_and_saveexec_b64 s[8:9], vcc
	s_cbranch_execnz .LBB117_16
.LBB117_12:                             ;   in Loop: Header=BB117_4 Depth=1
	s_or_b64 exec, exec, s[8:9]
	s_and_saveexec_b64 s[8:9], s[0:1]
	s_cbranch_execnz .LBB117_17
.LBB117_13:                             ;   in Loop: Header=BB117_4 Depth=1
	s_or_b64 exec, exec, s[8:9]
	s_and_saveexec_b64 s[0:1], s[2:3]
	s_cbranch_execnz .LBB117_18
.LBB117_14:                             ;   in Loop: Header=BB117_4 Depth=1
	s_or_b64 exec, exec, s[0:1]
	s_and_saveexec_b64 s[0:1], s[6:7]
	s_cbranch_execz .LBB117_3
	s_branch .LBB117_19
.LBB117_15:                             ;   in Loop: Header=BB117_4 Depth=1
	v_mov_b32_e32 v25, s17
	v_add_co_u32_e64 v30, s[8:9], s16, v7
	v_addc_co_u32_e64 v31, s[8:9], v8, v25, s[8:9]
	global_load_ubyte v25, v[30:31], off
	s_or_b64 exec, exec, s[18:19]
	s_and_saveexec_b64 s[8:9], vcc
	s_cbranch_execz .LBB117_12
.LBB117_16:                             ;   in Loop: Header=BB117_4 Depth=1
	s_bfe_i32 s18, s21, 0x80000
	v_mov_b32_e32 v29, s17
	v_add_co_u32_e32 v30, vcc, s16, v5
	s_waitcnt vmcnt(0)
	v_min_i16_sdwa v26, sext(v26), s18 dst_sel:DWORD dst_unused:UNUSED_PAD src0_sel:BYTE_0 src1_sel:DWORD
	v_addc_co_u32_e32 v31, vcc, v6, v29, vcc
	global_store_byte v[30:31], v26, off
	s_or_b64 exec, exec, s[8:9]
	s_and_saveexec_b64 s[8:9], s[0:1]
	s_cbranch_execz .LBB117_13
.LBB117_17:                             ;   in Loop: Header=BB117_4 Depth=1
	s_bfe_i32 s0, s21, 0x80000
	s_waitcnt vmcnt(0)
	v_min_i16_sdwa v29, sext(v27), s0 dst_sel:DWORD dst_unused:UNUSED_PAD src0_sel:BYTE_0 src1_sel:DWORD
	v_mov_b32_e32 v27, s17
	v_add_co_u32_e32 v26, vcc, s16, v21
	v_addc_co_u32_e32 v27, vcc, v22, v27, vcc
	global_store_byte v[26:27], v29, off
	s_or_b64 exec, exec, s[8:9]
	s_and_saveexec_b64 s[0:1], s[2:3]
	s_cbranch_execz .LBB117_14
.LBB117_18:                             ;   in Loop: Header=BB117_4 Depth=1
	s_bfe_i32 s2, s21, 0x80000
	s_waitcnt vmcnt(0)
	v_mov_b32_e32 v27, s17
	v_add_co_u32_e32 v26, vcc, s16, v15
	v_min_i16_sdwa v28, sext(v28), s2 dst_sel:DWORD dst_unused:UNUSED_PAD src0_sel:BYTE_0 src1_sel:DWORD
	v_addc_co_u32_e32 v27, vcc, v16, v27, vcc
	global_store_byte v[26:27], v28, off
	s_or_b64 exec, exec, s[0:1]
	s_and_saveexec_b64 s[0:1], s[6:7]
	s_cbranch_execz .LBB117_3
.LBB117_19:                             ;   in Loop: Header=BB117_4 Depth=1
	s_bfe_i32 s2, s21, 0x80000
	s_waitcnt vmcnt(0)
	v_mov_b32_e32 v27, s17
	v_add_co_u32_e32 v26, vcc, s16, v9
	v_min_i16_sdwa v25, sext(v25), s2 dst_sel:DWORD dst_unused:UNUSED_PAD src0_sel:BYTE_0 src1_sel:DWORD
	v_addc_co_u32_e32 v27, vcc, v10, v27, vcc
	global_store_byte v[26:27], v25, off
	s_branch .LBB117_3
.LBB117_20:
	s_mov_b64 s[8:9], 0
.LBB117_21:
	s_andn2_b64 vcc, exec, s[8:9]
	s_cbranch_vccnz .LBB117_25
; %bb.22:
	v_lshlrev_b32_e32 v0, 2, v0
	v_mov_b32_e32 v1, 0
	v_cmp_gt_i64_e32 vcc, s[12:13], v[0:1]
	s_and_saveexec_b64 s[0:1], vcc
	s_cbranch_execz .LBB117_25
; %bb.23:
	s_load_dword s0, s[4:5], 0xc5c
	s_mov_b32 s1, 0
	s_mov_b64 s[2:3], 0
	v_mov_b32_e32 v2, s11
	s_bfe_i32 s6, s21, 0x80000
	s_waitcnt lgkmcnt(0)
	s_and_b32 s0, s0, 0xffff
	s_lshl_b32 s7, s0, 2
	v_mov_b32_e32 v3, s22
	v_mov_b32_e32 v4, s1
	s_mov_b64 s[4:5], 0xffff
	v_mov_b32_e32 v5, 8
.LBB117_24:                             ; =>This Inner Loop Header: Depth=1
	v_add_co_u32_e32 v6, vcc, s10, v0
	v_addc_co_u32_e32 v7, vcc, v2, v1, vcc
	global_load_dword v8, v[6:7], off
	v_add_co_u32_e32 v6, vcc, s20, v0
	v_addc_co_u32_e32 v7, vcc, v3, v1, vcc
	v_add_co_u32_e32 v0, vcc, s7, v0
	v_addc_co_u32_e32 v1, vcc, v4, v1, vcc
	v_cmp_le_i64_e32 vcc, s[12:13], v[0:1]
	v_cmp_lt_u64_e64 s[0:1], s[4:5], v[0:1]
	s_or_b64 s[0:1], vcc, s[0:1]
	s_and_b64 s[0:1], exec, s[0:1]
	s_or_b64 s[2:3], s[0:1], s[2:3]
	s_waitcnt vmcnt(0)
	v_lshrrev_b32_e32 v11, 16, v8
	v_min_i16_sdwa v11, sext(v11), s6 dst_sel:DWORD dst_unused:UNUSED_PAD src0_sel:BYTE_0 src1_sel:DWORD
	v_min_i16_sdwa v9, sext(v8), s6 dst_sel:DWORD dst_unused:UNUSED_PAD src0_sel:BYTE_0 src1_sel:DWORD
	v_lshrrev_b32_e32 v10, 8, v8
	v_lshrrev_b32_e32 v8, 24, v8
	v_and_b32_e32 v11, 0xff, v11
	v_min_i16_sdwa v10, sext(v10), s6 dst_sel:DWORD dst_unused:UNUSED_PAD src0_sel:BYTE_0 src1_sel:DWORD
	v_min_i16_sdwa v8, sext(v8), s6 dst_sel:DWORD dst_unused:UNUSED_PAD src0_sel:BYTE_0 src1_sel:DWORD
	v_lshlrev_b32_e32 v11, 16, v11
	v_and_b32_e32 v9, 0xff, v9
	v_lshlrev_b32_sdwa v10, v5, v10 dst_sel:DWORD dst_unused:UNUSED_PAD src0_sel:DWORD src1_sel:BYTE_0
	v_lshl_or_b32 v8, v8, 24, v11
	v_or3_b32 v8, v8, v10, v9
	global_store_dword v[6:7], v8, off
	s_andn2_b64 exec, exec, s[2:3]
	s_cbranch_execnz .LBB117_24
.LBB117_25:
	s_endpgm
	.section	.rodata,"a",@progbits
	.p2align	6, 0x0
	.amdhsa_kernel _ZN2at6native12_GLOBAL__N_125multi_tensor_apply_kernelINS1_18TensorListMetadataILi2EEENS1_21BinaryOpScalarFunctorIaLi2ELi1ELi1EEEJNS0_7minimumIaEEaEEEvT_T0_DpT1_
		.amdhsa_group_segment_fixed_size 0
		.amdhsa_private_segment_fixed_size 0
		.amdhsa_kernarg_size 3408
		.amdhsa_user_sgpr_count 6
		.amdhsa_user_sgpr_private_segment_buffer 1
		.amdhsa_user_sgpr_dispatch_ptr 0
		.amdhsa_user_sgpr_queue_ptr 0
		.amdhsa_user_sgpr_kernarg_segment_ptr 1
		.amdhsa_user_sgpr_dispatch_id 0
		.amdhsa_user_sgpr_flat_scratch_init 0
		.amdhsa_user_sgpr_kernarg_preload_length 0
		.amdhsa_user_sgpr_kernarg_preload_offset 0
		.amdhsa_user_sgpr_private_segment_size 0
		.amdhsa_uses_dynamic_stack 0
		.amdhsa_system_sgpr_private_segment_wavefront_offset 0
		.amdhsa_system_sgpr_workgroup_id_x 1
		.amdhsa_system_sgpr_workgroup_id_y 0
		.amdhsa_system_sgpr_workgroup_id_z 0
		.amdhsa_system_sgpr_workgroup_info 0
		.amdhsa_system_vgpr_workitem_id 0
		.amdhsa_next_free_vgpr 32
		.amdhsa_next_free_sgpr 24
		.amdhsa_accum_offset 32
		.amdhsa_reserve_vcc 1
		.amdhsa_reserve_flat_scratch 0
		.amdhsa_float_round_mode_32 0
		.amdhsa_float_round_mode_16_64 0
		.amdhsa_float_denorm_mode_32 3
		.amdhsa_float_denorm_mode_16_64 3
		.amdhsa_dx10_clamp 1
		.amdhsa_ieee_mode 1
		.amdhsa_fp16_overflow 0
		.amdhsa_tg_split 0
		.amdhsa_exception_fp_ieee_invalid_op 0
		.amdhsa_exception_fp_denorm_src 0
		.amdhsa_exception_fp_ieee_div_zero 0
		.amdhsa_exception_fp_ieee_overflow 0
		.amdhsa_exception_fp_ieee_underflow 0
		.amdhsa_exception_fp_ieee_inexact 0
		.amdhsa_exception_int_div_zero 0
	.end_amdhsa_kernel
	.section	.text._ZN2at6native12_GLOBAL__N_125multi_tensor_apply_kernelINS1_18TensorListMetadataILi2EEENS1_21BinaryOpScalarFunctorIaLi2ELi1ELi1EEEJNS0_7minimumIaEEaEEEvT_T0_DpT1_,"axG",@progbits,_ZN2at6native12_GLOBAL__N_125multi_tensor_apply_kernelINS1_18TensorListMetadataILi2EEENS1_21BinaryOpScalarFunctorIaLi2ELi1ELi1EEEJNS0_7minimumIaEEaEEEvT_T0_DpT1_,comdat
.Lfunc_end117:
	.size	_ZN2at6native12_GLOBAL__N_125multi_tensor_apply_kernelINS1_18TensorListMetadataILi2EEENS1_21BinaryOpScalarFunctorIaLi2ELi1ELi1EEEJNS0_7minimumIaEEaEEEvT_T0_DpT1_, .Lfunc_end117-_ZN2at6native12_GLOBAL__N_125multi_tensor_apply_kernelINS1_18TensorListMetadataILi2EEENS1_21BinaryOpScalarFunctorIaLi2ELi1ELi1EEEJNS0_7minimumIaEEaEEEvT_T0_DpT1_
                                        ; -- End function
	.section	.AMDGPU.csdata,"",@progbits
; Kernel info:
; codeLenInByte = 1272
; NumSgprs: 28
; NumVgprs: 32
; NumAgprs: 0
; TotalNumVgprs: 32
; ScratchSize: 0
; MemoryBound: 0
; FloatMode: 240
; IeeeMode: 1
; LDSByteSize: 0 bytes/workgroup (compile time only)
; SGPRBlocks: 3
; VGPRBlocks: 3
; NumSGPRsForWavesPerEU: 28
; NumVGPRsForWavesPerEU: 32
; AccumOffset: 32
; Occupancy: 8
; WaveLimiterHint : 0
; COMPUTE_PGM_RSRC2:SCRATCH_EN: 0
; COMPUTE_PGM_RSRC2:USER_SGPR: 6
; COMPUTE_PGM_RSRC2:TRAP_HANDLER: 0
; COMPUTE_PGM_RSRC2:TGID_X_EN: 1
; COMPUTE_PGM_RSRC2:TGID_Y_EN: 0
; COMPUTE_PGM_RSRC2:TGID_Z_EN: 0
; COMPUTE_PGM_RSRC2:TIDIG_COMP_CNT: 0
; COMPUTE_PGM_RSRC3_GFX90A:ACCUM_OFFSET: 7
; COMPUTE_PGM_RSRC3_GFX90A:TG_SPLIT: 0
	.section	.text._ZN2at6native12_GLOBAL__N_125multi_tensor_apply_kernelINS1_18TensorListMetadataILi2EEENS1_21BinaryOpScalarFunctorIiLi2ELi1ELi1EEEJNS0_7minimumIiEEiEEEvT_T0_DpT1_,"axG",@progbits,_ZN2at6native12_GLOBAL__N_125multi_tensor_apply_kernelINS1_18TensorListMetadataILi2EEENS1_21BinaryOpScalarFunctorIiLi2ELi1ELi1EEEJNS0_7minimumIiEEiEEEvT_T0_DpT1_,comdat
	.globl	_ZN2at6native12_GLOBAL__N_125multi_tensor_apply_kernelINS1_18TensorListMetadataILi2EEENS1_21BinaryOpScalarFunctorIiLi2ELi1ELi1EEEJNS0_7minimumIiEEiEEEvT_T0_DpT1_ ; -- Begin function _ZN2at6native12_GLOBAL__N_125multi_tensor_apply_kernelINS1_18TensorListMetadataILi2EEENS1_21BinaryOpScalarFunctorIiLi2ELi1ELi1EEEJNS0_7minimumIiEEiEEEvT_T0_DpT1_
	.p2align	8
	.type	_ZN2at6native12_GLOBAL__N_125multi_tensor_apply_kernelINS1_18TensorListMetadataILi2EEENS1_21BinaryOpScalarFunctorIiLi2ELi1ELi1EEEJNS0_7minimumIiEEiEEEvT_T0_DpT1_,@function
_ZN2at6native12_GLOBAL__N_125multi_tensor_apply_kernelINS1_18TensorListMetadataILi2EEENS1_21BinaryOpScalarFunctorIiLi2ELi1ELi1EEEJNS0_7minimumIiEEiEEEvT_T0_DpT1_: ; @_ZN2at6native12_GLOBAL__N_125multi_tensor_apply_kernelINS1_18TensorListMetadataILi2EEENS1_21BinaryOpScalarFunctorIiLi2ELi1ELi1EEEJNS0_7minimumIiEEiEEEvT_T0_DpT1_
; %bb.0:
	v_mov_b32_e32 v1, s6
	global_load_ubyte v1, v1, s[4:5] offset:1536
	s_add_u32 s0, s4, s6
	s_mul_hi_u32 s2, s6, 3
	s_mul_i32 s6, s6, 3
	s_addc_u32 s7, s5, 0
	s_add_u32 s6, s0, s6
	s_addc_u32 s7, s7, s2
	s_load_dword s6, s[6:7], 0x740
	s_mov_b32 s1, 0
	s_mov_b32 s15, s1
	;; [unrolled: 1-line block ×3, first 2 shown]
	s_waitcnt lgkmcnt(0)
	s_ashr_i32 s7, s6, 31
	s_lshl_b64 s[16:17], s[6:7], 18
	s_waitcnt vmcnt(0)
	v_readfirstlane_b32 s0, v1
	s_lshl_b32 s0, s0, 3
	s_load_dwordx2 s[10:11], s[4:5], s0 offset:0x0
	s_load_dword s24, s[4:5], 0xc4c
	s_load_dwordx2 s[8:9], s[4:5], s0 offset:0x400
	s_load_dwordx2 s[12:13], s[4:5], s0 offset:0x200
	s_waitcnt lgkmcnt(0)
	s_and_b32 s0, s10, 15
	s_and_b32 s14, s8, 3
	;; [unrolled: 1-line block ×3, first 2 shown]
	s_or_b64 s[0:1], s[0:1], s[14:15]
	s_or_b64 s[0:1], s[2:3], s[0:1]
	s_lshl_b64 s[2:3], s[6:7], 16
	s_sub_u32 s14, s8, s2
	s_subb_u32 s15, s9, s3
	s_cmp_eq_u64 s[0:1], 0
	s_mov_b64 s[0:1], -1
	s_cbranch_scc1 .LBB118_21
; %bb.1:
	v_cmp_lt_i64_e64 s[0:1], s[14:15], 1
	s_and_b64 vcc, exec, s[0:1]
	s_cbranch_vccnz .LBB118_20
; %bb.2:
	s_load_dword s0, s[4:5], 0xc5c
	v_mov_b32_e32 v2, 0x10000
	v_mov_b32_e32 v3, 0
	v_cmp_lt_u64_e32 vcc, s[14:15], v[2:3]
	v_lshlrev_b32_e32 v10, 2, v0
	s_waitcnt lgkmcnt(0)
	s_and_b32 s2, s0, 0xffff
	s_and_b64 s[0:1], vcc, exec
	v_mov_b32_e32 v13, s11
	v_add_co_u32_e32 v2, vcc, s10, v10
	v_addc_co_u32_e32 v1, vcc, 0, v13, vcc
	v_mov_b32_e32 v11, 0
	v_mov_b32_e32 v15, s13
	v_add_co_u32_e32 v4, vcc, s12, v10
	v_addc_co_u32_e32 v3, vcc, 0, v15, vcc
	v_mad_u64_u32 v[8:9], s[0:1], s2, 12, v[10:11]
	v_add_co_u32_e32 v6, vcc, s10, v8
	v_addc_co_u32_e32 v5, vcc, v13, v9, vcc
	v_add_co_u32_e32 v8, vcc, s12, v8
	s_mul_i32 s6, s2, 3
	v_addc_co_u32_e32 v7, vcc, v15, v9, vcc
	v_add_co_u32_e32 v17, vcc, s6, v0
	v_addc_co_u32_e64 v18, s[0:1], 0, 0, vcc
	s_cselect_b32 s19, s15, 0
	s_cselect_b32 s18, s14, 0x10000
	s_lshl_b32 s0, s2, 3
	v_add_co_u32_e32 v11, vcc, s0, v10
	v_addc_co_u32_e64 v14, s[0:1], 0, 0, vcc
	v_add_co_u32_e32 v10, vcc, s10, v11
	v_addc_co_u32_e32 v9, vcc, v13, v14, vcc
	v_add_co_u32_e32 v12, vcc, s12, v11
	s_lshl_b32 s3, s2, 1
	v_addc_co_u32_e32 v11, vcc, v15, v14, vcc
	v_add_co_u32_e32 v19, vcc, s3, v0
	v_addc_co_u32_e64 v20, s[0:1], 0, 0, vcc
	v_add_co_u32_e32 v21, vcc, s2, v0
	v_lshlrev_b32_e32 v16, 2, v21
	v_addc_co_u32_e64 v22, s[0:1], 0, 0, vcc
	v_add_co_u32_e32 v14, vcc, s10, v16
	v_addc_co_u32_e32 v13, vcc, 0, v13, vcc
	v_add_co_u32_e32 v16, vcc, s12, v16
	s_mov_b32 s25, 0
	s_lshl_b32 s26, s2, 2
	s_lshl_b32 s27, s2, 4
	v_addc_co_u32_e32 v15, vcc, 0, v15, vcc
	s_mov_b64 s[20:21], 0
	s_branch .LBB118_4
.LBB118_3:                              ;   in Loop: Header=BB118_4 Depth=1
	s_or_b64 exec, exec, s[0:1]
	s_add_u32 s20, s20, s26
	s_addc_u32 s21, s21, 0
	s_waitcnt vmcnt(0)
	v_pk_mov_b32 v[24:25], s[14:15], s[14:15] op_sel:[0,1]
	v_cmp_lt_i64_e32 vcc, s[20:21], v[24:25]
	v_mov_b32_e32 v24, 0x10000
	v_mov_b32_e32 v25, 0
	v_cmp_lt_u64_e64 s[0:1], s[20:21], v[24:25]
	s_and_b64 s[0:1], vcc, s[0:1]
	v_mov_b32_e32 v23, s25
	v_add_co_u32_e32 v2, vcc, s27, v2
	v_addc_co_u32_e32 v1, vcc, v1, v23, vcc
	v_add_co_u32_e32 v4, vcc, s27, v4
	v_addc_co_u32_e32 v3, vcc, v3, v23, vcc
	;; [unrolled: 2-line block ×8, first 2 shown]
	s_and_b64 vcc, exec, s[0:1]
	s_cbranch_vccz .LBB118_20
.LBB118_4:                              ; =>This Inner Loop Header: Depth=1
	v_mov_b32_e32 v23, s21
	v_add_co_u32_e32 v24, vcc, s20, v0
	v_addc_co_u32_e32 v25, vcc, 0, v23, vcc
	v_cmp_gt_u64_e32 vcc, s[18:19], v[24:25]
	v_mov_b32_e32 v23, 0
	s_and_saveexec_b64 s[2:3], vcc
	s_cbranch_execz .LBB118_6
; %bb.5:                                ;   in Loop: Header=BB118_4 Depth=1
	v_mov_b32_e32 v23, s17
	v_add_co_u32_e64 v24, s[0:1], s16, v2
	v_addc_co_u32_e64 v25, s[0:1], v1, v23, s[0:1]
	global_load_dword v23, v[24:25], off
.LBB118_6:                              ;   in Loop: Header=BB118_4 Depth=1
	s_or_b64 exec, exec, s[2:3]
	v_mov_b32_e32 v25, s21
	v_add_co_u32_e64 v24, s[0:1], s20, v21
	v_addc_co_u32_e64 v25, s[0:1], v22, v25, s[0:1]
	v_cmp_gt_u64_e64 s[0:1], s[18:19], v[24:25]
	v_mov_b32_e32 v25, 0
	s_and_saveexec_b64 s[6:7], s[0:1]
	s_cbranch_execz .LBB118_8
; %bb.7:                                ;   in Loop: Header=BB118_4 Depth=1
	v_mov_b32_e32 v25, s17
	v_add_co_u32_e64 v24, s[2:3], s16, v14
	v_addc_co_u32_e64 v25, s[2:3], v13, v25, s[2:3]
	global_load_dword v25, v[24:25], off
.LBB118_8:                              ;   in Loop: Header=BB118_4 Depth=1
	s_or_b64 exec, exec, s[6:7]
	v_mov_b32_e32 v24, s21
	v_add_co_u32_e64 v26, s[2:3], s20, v19
	v_addc_co_u32_e64 v27, s[2:3], v20, v24, s[2:3]
	v_cmp_gt_u64_e64 s[2:3], s[18:19], v[26:27]
	v_mov_b32_e32 v24, 0
	v_mov_b32_e32 v26, 0
	s_and_saveexec_b64 s[8:9], s[2:3]
	s_cbranch_execz .LBB118_10
; %bb.9:                                ;   in Loop: Header=BB118_4 Depth=1
	v_mov_b32_e32 v27, s17
	v_add_co_u32_e64 v26, s[6:7], s16, v10
	v_addc_co_u32_e64 v27, s[6:7], v9, v27, s[6:7]
	global_load_dword v26, v[26:27], off
.LBB118_10:                             ;   in Loop: Header=BB118_4 Depth=1
	s_or_b64 exec, exec, s[8:9]
	v_mov_b32_e32 v27, s21
	v_add_co_u32_e64 v28, s[6:7], s20, v17
	v_addc_co_u32_e64 v29, s[6:7], v18, v27, s[6:7]
	v_cmp_gt_u64_e64 s[6:7], s[18:19], v[28:29]
	s_and_saveexec_b64 s[22:23], s[6:7]
	s_cbranch_execnz .LBB118_15
; %bb.11:                               ;   in Loop: Header=BB118_4 Depth=1
	s_or_b64 exec, exec, s[22:23]
	s_and_saveexec_b64 s[8:9], vcc
	s_cbranch_execnz .LBB118_16
.LBB118_12:                             ;   in Loop: Header=BB118_4 Depth=1
	s_or_b64 exec, exec, s[8:9]
	s_and_saveexec_b64 s[8:9], s[0:1]
	s_cbranch_execnz .LBB118_17
.LBB118_13:                             ;   in Loop: Header=BB118_4 Depth=1
	s_or_b64 exec, exec, s[8:9]
	s_and_saveexec_b64 s[0:1], s[2:3]
	s_cbranch_execnz .LBB118_18
.LBB118_14:                             ;   in Loop: Header=BB118_4 Depth=1
	s_or_b64 exec, exec, s[0:1]
	s_and_saveexec_b64 s[0:1], s[6:7]
	s_cbranch_execz .LBB118_3
	s_branch .LBB118_19
.LBB118_15:                             ;   in Loop: Header=BB118_4 Depth=1
	v_mov_b32_e32 v24, s17
	v_add_co_u32_e64 v28, s[8:9], s16, v6
	v_addc_co_u32_e64 v29, s[8:9], v5, v24, s[8:9]
	global_load_dword v24, v[28:29], off
	s_or_b64 exec, exec, s[22:23]
	s_and_saveexec_b64 s[8:9], vcc
	s_cbranch_execz .LBB118_12
.LBB118_16:                             ;   in Loop: Header=BB118_4 Depth=1
	v_mov_b32_e32 v27, s17
	v_add_co_u32_e32 v28, vcc, s16, v4
	s_waitcnt vmcnt(0)
	v_min_i32_e32 v23, s24, v23
	v_addc_co_u32_e32 v29, vcc, v3, v27, vcc
	global_store_dword v[28:29], v23, off
	s_or_b64 exec, exec, s[8:9]
	s_and_saveexec_b64 s[8:9], s[0:1]
	s_cbranch_execz .LBB118_13
.LBB118_17:                             ;   in Loop: Header=BB118_4 Depth=1
	s_waitcnt vmcnt(0)
	v_min_i32_e32 v23, s24, v25
	v_mov_b32_e32 v25, s17
	v_add_co_u32_e32 v28, vcc, s16, v16
	v_addc_co_u32_e32 v29, vcc, v15, v25, vcc
	global_store_dword v[28:29], v23, off
	s_or_b64 exec, exec, s[8:9]
	s_and_saveexec_b64 s[0:1], s[2:3]
	s_cbranch_execz .LBB118_14
.LBB118_18:                             ;   in Loop: Header=BB118_4 Depth=1
	s_waitcnt vmcnt(0)
	v_min_i32_e32 v23, s24, v26
	v_mov_b32_e32 v25, s17
	v_add_co_u32_e32 v26, vcc, s16, v12
	v_addc_co_u32_e32 v27, vcc, v11, v25, vcc
	global_store_dword v[26:27], v23, off
	s_or_b64 exec, exec, s[0:1]
	s_and_saveexec_b64 s[0:1], s[6:7]
	s_cbranch_execz .LBB118_3
.LBB118_19:                             ;   in Loop: Header=BB118_4 Depth=1
	s_waitcnt vmcnt(0)
	v_min_i32_e32 v23, s24, v24
	v_mov_b32_e32 v25, s17
	v_add_co_u32_e32 v24, vcc, s16, v8
	v_addc_co_u32_e32 v25, vcc, v7, v25, vcc
	global_store_dword v[24:25], v23, off
	s_branch .LBB118_3
.LBB118_20:
	s_mov_b64 s[0:1], 0
.LBB118_21:
	s_andn2_b64 vcc, exec, s[0:1]
	s_cbranch_vccnz .LBB118_25
; %bb.22:
	v_mov_b32_e32 v3, 0
	v_lshlrev_b32_e32 v2, 2, v0
	s_mov_b32 s0, 0
	v_cmp_gt_i64_e32 vcc, s[14:15], v[2:3]
	s_and_saveexec_b64 s[2:3], vcc
	s_cbranch_execz .LBB118_25
; %bb.23:
	s_load_dword s1, s[4:5], 0xc5c
	v_lshlrev_b32_e32 v1, 4, v0
	v_mov_b32_e32 v4, s17
	s_mov_b32 s8, s24
	s_mov_b64 s[4:5], 0
	s_waitcnt lgkmcnt(0)
	s_and_b32 s1, s1, 0xffff
	v_add_lshl_u32 v2, v0, s1, 2
	v_add_co_u32_e32 v0, vcc, s16, v1
	v_addc_co_u32_e32 v1, vcc, 0, v4, vcc
	v_add_co_u32_e32 v0, vcc, 8, v0
	s_lshl_b32 s9, s1, 2
	v_addc_co_u32_e32 v1, vcc, 0, v1, vcc
	s_lshl_b32 s16, s1, 4
	v_mov_b32_e32 v4, s11
	v_mov_b32_e32 v5, s13
	s_mov_b64 s[6:7], 0xffff
	v_mov_b32_e32 v6, s0
	v_mov_b32_e32 v7, s0
.LBB118_24:                             ; =>This Inner Loop Header: Depth=1
	v_add_co_u32_e32 v8, vcc, s10, v0
	v_addc_co_u32_e32 v9, vcc, v4, v1, vcc
	global_load_dwordx4 v[8:11], v[8:9], off offset:-8
	v_add_co_u32_e32 v12, vcc, s12, v0
	v_addc_co_u32_e32 v13, vcc, v5, v1, vcc
	v_cmp_le_i64_e32 vcc, s[14:15], v[2:3]
	v_cmp_lt_u64_e64 s[0:1], s[6:7], v[2:3]
	v_add_co_u32_e64 v2, s[2:3], s9, v2
	v_addc_co_u32_e64 v3, s[2:3], v3, v6, s[2:3]
	s_or_b64 s[0:1], vcc, s[0:1]
	v_add_co_u32_e64 v0, s[2:3], s16, v0
	s_and_b64 s[0:1], exec, s[0:1]
	v_addc_co_u32_e64 v1, s[2:3], v1, v7, s[2:3]
	s_or_b64 s[4:5], s[0:1], s[4:5]
	s_waitcnt vmcnt(0)
	v_min_i32_e32 v9, s8, v9
	v_min_i32_e32 v8, s24, v8
	;; [unrolled: 1-line block ×4, first 2 shown]
	global_store_dwordx4 v[12:13], v[8:11], off offset:-8
	s_andn2_b64 exec, exec, s[4:5]
	s_cbranch_execnz .LBB118_24
.LBB118_25:
	s_endpgm
	.section	.rodata,"a",@progbits
	.p2align	6, 0x0
	.amdhsa_kernel _ZN2at6native12_GLOBAL__N_125multi_tensor_apply_kernelINS1_18TensorListMetadataILi2EEENS1_21BinaryOpScalarFunctorIiLi2ELi1ELi1EEEJNS0_7minimumIiEEiEEEvT_T0_DpT1_
		.amdhsa_group_segment_fixed_size 0
		.amdhsa_private_segment_fixed_size 0
		.amdhsa_kernarg_size 3408
		.amdhsa_user_sgpr_count 6
		.amdhsa_user_sgpr_private_segment_buffer 1
		.amdhsa_user_sgpr_dispatch_ptr 0
		.amdhsa_user_sgpr_queue_ptr 0
		.amdhsa_user_sgpr_kernarg_segment_ptr 1
		.amdhsa_user_sgpr_dispatch_id 0
		.amdhsa_user_sgpr_flat_scratch_init 0
		.amdhsa_user_sgpr_kernarg_preload_length 0
		.amdhsa_user_sgpr_kernarg_preload_offset 0
		.amdhsa_user_sgpr_private_segment_size 0
		.amdhsa_uses_dynamic_stack 0
		.amdhsa_system_sgpr_private_segment_wavefront_offset 0
		.amdhsa_system_sgpr_workgroup_id_x 1
		.amdhsa_system_sgpr_workgroup_id_y 0
		.amdhsa_system_sgpr_workgroup_id_z 0
		.amdhsa_system_sgpr_workgroup_info 0
		.amdhsa_system_vgpr_workitem_id 0
		.amdhsa_next_free_vgpr 30
		.amdhsa_next_free_sgpr 28
		.amdhsa_accum_offset 32
		.amdhsa_reserve_vcc 1
		.amdhsa_reserve_flat_scratch 0
		.amdhsa_float_round_mode_32 0
		.amdhsa_float_round_mode_16_64 0
		.amdhsa_float_denorm_mode_32 3
		.amdhsa_float_denorm_mode_16_64 3
		.amdhsa_dx10_clamp 1
		.amdhsa_ieee_mode 1
		.amdhsa_fp16_overflow 0
		.amdhsa_tg_split 0
		.amdhsa_exception_fp_ieee_invalid_op 0
		.amdhsa_exception_fp_denorm_src 0
		.amdhsa_exception_fp_ieee_div_zero 0
		.amdhsa_exception_fp_ieee_overflow 0
		.amdhsa_exception_fp_ieee_underflow 0
		.amdhsa_exception_fp_ieee_inexact 0
		.amdhsa_exception_int_div_zero 0
	.end_amdhsa_kernel
	.section	.text._ZN2at6native12_GLOBAL__N_125multi_tensor_apply_kernelINS1_18TensorListMetadataILi2EEENS1_21BinaryOpScalarFunctorIiLi2ELi1ELi1EEEJNS0_7minimumIiEEiEEEvT_T0_DpT1_,"axG",@progbits,_ZN2at6native12_GLOBAL__N_125multi_tensor_apply_kernelINS1_18TensorListMetadataILi2EEENS1_21BinaryOpScalarFunctorIiLi2ELi1ELi1EEEJNS0_7minimumIiEEiEEEvT_T0_DpT1_,comdat
.Lfunc_end118:
	.size	_ZN2at6native12_GLOBAL__N_125multi_tensor_apply_kernelINS1_18TensorListMetadataILi2EEENS1_21BinaryOpScalarFunctorIiLi2ELi1ELi1EEEJNS0_7minimumIiEEiEEEvT_T0_DpT1_, .Lfunc_end118-_ZN2at6native12_GLOBAL__N_125multi_tensor_apply_kernelINS1_18TensorListMetadataILi2EEENS1_21BinaryOpScalarFunctorIiLi2ELi1ELi1EEEJNS0_7minimumIiEEiEEEvT_T0_DpT1_
                                        ; -- End function
	.section	.AMDGPU.csdata,"",@progbits
; Kernel info:
; codeLenInByte = 1264
; NumSgprs: 32
; NumVgprs: 30
; NumAgprs: 0
; TotalNumVgprs: 30
; ScratchSize: 0
; MemoryBound: 0
; FloatMode: 240
; IeeeMode: 1
; LDSByteSize: 0 bytes/workgroup (compile time only)
; SGPRBlocks: 3
; VGPRBlocks: 3
; NumSGPRsForWavesPerEU: 32
; NumVGPRsForWavesPerEU: 30
; AccumOffset: 32
; Occupancy: 8
; WaveLimiterHint : 0
; COMPUTE_PGM_RSRC2:SCRATCH_EN: 0
; COMPUTE_PGM_RSRC2:USER_SGPR: 6
; COMPUTE_PGM_RSRC2:TRAP_HANDLER: 0
; COMPUTE_PGM_RSRC2:TGID_X_EN: 1
; COMPUTE_PGM_RSRC2:TGID_Y_EN: 0
; COMPUTE_PGM_RSRC2:TGID_Z_EN: 0
; COMPUTE_PGM_RSRC2:TIDIG_COMP_CNT: 0
; COMPUTE_PGM_RSRC3_GFX90A:ACCUM_OFFSET: 7
; COMPUTE_PGM_RSRC3_GFX90A:TG_SPLIT: 0
	.section	.text._ZN2at6native12_GLOBAL__N_125multi_tensor_apply_kernelINS1_18TensorListMetadataILi2EEENS1_21BinaryOpScalarFunctorIlLi2ELi1ELi1EEEJNS0_7minimumIlEElEEEvT_T0_DpT1_,"axG",@progbits,_ZN2at6native12_GLOBAL__N_125multi_tensor_apply_kernelINS1_18TensorListMetadataILi2EEENS1_21BinaryOpScalarFunctorIlLi2ELi1ELi1EEEJNS0_7minimumIlEElEEEvT_T0_DpT1_,comdat
	.globl	_ZN2at6native12_GLOBAL__N_125multi_tensor_apply_kernelINS1_18TensorListMetadataILi2EEENS1_21BinaryOpScalarFunctorIlLi2ELi1ELi1EEEJNS0_7minimumIlEElEEEvT_T0_DpT1_ ; -- Begin function _ZN2at6native12_GLOBAL__N_125multi_tensor_apply_kernelINS1_18TensorListMetadataILi2EEENS1_21BinaryOpScalarFunctorIlLi2ELi1ELi1EEEJNS0_7minimumIlEElEEEvT_T0_DpT1_
	.p2align	8
	.type	_ZN2at6native12_GLOBAL__N_125multi_tensor_apply_kernelINS1_18TensorListMetadataILi2EEENS1_21BinaryOpScalarFunctorIlLi2ELi1ELi1EEEJNS0_7minimumIlEElEEEvT_T0_DpT1_,@function
_ZN2at6native12_GLOBAL__N_125multi_tensor_apply_kernelINS1_18TensorListMetadataILi2EEENS1_21BinaryOpScalarFunctorIlLi2ELi1ELi1EEEJNS0_7minimumIlEElEEEvT_T0_DpT1_: ; @_ZN2at6native12_GLOBAL__N_125multi_tensor_apply_kernelINS1_18TensorListMetadataILi2EEENS1_21BinaryOpScalarFunctorIlLi2ELi1ELi1EEEJNS0_7minimumIlEElEEEvT_T0_DpT1_
; %bb.0:
	v_mov_b32_e32 v1, s6
	global_load_ubyte v1, v1, s[4:5] offset:1536
	s_add_u32 s0, s4, s6
	s_mul_hi_u32 s1, s6, 3
	s_mul_i32 s6, s6, 3
	s_addc_u32 s2, s5, 0
	s_add_u32 s0, s0, s6
	s_addc_u32 s1, s2, s1
	s_load_dword s6, s[0:1], 0x740
	s_mov_b32 s9, 0
	s_mov_b32 s17, s9
	;; [unrolled: 1-line block ×3, first 2 shown]
	s_waitcnt lgkmcnt(0)
	s_ashr_i32 s7, s6, 31
	s_lshl_b64 s[14:15], s[6:7], 19
	s_waitcnt vmcnt(0)
	v_readfirstlane_b32 s0, v1
	s_lshl_b32 s8, s0, 3
	s_load_dwordx2 s[2:3], s[4:5], s8 offset:0x0
	s_load_dwordx2 s[10:11], s[4:5], 0xc50
	s_load_dwordx2 s[18:19], s[4:5], s8 offset:0x400
	s_load_dwordx2 s[0:1], s[4:5], s8 offset:0x200
	s_waitcnt lgkmcnt(0)
	s_add_u32 s22, s2, s14
	s_addc_u32 s23, s3, s15
	s_and_b32 s8, s22, 31
	s_add_u32 s24, s0, s14
	s_addc_u32 s25, s1, s15
	s_and_b32 s16, s18, 3
	s_and_b32 s12, s24, 31
	s_or_b64 s[8:9], s[8:9], s[16:17]
	s_or_b64 s[8:9], s[12:13], s[8:9]
	s_lshl_b64 s[6:7], s[6:7], 16
	s_sub_u32 s12, s18, s6
	s_subb_u32 s13, s19, s7
	s_cmp_eq_u64 s[8:9], 0
	s_mov_b64 s[6:7], -1
	s_cbranch_scc1 .LBB119_21
; %bb.1:
	v_cmp_lt_i64_e64 s[6:7], s[12:13], 1
	s_and_b64 vcc, exec, s[6:7]
	s_cbranch_vccnz .LBB119_20
; %bb.2:
	s_load_dword s6, s[4:5], 0xc64
	v_mov_b32_e32 v2, 0x10000
	v_mov_b32_e32 v3, 0
	v_cmp_lt_u64_e32 vcc, s[12:13], v[2:3]
	v_lshlrev_b32_e32 v10, 3, v0
	s_waitcnt lgkmcnt(0)
	s_and_b32 s8, s6, 0xffff
	s_and_b64 s[6:7], vcc, exec
	v_mov_b32_e32 v13, s3
	v_add_co_u32_e32 v2, vcc, s2, v10
	v_addc_co_u32_e32 v1, vcc, 0, v13, vcc
	v_mov_b32_e32 v11, 0
	v_mov_b32_e32 v15, s1
	v_add_co_u32_e32 v4, vcc, s0, v10
	v_addc_co_u32_e32 v3, vcc, 0, v15, vcc
	v_mad_u64_u32 v[8:9], s[6:7], s8, 24, v[10:11]
	v_add_co_u32_e32 v6, vcc, s2, v8
	v_addc_co_u32_e32 v5, vcc, v13, v9, vcc
	v_add_co_u32_e32 v8, vcc, s0, v8
	s_mul_i32 s18, s8, 3
	v_addc_co_u32_e32 v7, vcc, v15, v9, vcc
	s_cselect_b32 s17, s13, 0
	s_cselect_b32 s16, s12, 0x10000
	v_add_co_u32_e32 v17, vcc, s18, v0
	s_lshl_b32 s1, s8, 4
	v_addc_co_u32_e64 v26, s[6:7], 0, 0, vcc
	v_add_co_u32_e32 v11, vcc, s1, v10
	v_addc_co_u32_e64 v14, s[6:7], 0, 0, vcc
	v_add_co_u32_e32 v10, vcc, s2, v11
	v_addc_co_u32_e32 v9, vcc, v13, v14, vcc
	v_add_co_u32_e32 v12, vcc, s0, v11
	s_lshl_b32 s9, s8, 1
	v_addc_co_u32_e32 v11, vcc, v15, v14, vcc
	v_add_co_u32_e32 v27, vcc, s9, v0
	v_addc_co_u32_e64 v28, s[6:7], 0, 0, vcc
	v_add_co_u32_e32 v29, vcc, s8, v0
	v_lshlrev_b32_e32 v16, 3, v29
	v_addc_co_u32_e64 v30, s[6:7], 0, 0, vcc
	v_add_co_u32_e32 v14, vcc, s2, v16
	v_addc_co_u32_e32 v13, vcc, 0, v13, vcc
	v_add_co_u32_e32 v16, vcc, s0, v16
	s_mov_b32 s26, 0
	s_lshl_b32 s27, s8, 2
	s_lshl_b32 s28, s8, 5
	v_addc_co_u32_e32 v15, vcc, 0, v15, vcc
	s_mov_b64 s[18:19], 0
	s_branch .LBB119_4
.LBB119_3:                              ;   in Loop: Header=BB119_4 Depth=1
	s_or_b64 exec, exec, s[0:1]
	s_add_u32 s18, s18, s27
	s_addc_u32 s19, s19, 0
	s_waitcnt vmcnt(0)
	v_pk_mov_b32 v[18:19], s[12:13], s[12:13] op_sel:[0,1]
	v_cmp_lt_i64_e32 vcc, s[18:19], v[18:19]
	v_mov_b32_e32 v18, 0x10000
	v_mov_b32_e32 v19, 0
	v_cmp_lt_u64_e64 s[0:1], s[18:19], v[18:19]
	s_and_b64 s[0:1], vcc, s[0:1]
	v_mov_b32_e32 v18, s26
	v_add_co_u32_e32 v2, vcc, s28, v2
	v_addc_co_u32_e32 v1, vcc, v1, v18, vcc
	v_add_co_u32_e32 v4, vcc, s28, v4
	v_addc_co_u32_e32 v3, vcc, v3, v18, vcc
	;; [unrolled: 2-line block ×8, first 2 shown]
	s_and_b64 vcc, exec, s[0:1]
	s_cbranch_vccz .LBB119_20
.LBB119_4:                              ; =>This Inner Loop Header: Depth=1
	v_mov_b32_e32 v19, s19
	v_add_co_u32_e32 v18, vcc, s18, v0
	v_addc_co_u32_e32 v19, vcc, 0, v19, vcc
	v_cmp_gt_u64_e32 vcc, s[16:17], v[18:19]
	v_pk_mov_b32 v[18:19], 0, 0
	v_pk_mov_b32 v[22:23], v[18:19], v[18:19] op_sel:[0,1]
	s_and_saveexec_b64 s[2:3], vcc
	s_cbranch_execz .LBB119_6
; %bb.5:                                ;   in Loop: Header=BB119_4 Depth=1
	v_mov_b32_e32 v21, s15
	v_add_co_u32_e64 v20, s[0:1], s14, v2
	v_addc_co_u32_e64 v21, s[0:1], v1, v21, s[0:1]
	global_load_dwordx2 v[22:23], v[20:21], off
.LBB119_6:                              ;   in Loop: Header=BB119_4 Depth=1
	s_or_b64 exec, exec, s[2:3]
	v_mov_b32_e32 v21, s19
	v_add_co_u32_e64 v20, s[0:1], s18, v29
	v_addc_co_u32_e64 v21, s[0:1], v30, v21, s[0:1]
	v_cmp_gt_u64_e64 s[0:1], s[16:17], v[20:21]
	s_and_saveexec_b64 s[6:7], s[0:1]
	s_cbranch_execz .LBB119_8
; %bb.7:                                ;   in Loop: Header=BB119_4 Depth=1
	v_mov_b32_e32 v19, s15
	v_add_co_u32_e64 v18, s[2:3], s14, v14
	v_addc_co_u32_e64 v19, s[2:3], v13, v19, s[2:3]
	global_load_dwordx2 v[18:19], v[18:19], off
.LBB119_8:                              ;   in Loop: Header=BB119_4 Depth=1
	s_or_b64 exec, exec, s[6:7]
	v_mov_b32_e32 v21, s19
	v_add_co_u32_e64 v20, s[2:3], s18, v27
	v_addc_co_u32_e64 v21, s[2:3], v28, v21, s[2:3]
	v_cmp_gt_u64_e64 s[2:3], s[16:17], v[20:21]
	v_pk_mov_b32 v[20:21], 0, 0
	v_pk_mov_b32 v[24:25], v[20:21], v[20:21] op_sel:[0,1]
	s_and_saveexec_b64 s[8:9], s[2:3]
	s_cbranch_execz .LBB119_10
; %bb.9:                                ;   in Loop: Header=BB119_4 Depth=1
	v_mov_b32_e32 v25, s15
	v_add_co_u32_e64 v24, s[6:7], s14, v10
	v_addc_co_u32_e64 v25, s[6:7], v9, v25, s[6:7]
	global_load_dwordx2 v[24:25], v[24:25], off
.LBB119_10:                             ;   in Loop: Header=BB119_4 Depth=1
	s_or_b64 exec, exec, s[8:9]
	v_mov_b32_e32 v31, s19
	v_add_co_u32_e64 v32, s[6:7], s18, v17
	v_addc_co_u32_e64 v33, s[6:7], v26, v31, s[6:7]
	v_cmp_gt_u64_e64 s[6:7], s[16:17], v[32:33]
	s_and_saveexec_b64 s[20:21], s[6:7]
	s_cbranch_execnz .LBB119_15
; %bb.11:                               ;   in Loop: Header=BB119_4 Depth=1
	s_or_b64 exec, exec, s[20:21]
	s_and_saveexec_b64 s[8:9], vcc
	s_cbranch_execnz .LBB119_16
.LBB119_12:                             ;   in Loop: Header=BB119_4 Depth=1
	s_or_b64 exec, exec, s[8:9]
	s_and_saveexec_b64 s[8:9], s[0:1]
	s_cbranch_execnz .LBB119_17
.LBB119_13:                             ;   in Loop: Header=BB119_4 Depth=1
	s_or_b64 exec, exec, s[8:9]
	s_and_saveexec_b64 s[0:1], s[2:3]
	s_cbranch_execnz .LBB119_18
.LBB119_14:                             ;   in Loop: Header=BB119_4 Depth=1
	s_or_b64 exec, exec, s[0:1]
	s_and_saveexec_b64 s[0:1], s[6:7]
	s_cbranch_execz .LBB119_3
	s_branch .LBB119_19
.LBB119_15:                             ;   in Loop: Header=BB119_4 Depth=1
	v_mov_b32_e32 v21, s15
	v_add_co_u32_e64 v20, s[8:9], s14, v6
	v_addc_co_u32_e64 v21, s[8:9], v5, v21, s[8:9]
	global_load_dwordx2 v[20:21], v[20:21], off
	s_or_b64 exec, exec, s[20:21]
	s_and_saveexec_b64 s[8:9], vcc
	s_cbranch_execz .LBB119_12
.LBB119_16:                             ;   in Loop: Header=BB119_4 Depth=1
	v_mov_b32_e32 v31, s11
	s_waitcnt vmcnt(0)
	v_cmp_gt_i64_e32 vcc, s[10:11], v[22:23]
	v_cndmask_b32_e32 v23, v31, v23, vcc
	v_mov_b32_e32 v31, s10
	v_cndmask_b32_e32 v22, v31, v22, vcc
	v_mov_b32_e32 v31, s15
	v_add_co_u32_e32 v32, vcc, s14, v4
	v_addc_co_u32_e32 v33, vcc, v3, v31, vcc
	global_store_dwordx2 v[32:33], v[22:23], off
	s_or_b64 exec, exec, s[8:9]
	s_and_saveexec_b64 s[8:9], s[0:1]
	s_cbranch_execz .LBB119_13
.LBB119_17:                             ;   in Loop: Header=BB119_4 Depth=1
	s_waitcnt vmcnt(0)
	v_mov_b32_e32 v22, s11
	v_cmp_gt_i64_e32 vcc, s[10:11], v[18:19]
	v_cndmask_b32_e32 v19, v22, v19, vcc
	v_mov_b32_e32 v22, s10
	v_cndmask_b32_e32 v18, v22, v18, vcc
	v_mov_b32_e32 v23, s15
	v_add_co_u32_e32 v22, vcc, s14, v16
	v_addc_co_u32_e32 v23, vcc, v15, v23, vcc
	global_store_dwordx2 v[22:23], v[18:19], off
	s_or_b64 exec, exec, s[8:9]
	s_and_saveexec_b64 s[0:1], s[2:3]
	s_cbranch_execz .LBB119_14
.LBB119_18:                             ;   in Loop: Header=BB119_4 Depth=1
	s_waitcnt vmcnt(0)
	v_mov_b32_e32 v18, s11
	v_cmp_gt_i64_e32 vcc, s[10:11], v[24:25]
	v_cndmask_b32_e32 v19, v18, v25, vcc
	v_mov_b32_e32 v18, s10
	v_cndmask_b32_e32 v18, v18, v24, vcc
	v_mov_b32_e32 v23, s15
	v_add_co_u32_e32 v22, vcc, s14, v12
	v_addc_co_u32_e32 v23, vcc, v11, v23, vcc
	global_store_dwordx2 v[22:23], v[18:19], off
	s_or_b64 exec, exec, s[0:1]
	s_and_saveexec_b64 s[0:1], s[6:7]
	s_cbranch_execz .LBB119_3
.LBB119_19:                             ;   in Loop: Header=BB119_4 Depth=1
	s_waitcnt vmcnt(0)
	v_mov_b32_e32 v18, s11
	v_cmp_gt_i64_e32 vcc, s[10:11], v[20:21]
	v_cndmask_b32_e32 v19, v18, v21, vcc
	v_mov_b32_e32 v18, s10
	v_cndmask_b32_e32 v18, v18, v20, vcc
	v_mov_b32_e32 v21, s15
	v_add_co_u32_e32 v20, vcc, s14, v8
	v_addc_co_u32_e32 v21, vcc, v7, v21, vcc
	global_store_dwordx2 v[20:21], v[18:19], off
	s_branch .LBB119_3
.LBB119_20:
	s_mov_b64 s[6:7], 0
.LBB119_21:
	s_andn2_b64 vcc, exec, s[6:7]
	s_cbranch_vccnz .LBB119_25
; %bb.22:
	v_mov_b32_e32 v3, 0
	v_lshlrev_b32_e32 v2, 2, v0
	s_mov_b32 s0, 0
	v_cmp_gt_i64_e32 vcc, s[12:13], v[2:3]
	s_and_saveexec_b64 s[2:3], vcc
	s_cbranch_execz .LBB119_25
; %bb.23:
	s_load_dword s1, s[4:5], 0xc64
	v_lshlrev_b32_e32 v4, 5, v0
	s_mov_b64 s[6:7], 0
	v_mov_b32_e32 v1, s10
	s_mov_b64 s[8:9], 0xffff
	s_waitcnt lgkmcnt(0)
	s_and_b32 s1, s1, 0xffff
	v_add_lshl_u32 v2, v0, s1, 2
	s_lshl_b32 s14, s1, 2
	s_lshl_b32 s15, s1, 5
	v_mov_b32_e32 v0, s11
	v_mov_b32_e32 v5, s0
.LBB119_24:                             ; =>This Inner Loop Header: Depth=1
	v_mov_b32_e32 v6, s23
	v_add_co_u32_e32 v14, vcc, s22, v4
	v_addc_co_u32_e32 v15, vcc, 0, v6, vcc
	global_load_dwordx4 v[6:9], v[14:15], off
	global_load_dwordx4 v[10:13], v[14:15], off offset:16
	v_cmp_le_i64_e32 vcc, s[12:13], v[2:3]
	v_cmp_lt_u64_e64 s[0:1], s[8:9], v[2:3]
	s_or_b64 s[0:1], vcc, s[0:1]
	v_add_co_u32_e64 v2, s[2:3], s14, v2
	s_add_u32 s22, s22, s15
	v_addc_co_u32_e64 v3, s[2:3], v3, v5, s[2:3]
	s_addc_u32 s23, s23, 0
	v_add_co_u32_e64 v14, s[2:3], s24, v4
	s_add_u32 s24, s24, s15
	v_mov_b32_e32 v15, s25
	s_addc_u32 s25, s25, 0
	s_and_b64 s[0:1], exec, s[0:1]
	v_addc_co_u32_e64 v15, s[2:3], 0, v15, s[2:3]
	s_or_b64 s[6:7], s[0:1], s[6:7]
	s_waitcnt vmcnt(1)
	v_cmp_gt_i64_e32 vcc, s[10:11], v[6:7]
	v_cmp_gt_i64_e64 s[0:1], s[10:11], v[8:9]
	v_cndmask_b32_e32 v7, v0, v7, vcc
	v_cndmask_b32_e64 v9, v0, v9, s[0:1]
	s_waitcnt vmcnt(0)
	v_cmp_gt_i64_e64 s[2:3], s[10:11], v[10:11]
	v_cmp_gt_i64_e64 s[4:5], s[10:11], v[12:13]
	v_cndmask_b32_e32 v6, v1, v6, vcc
	v_cndmask_b32_e64 v8, v1, v8, s[0:1]
	v_cndmask_b32_e64 v11, v0, v11, s[2:3]
	;; [unrolled: 1-line block ×5, first 2 shown]
	global_store_dwordx4 v[14:15], v[6:9], off
	global_store_dwordx4 v[14:15], v[10:13], off offset:16
	s_andn2_b64 exec, exec, s[6:7]
	s_cbranch_execnz .LBB119_24
.LBB119_25:
	s_endpgm
	.section	.rodata,"a",@progbits
	.p2align	6, 0x0
	.amdhsa_kernel _ZN2at6native12_GLOBAL__N_125multi_tensor_apply_kernelINS1_18TensorListMetadataILi2EEENS1_21BinaryOpScalarFunctorIlLi2ELi1ELi1EEEJNS0_7minimumIlEElEEEvT_T0_DpT1_
		.amdhsa_group_segment_fixed_size 0
		.amdhsa_private_segment_fixed_size 0
		.amdhsa_kernarg_size 3416
		.amdhsa_user_sgpr_count 6
		.amdhsa_user_sgpr_private_segment_buffer 1
		.amdhsa_user_sgpr_dispatch_ptr 0
		.amdhsa_user_sgpr_queue_ptr 0
		.amdhsa_user_sgpr_kernarg_segment_ptr 1
		.amdhsa_user_sgpr_dispatch_id 0
		.amdhsa_user_sgpr_flat_scratch_init 0
		.amdhsa_user_sgpr_kernarg_preload_length 0
		.amdhsa_user_sgpr_kernarg_preload_offset 0
		.amdhsa_user_sgpr_private_segment_size 0
		.amdhsa_uses_dynamic_stack 0
		.amdhsa_system_sgpr_private_segment_wavefront_offset 0
		.amdhsa_system_sgpr_workgroup_id_x 1
		.amdhsa_system_sgpr_workgroup_id_y 0
		.amdhsa_system_sgpr_workgroup_id_z 0
		.amdhsa_system_sgpr_workgroup_info 0
		.amdhsa_system_vgpr_workitem_id 0
		.amdhsa_next_free_vgpr 34
		.amdhsa_next_free_sgpr 29
		.amdhsa_accum_offset 36
		.amdhsa_reserve_vcc 1
		.amdhsa_reserve_flat_scratch 0
		.amdhsa_float_round_mode_32 0
		.amdhsa_float_round_mode_16_64 0
		.amdhsa_float_denorm_mode_32 3
		.amdhsa_float_denorm_mode_16_64 3
		.amdhsa_dx10_clamp 1
		.amdhsa_ieee_mode 1
		.amdhsa_fp16_overflow 0
		.amdhsa_tg_split 0
		.amdhsa_exception_fp_ieee_invalid_op 0
		.amdhsa_exception_fp_denorm_src 0
		.amdhsa_exception_fp_ieee_div_zero 0
		.amdhsa_exception_fp_ieee_overflow 0
		.amdhsa_exception_fp_ieee_underflow 0
		.amdhsa_exception_fp_ieee_inexact 0
		.amdhsa_exception_int_div_zero 0
	.end_amdhsa_kernel
	.section	.text._ZN2at6native12_GLOBAL__N_125multi_tensor_apply_kernelINS1_18TensorListMetadataILi2EEENS1_21BinaryOpScalarFunctorIlLi2ELi1ELi1EEEJNS0_7minimumIlEElEEEvT_T0_DpT1_,"axG",@progbits,_ZN2at6native12_GLOBAL__N_125multi_tensor_apply_kernelINS1_18TensorListMetadataILi2EEENS1_21BinaryOpScalarFunctorIlLi2ELi1ELi1EEEJNS0_7minimumIlEElEEEvT_T0_DpT1_,comdat
.Lfunc_end119:
	.size	_ZN2at6native12_GLOBAL__N_125multi_tensor_apply_kernelINS1_18TensorListMetadataILi2EEENS1_21BinaryOpScalarFunctorIlLi2ELi1ELi1EEEJNS0_7minimumIlEElEEEvT_T0_DpT1_, .Lfunc_end119-_ZN2at6native12_GLOBAL__N_125multi_tensor_apply_kernelINS1_18TensorListMetadataILi2EEENS1_21BinaryOpScalarFunctorIlLi2ELi1ELi1EEEJNS0_7minimumIlEElEEEvT_T0_DpT1_
                                        ; -- End function
	.section	.AMDGPU.csdata,"",@progbits
; Kernel info:
; codeLenInByte = 1436
; NumSgprs: 33
; NumVgprs: 34
; NumAgprs: 0
; TotalNumVgprs: 34
; ScratchSize: 0
; MemoryBound: 0
; FloatMode: 240
; IeeeMode: 1
; LDSByteSize: 0 bytes/workgroup (compile time only)
; SGPRBlocks: 4
; VGPRBlocks: 4
; NumSGPRsForWavesPerEU: 33
; NumVGPRsForWavesPerEU: 34
; AccumOffset: 36
; Occupancy: 8
; WaveLimiterHint : 0
; COMPUTE_PGM_RSRC2:SCRATCH_EN: 0
; COMPUTE_PGM_RSRC2:USER_SGPR: 6
; COMPUTE_PGM_RSRC2:TRAP_HANDLER: 0
; COMPUTE_PGM_RSRC2:TGID_X_EN: 1
; COMPUTE_PGM_RSRC2:TGID_Y_EN: 0
; COMPUTE_PGM_RSRC2:TGID_Z_EN: 0
; COMPUTE_PGM_RSRC2:TIDIG_COMP_CNT: 0
; COMPUTE_PGM_RSRC3_GFX90A:ACCUM_OFFSET: 8
; COMPUTE_PGM_RSRC3_GFX90A:TG_SPLIT: 0
	.section	.text._ZN2at6native12_GLOBAL__N_125multi_tensor_apply_kernelINS1_18TensorListMetadataILi2EEENS1_21BinaryOpScalarFunctorIsLi2ELi1ELi1EEEJNS0_7minimumIsEEsEEEvT_T0_DpT1_,"axG",@progbits,_ZN2at6native12_GLOBAL__N_125multi_tensor_apply_kernelINS1_18TensorListMetadataILi2EEENS1_21BinaryOpScalarFunctorIsLi2ELi1ELi1EEEJNS0_7minimumIsEEsEEEvT_T0_DpT1_,comdat
	.globl	_ZN2at6native12_GLOBAL__N_125multi_tensor_apply_kernelINS1_18TensorListMetadataILi2EEENS1_21BinaryOpScalarFunctorIsLi2ELi1ELi1EEEJNS0_7minimumIsEEsEEEvT_T0_DpT1_ ; -- Begin function _ZN2at6native12_GLOBAL__N_125multi_tensor_apply_kernelINS1_18TensorListMetadataILi2EEENS1_21BinaryOpScalarFunctorIsLi2ELi1ELi1EEEJNS0_7minimumIsEEsEEEvT_T0_DpT1_
	.p2align	8
	.type	_ZN2at6native12_GLOBAL__N_125multi_tensor_apply_kernelINS1_18TensorListMetadataILi2EEENS1_21BinaryOpScalarFunctorIsLi2ELi1ELi1EEEJNS0_7minimumIsEEsEEEvT_T0_DpT1_,@function
_ZN2at6native12_GLOBAL__N_125multi_tensor_apply_kernelINS1_18TensorListMetadataILi2EEENS1_21BinaryOpScalarFunctorIsLi2ELi1ELi1EEEJNS0_7minimumIsEEsEEEvT_T0_DpT1_: ; @_ZN2at6native12_GLOBAL__N_125multi_tensor_apply_kernelINS1_18TensorListMetadataILi2EEENS1_21BinaryOpScalarFunctorIsLi2ELi1ELi1EEEJNS0_7minimumIsEEsEEEvT_T0_DpT1_
; %bb.0:
	v_mov_b32_e32 v1, s6
	global_load_ubyte v1, v1, s[4:5] offset:1536
	s_load_dword s0, s[4:5], 0xc48
	s_mul_i32 s7, s6, 3
	s_mul_hi_u32 s2, s6, 3
	s_mov_b32 s1, 0
	s_mov_b32 s3, s1
	s_waitcnt lgkmcnt(0)
	s_lshr_b32 s24, s0, 16
	s_add_u32 s0, s4, s6
	s_addc_u32 s8, s5, 0
	s_add_u32 s6, s0, s7
	s_addc_u32 s7, s8, s2
	s_waitcnt vmcnt(0)
	v_readfirstlane_b32 s0, v1
	s_lshl_b32 s0, s0, 3
	s_load_dword s8, s[6:7], 0x740
	s_load_dwordx2 s[10:11], s[4:5], s0 offset:0x0
	s_load_dwordx2 s[14:15], s[4:5], s0 offset:0x400
	;; [unrolled: 1-line block ×3, first 2 shown]
	s_mov_b32 s7, s1
	s_waitcnt lgkmcnt(0)
	s_ashr_i32 s9, s8, 31
	s_and_b32 s0, s10, 7
	s_and_b32 s6, s14, 3
	;; [unrolled: 1-line block ×3, first 2 shown]
	s_or_b64 s[0:1], s[0:1], s[6:7]
	s_lshl_b64 s[16:17], s[8:9], 17
	s_or_b64 s[0:1], s[2:3], s[0:1]
	s_lshl_b64 s[2:3], s[8:9], 16
	s_sub_u32 s14, s14, s2
	s_subb_u32 s15, s15, s3
	s_cmp_eq_u64 s[0:1], 0
	s_mov_b64 s[0:1], -1
	s_cbranch_scc1 .LBB120_21
; %bb.1:
	v_cmp_lt_i64_e64 s[0:1], s[14:15], 1
	s_and_b64 vcc, exec, s[0:1]
	s_cbranch_vccnz .LBB120_20
; %bb.2:
	s_load_dword s0, s[4:5], 0xc5c
	v_mov_b32_e32 v2, 0x10000
	v_mov_b32_e32 v3, 0
	v_cmp_lt_u64_e32 vcc, s[14:15], v[2:3]
	v_lshlrev_b32_e32 v10, 1, v0
	s_waitcnt lgkmcnt(0)
	s_and_b32 s2, s0, 0xffff
	s_and_b64 s[0:1], vcc, exec
	v_mov_b32_e32 v13, s11
	v_add_co_u32_e32 v2, vcc, s10, v10
	v_addc_co_u32_e32 v1, vcc, 0, v13, vcc
	v_mov_b32_e32 v11, 0
	v_mov_b32_e32 v15, s13
	v_add_co_u32_e32 v4, vcc, s12, v10
	v_addc_co_u32_e32 v3, vcc, 0, v15, vcc
	v_mad_u64_u32 v[8:9], s[0:1], s2, 6, v[10:11]
	v_add_co_u32_e32 v6, vcc, s10, v8
	v_addc_co_u32_e32 v5, vcc, v13, v9, vcc
	v_add_co_u32_e32 v8, vcc, s12, v8
	s_mul_i32 s6, s2, 3
	v_addc_co_u32_e32 v7, vcc, v15, v9, vcc
	s_cselect_b32 s19, s15, 0
	s_cselect_b32 s18, s14, 0x10000
	s_lshl_b32 s26, s2, 2
	v_add_co_u32_e32 v17, vcc, s6, v0
	v_addc_co_u32_e64 v18, s[0:1], 0, 0, vcc
	v_add_co_u32_e32 v11, vcc, s26, v10
	v_addc_co_u32_e64 v14, s[0:1], 0, 0, vcc
	v_add_co_u32_e32 v10, vcc, s10, v11
	v_addc_co_u32_e32 v9, vcc, v13, v14, vcc
	v_add_co_u32_e32 v12, vcc, s12, v11
	s_lshl_b32 s3, s2, 1
	v_addc_co_u32_e32 v11, vcc, v15, v14, vcc
	v_add_co_u32_e32 v19, vcc, s3, v0
	v_addc_co_u32_e64 v20, s[0:1], 0, 0, vcc
	v_add_co_u32_e32 v21, vcc, s2, v0
	v_lshlrev_b32_e32 v16, 1, v21
	v_addc_co_u32_e64 v22, s[0:1], 0, 0, vcc
	v_add_co_u32_e32 v14, vcc, s10, v16
	v_addc_co_u32_e32 v13, vcc, 0, v13, vcc
	v_add_co_u32_e32 v16, vcc, s12, v16
	s_mov_b32 s25, 0
	s_lshl_b32 s27, s2, 3
	v_addc_co_u32_e32 v15, vcc, 0, v15, vcc
	s_mov_b64 s[20:21], 0
	s_branch .LBB120_4
.LBB120_3:                              ;   in Loop: Header=BB120_4 Depth=1
	s_or_b64 exec, exec, s[0:1]
	s_add_u32 s20, s20, s26
	s_addc_u32 s21, s21, 0
	s_waitcnt vmcnt(0)
	v_pk_mov_b32 v[24:25], s[14:15], s[14:15] op_sel:[0,1]
	v_cmp_lt_i64_e32 vcc, s[20:21], v[24:25]
	v_mov_b32_e32 v24, 0x10000
	v_mov_b32_e32 v25, 0
	v_cmp_lt_u64_e64 s[0:1], s[20:21], v[24:25]
	s_and_b64 s[0:1], vcc, s[0:1]
	v_mov_b32_e32 v23, s25
	v_add_co_u32_e32 v2, vcc, s27, v2
	v_addc_co_u32_e32 v1, vcc, v1, v23, vcc
	v_add_co_u32_e32 v4, vcc, s27, v4
	v_addc_co_u32_e32 v3, vcc, v3, v23, vcc
	;; [unrolled: 2-line block ×8, first 2 shown]
	s_and_b64 vcc, exec, s[0:1]
	s_cbranch_vccz .LBB120_20
.LBB120_4:                              ; =>This Inner Loop Header: Depth=1
	v_mov_b32_e32 v23, s21
	v_add_co_u32_e32 v24, vcc, s20, v0
	v_addc_co_u32_e32 v25, vcc, 0, v23, vcc
	v_cmp_gt_u64_e32 vcc, s[18:19], v[24:25]
	v_mov_b32_e32 v23, 0
	s_and_saveexec_b64 s[2:3], vcc
	s_cbranch_execz .LBB120_6
; %bb.5:                                ;   in Loop: Header=BB120_4 Depth=1
	v_mov_b32_e32 v23, s17
	v_add_co_u32_e64 v24, s[0:1], s16, v2
	v_addc_co_u32_e64 v25, s[0:1], v1, v23, s[0:1]
	global_load_ushort v23, v[24:25], off
.LBB120_6:                              ;   in Loop: Header=BB120_4 Depth=1
	s_or_b64 exec, exec, s[2:3]
	v_mov_b32_e32 v25, s21
	v_add_co_u32_e64 v24, s[0:1], s20, v21
	v_addc_co_u32_e64 v25, s[0:1], v22, v25, s[0:1]
	v_cmp_gt_u64_e64 s[0:1], s[18:19], v[24:25]
	v_mov_b32_e32 v25, 0
	s_and_saveexec_b64 s[6:7], s[0:1]
	s_cbranch_execz .LBB120_8
; %bb.7:                                ;   in Loop: Header=BB120_4 Depth=1
	v_mov_b32_e32 v25, s17
	v_add_co_u32_e64 v24, s[2:3], s16, v14
	v_addc_co_u32_e64 v25, s[2:3], v13, v25, s[2:3]
	global_load_ushort v25, v[24:25], off
.LBB120_8:                              ;   in Loop: Header=BB120_4 Depth=1
	s_or_b64 exec, exec, s[6:7]
	v_mov_b32_e32 v24, s21
	v_add_co_u32_e64 v26, s[2:3], s20, v19
	v_addc_co_u32_e64 v27, s[2:3], v20, v24, s[2:3]
	v_cmp_gt_u64_e64 s[2:3], s[18:19], v[26:27]
	v_mov_b32_e32 v24, 0
	v_mov_b32_e32 v26, 0
	s_and_saveexec_b64 s[8:9], s[2:3]
	s_cbranch_execz .LBB120_10
; %bb.9:                                ;   in Loop: Header=BB120_4 Depth=1
	v_mov_b32_e32 v27, s17
	v_add_co_u32_e64 v26, s[6:7], s16, v10
	v_addc_co_u32_e64 v27, s[6:7], v9, v27, s[6:7]
	global_load_ushort v26, v[26:27], off
.LBB120_10:                             ;   in Loop: Header=BB120_4 Depth=1
	s_or_b64 exec, exec, s[8:9]
	v_mov_b32_e32 v27, s21
	v_add_co_u32_e64 v28, s[6:7], s20, v17
	v_addc_co_u32_e64 v29, s[6:7], v18, v27, s[6:7]
	v_cmp_gt_u64_e64 s[6:7], s[18:19], v[28:29]
	s_and_saveexec_b64 s[22:23], s[6:7]
	s_cbranch_execnz .LBB120_15
; %bb.11:                               ;   in Loop: Header=BB120_4 Depth=1
	s_or_b64 exec, exec, s[22:23]
	s_and_saveexec_b64 s[8:9], vcc
	s_cbranch_execnz .LBB120_16
.LBB120_12:                             ;   in Loop: Header=BB120_4 Depth=1
	s_or_b64 exec, exec, s[8:9]
	s_and_saveexec_b64 s[8:9], s[0:1]
	s_cbranch_execnz .LBB120_17
.LBB120_13:                             ;   in Loop: Header=BB120_4 Depth=1
	s_or_b64 exec, exec, s[8:9]
	s_and_saveexec_b64 s[0:1], s[2:3]
	s_cbranch_execnz .LBB120_18
.LBB120_14:                             ;   in Loop: Header=BB120_4 Depth=1
	s_or_b64 exec, exec, s[0:1]
	s_and_saveexec_b64 s[0:1], s[6:7]
	s_cbranch_execz .LBB120_3
	s_branch .LBB120_19
.LBB120_15:                             ;   in Loop: Header=BB120_4 Depth=1
	v_mov_b32_e32 v24, s17
	v_add_co_u32_e64 v28, s[8:9], s16, v6
	v_addc_co_u32_e64 v29, s[8:9], v5, v24, s[8:9]
	global_load_ushort v24, v[28:29], off
	s_or_b64 exec, exec, s[22:23]
	s_and_saveexec_b64 s[8:9], vcc
	s_cbranch_execz .LBB120_12
.LBB120_16:                             ;   in Loop: Header=BB120_4 Depth=1
	v_mov_b32_e32 v27, s17
	v_add_co_u32_e32 v28, vcc, s16, v4
	s_waitcnt vmcnt(0)
	v_min_i16_e32 v23, s24, v23
	v_addc_co_u32_e32 v29, vcc, v3, v27, vcc
	global_store_short v[28:29], v23, off
	s_or_b64 exec, exec, s[8:9]
	s_and_saveexec_b64 s[8:9], s[0:1]
	s_cbranch_execz .LBB120_13
.LBB120_17:                             ;   in Loop: Header=BB120_4 Depth=1
	s_waitcnt vmcnt(0)
	v_min_i16_e32 v23, s24, v25
	v_mov_b32_e32 v25, s17
	v_add_co_u32_e32 v28, vcc, s16, v16
	v_addc_co_u32_e32 v29, vcc, v15, v25, vcc
	global_store_short v[28:29], v23, off
	s_or_b64 exec, exec, s[8:9]
	s_and_saveexec_b64 s[0:1], s[2:3]
	s_cbranch_execz .LBB120_14
.LBB120_18:                             ;   in Loop: Header=BB120_4 Depth=1
	s_waitcnt vmcnt(0)
	v_min_i16_e32 v23, s24, v26
	v_mov_b32_e32 v25, s17
	v_add_co_u32_e32 v26, vcc, s16, v12
	v_addc_co_u32_e32 v27, vcc, v11, v25, vcc
	global_store_short v[26:27], v23, off
	s_or_b64 exec, exec, s[0:1]
	s_and_saveexec_b64 s[0:1], s[6:7]
	s_cbranch_execz .LBB120_3
.LBB120_19:                             ;   in Loop: Header=BB120_4 Depth=1
	s_waitcnt vmcnt(0)
	v_min_i16_e32 v23, s24, v24
	v_mov_b32_e32 v25, s17
	v_add_co_u32_e32 v24, vcc, s16, v8
	v_addc_co_u32_e32 v25, vcc, v7, v25, vcc
	global_store_short v[24:25], v23, off
	s_branch .LBB120_3
.LBB120_20:
	s_mov_b64 s[0:1], 0
.LBB120_21:
	s_andn2_b64 vcc, exec, s[0:1]
	s_cbranch_vccnz .LBB120_25
; %bb.22:
	v_mov_b32_e32 v3, 0
	v_lshlrev_b32_e32 v2, 2, v0
	s_mov_b32 s0, 0
	v_cmp_gt_i64_e32 vcc, s[14:15], v[2:3]
	s_and_saveexec_b64 s[2:3], vcc
	s_cbranch_execz .LBB120_25
; %bb.23:
	s_load_dword s1, s[4:5], 0xc5c
	v_lshlrev_b32_e32 v1, 3, v0
	v_mov_b32_e32 v2, s17
	v_add_co_u32_e32 v4, vcc, s16, v1
	s_waitcnt lgkmcnt(0)
	s_and_b32 s1, s1, 0xffff
	v_addc_co_u32_e32 v1, vcc, 0, v2, vcc
	s_lshl_b32 s8, s1, 3
	v_add_lshl_u32 v2, v0, s1, 2
	s_lshl_b32 s9, s1, 2
	s_mov_b64 s[4:5], 0
	v_mov_b32_e32 v0, s11
	v_mov_b32_e32 v5, s13
	s_mov_b64 s[6:7], 0xffff
	v_mov_b32_e32 v6, s0
	v_mov_b32_e32 v7, s0
.LBB120_24:                             ; =>This Inner Loop Header: Depth=1
	v_add_co_u32_e32 v8, vcc, s10, v4
	v_addc_co_u32_e32 v9, vcc, v0, v1, vcc
	global_load_dwordx2 v[8:9], v[8:9], off
	v_add_co_u32_e32 v10, vcc, s12, v4
	v_addc_co_u32_e32 v11, vcc, v5, v1, vcc
	v_cmp_le_i64_e32 vcc, s[14:15], v[2:3]
	v_cmp_lt_u64_e64 s[0:1], s[6:7], v[2:3]
	v_add_co_u32_e64 v4, s[2:3], s8, v4
	v_addc_co_u32_e64 v1, s[2:3], v1, v6, s[2:3]
	s_or_b64 s[0:1], vcc, s[0:1]
	v_add_co_u32_e64 v2, s[2:3], s9, v2
	s_and_b64 s[0:1], exec, s[0:1]
	v_addc_co_u32_e64 v3, s[2:3], v3, v7, s[2:3]
	s_or_b64 s[4:5], s[0:1], s[4:5]
	s_waitcnt vmcnt(0)
	v_min_i16_sdwa v12, v8, s24 dst_sel:WORD_1 dst_unused:UNUSED_PAD src0_sel:WORD_1 src1_sel:DWORD
	v_min_i16_sdwa v13, v9, s24 dst_sel:WORD_1 dst_unused:UNUSED_PAD src0_sel:WORD_1 src1_sel:DWORD
	v_min_i16_e32 v9, s24, v9
	v_min_i16_e32 v8, s24, v8
	v_or_b32_e32 v9, v13, v9
	v_or_b32_e32 v8, v12, v8
	global_store_dwordx2 v[10:11], v[8:9], off
	s_andn2_b64 exec, exec, s[4:5]
	s_cbranch_execnz .LBB120_24
.LBB120_25:
	s_endpgm
	.section	.rodata,"a",@progbits
	.p2align	6, 0x0
	.amdhsa_kernel _ZN2at6native12_GLOBAL__N_125multi_tensor_apply_kernelINS1_18TensorListMetadataILi2EEENS1_21BinaryOpScalarFunctorIsLi2ELi1ELi1EEEJNS0_7minimumIsEEsEEEvT_T0_DpT1_
		.amdhsa_group_segment_fixed_size 0
		.amdhsa_private_segment_fixed_size 0
		.amdhsa_kernarg_size 3408
		.amdhsa_user_sgpr_count 6
		.amdhsa_user_sgpr_private_segment_buffer 1
		.amdhsa_user_sgpr_dispatch_ptr 0
		.amdhsa_user_sgpr_queue_ptr 0
		.amdhsa_user_sgpr_kernarg_segment_ptr 1
		.amdhsa_user_sgpr_dispatch_id 0
		.amdhsa_user_sgpr_flat_scratch_init 0
		.amdhsa_user_sgpr_kernarg_preload_length 0
		.amdhsa_user_sgpr_kernarg_preload_offset 0
		.amdhsa_user_sgpr_private_segment_size 0
		.amdhsa_uses_dynamic_stack 0
		.amdhsa_system_sgpr_private_segment_wavefront_offset 0
		.amdhsa_system_sgpr_workgroup_id_x 1
		.amdhsa_system_sgpr_workgroup_id_y 0
		.amdhsa_system_sgpr_workgroup_id_z 0
		.amdhsa_system_sgpr_workgroup_info 0
		.amdhsa_system_vgpr_workitem_id 0
		.amdhsa_next_free_vgpr 30
		.amdhsa_next_free_sgpr 28
		.amdhsa_accum_offset 32
		.amdhsa_reserve_vcc 1
		.amdhsa_reserve_flat_scratch 0
		.amdhsa_float_round_mode_32 0
		.amdhsa_float_round_mode_16_64 0
		.amdhsa_float_denorm_mode_32 3
		.amdhsa_float_denorm_mode_16_64 3
		.amdhsa_dx10_clamp 1
		.amdhsa_ieee_mode 1
		.amdhsa_fp16_overflow 0
		.amdhsa_tg_split 0
		.amdhsa_exception_fp_ieee_invalid_op 0
		.amdhsa_exception_fp_denorm_src 0
		.amdhsa_exception_fp_ieee_div_zero 0
		.amdhsa_exception_fp_ieee_overflow 0
		.amdhsa_exception_fp_ieee_underflow 0
		.amdhsa_exception_fp_ieee_inexact 0
		.amdhsa_exception_int_div_zero 0
	.end_amdhsa_kernel
	.section	.text._ZN2at6native12_GLOBAL__N_125multi_tensor_apply_kernelINS1_18TensorListMetadataILi2EEENS1_21BinaryOpScalarFunctorIsLi2ELi1ELi1EEEJNS0_7minimumIsEEsEEEvT_T0_DpT1_,"axG",@progbits,_ZN2at6native12_GLOBAL__N_125multi_tensor_apply_kernelINS1_18TensorListMetadataILi2EEENS1_21BinaryOpScalarFunctorIsLi2ELi1ELi1EEEJNS0_7minimumIsEEsEEEvT_T0_DpT1_,comdat
.Lfunc_end120:
	.size	_ZN2at6native12_GLOBAL__N_125multi_tensor_apply_kernelINS1_18TensorListMetadataILi2EEENS1_21BinaryOpScalarFunctorIsLi2ELi1ELi1EEEJNS0_7minimumIsEEsEEEvT_T0_DpT1_, .Lfunc_end120-_ZN2at6native12_GLOBAL__N_125multi_tensor_apply_kernelINS1_18TensorListMetadataILi2EEENS1_21BinaryOpScalarFunctorIsLi2ELi1ELi1EEEJNS0_7minimumIsEEsEEEvT_T0_DpT1_
                                        ; -- End function
	.section	.AMDGPU.csdata,"",@progbits
; Kernel info:
; codeLenInByte = 1268
; NumSgprs: 32
; NumVgprs: 30
; NumAgprs: 0
; TotalNumVgprs: 30
; ScratchSize: 0
; MemoryBound: 0
; FloatMode: 240
; IeeeMode: 1
; LDSByteSize: 0 bytes/workgroup (compile time only)
; SGPRBlocks: 3
; VGPRBlocks: 3
; NumSGPRsForWavesPerEU: 32
; NumVGPRsForWavesPerEU: 30
; AccumOffset: 32
; Occupancy: 8
; WaveLimiterHint : 0
; COMPUTE_PGM_RSRC2:SCRATCH_EN: 0
; COMPUTE_PGM_RSRC2:USER_SGPR: 6
; COMPUTE_PGM_RSRC2:TRAP_HANDLER: 0
; COMPUTE_PGM_RSRC2:TGID_X_EN: 1
; COMPUTE_PGM_RSRC2:TGID_Y_EN: 0
; COMPUTE_PGM_RSRC2:TGID_Z_EN: 0
; COMPUTE_PGM_RSRC2:TIDIG_COMP_CNT: 0
; COMPUTE_PGM_RSRC3_GFX90A:ACCUM_OFFSET: 7
; COMPUTE_PGM_RSRC3_GFX90A:TG_SPLIT: 0
	.section	.text._ZN2at6native12_GLOBAL__N_125multi_tensor_apply_kernelINS1_18TensorListMetadataILi2EEENS1_21BinaryOpScalarFunctorIdLi2ELi1ELi1EEEJNS0_7minimumIdEEdEEEvT_T0_DpT1_,"axG",@progbits,_ZN2at6native12_GLOBAL__N_125multi_tensor_apply_kernelINS1_18TensorListMetadataILi2EEENS1_21BinaryOpScalarFunctorIdLi2ELi1ELi1EEEJNS0_7minimumIdEEdEEEvT_T0_DpT1_,comdat
	.globl	_ZN2at6native12_GLOBAL__N_125multi_tensor_apply_kernelINS1_18TensorListMetadataILi2EEENS1_21BinaryOpScalarFunctorIdLi2ELi1ELi1EEEJNS0_7minimumIdEEdEEEvT_T0_DpT1_ ; -- Begin function _ZN2at6native12_GLOBAL__N_125multi_tensor_apply_kernelINS1_18TensorListMetadataILi2EEENS1_21BinaryOpScalarFunctorIdLi2ELi1ELi1EEEJNS0_7minimumIdEEdEEEvT_T0_DpT1_
	.p2align	8
	.type	_ZN2at6native12_GLOBAL__N_125multi_tensor_apply_kernelINS1_18TensorListMetadataILi2EEENS1_21BinaryOpScalarFunctorIdLi2ELi1ELi1EEEJNS0_7minimumIdEEdEEEvT_T0_DpT1_,@function
_ZN2at6native12_GLOBAL__N_125multi_tensor_apply_kernelINS1_18TensorListMetadataILi2EEENS1_21BinaryOpScalarFunctorIdLi2ELi1ELi1EEEJNS0_7minimumIdEEdEEEvT_T0_DpT1_: ; @_ZN2at6native12_GLOBAL__N_125multi_tensor_apply_kernelINS1_18TensorListMetadataILi2EEENS1_21BinaryOpScalarFunctorIdLi2ELi1ELi1EEEJNS0_7minimumIdEEdEEEvT_T0_DpT1_
; %bb.0:
	v_mov_b32_e32 v1, s6
	global_load_ubyte v1, v1, s[4:5] offset:1536
	s_add_u32 s0, s4, s6
	s_mul_hi_u32 s1, s6, 3
	s_mul_i32 s6, s6, 3
	s_addc_u32 s2, s5, 0
	s_add_u32 s0, s0, s6
	s_addc_u32 s1, s2, s1
	s_load_dword s6, s[0:1], 0x740
	s_mov_b32 s9, 0
	s_mov_b32 s17, s9
	;; [unrolled: 1-line block ×3, first 2 shown]
	s_waitcnt lgkmcnt(0)
	s_ashr_i32 s7, s6, 31
	s_lshl_b64 s[10:11], s[6:7], 19
	s_waitcnt vmcnt(0)
	v_readfirstlane_b32 s0, v1
	s_lshl_b32 s8, s0, 3
	s_load_dwordx2 s[2:3], s[4:5], s8 offset:0x0
	s_load_dwordx2 s[14:15], s[4:5], 0xc50
	s_load_dwordx2 s[18:19], s[4:5], s8 offset:0x400
	s_load_dwordx2 s[0:1], s[4:5], s8 offset:0x200
	s_waitcnt lgkmcnt(0)
	s_add_u32 s22, s2, s10
	s_addc_u32 s23, s3, s11
	s_and_b32 s8, s22, 31
	s_add_u32 s24, s0, s10
	s_addc_u32 s25, s1, s11
	s_and_b32 s16, s18, 3
	s_and_b32 s12, s24, 31
	s_or_b64 s[8:9], s[8:9], s[16:17]
	s_or_b64 s[8:9], s[12:13], s[8:9]
	s_lshl_b64 s[6:7], s[6:7], 16
	s_sub_u32 s16, s18, s6
	s_subb_u32 s17, s19, s7
	s_cmp_eq_u64 s[8:9], 0
	s_mov_b64 s[6:7], -1
	s_cbranch_scc1 .LBB121_21
; %bb.1:
	v_cmp_lt_i64_e64 s[6:7], s[16:17], 1
	s_and_b64 vcc, exec, s[6:7]
	s_cbranch_vccnz .LBB121_20
; %bb.2:
	s_load_dword s6, s[4:5], 0xc64
	v_mov_b32_e32 v2, 0x10000
	v_mov_b32_e32 v3, 0
	v_cmp_lt_u64_e32 vcc, s[16:17], v[2:3]
	v_lshlrev_b32_e32 v10, 3, v0
	s_waitcnt lgkmcnt(0)
	s_and_b32 s8, s6, 0xffff
	s_and_b64 s[6:7], vcc, exec
	v_mov_b32_e32 v13, s3
	v_add_co_u32_e32 v2, vcc, s2, v10
	v_addc_co_u32_e32 v1, vcc, 0, v13, vcc
	v_mov_b32_e32 v11, 0
	v_mov_b32_e32 v15, s1
	v_add_co_u32_e32 v4, vcc, s0, v10
	v_addc_co_u32_e32 v3, vcc, 0, v15, vcc
	v_mad_u64_u32 v[8:9], s[6:7], s8, 24, v[10:11]
	v_add_co_u32_e32 v6, vcc, s2, v8
	v_addc_co_u32_e32 v5, vcc, v13, v9, vcc
	v_add_co_u32_e32 v8, vcc, s0, v8
	s_mul_i32 s18, s8, 3
	v_addc_co_u32_e32 v7, vcc, v15, v9, vcc
	s_cselect_b32 s13, s17, 0
	s_cselect_b32 s12, s16, 0x10000
	v_add_co_u32_e32 v17, vcc, s18, v0
	s_lshl_b32 s1, s8, 4
	v_addc_co_u32_e64 v26, s[6:7], 0, 0, vcc
	v_add_co_u32_e32 v11, vcc, s1, v10
	v_addc_co_u32_e64 v14, s[6:7], 0, 0, vcc
	v_add_co_u32_e32 v10, vcc, s2, v11
	v_addc_co_u32_e32 v9, vcc, v13, v14, vcc
	v_add_co_u32_e32 v12, vcc, s0, v11
	s_lshl_b32 s9, s8, 1
	v_addc_co_u32_e32 v11, vcc, v15, v14, vcc
	v_add_co_u32_e32 v27, vcc, s9, v0
	v_addc_co_u32_e64 v28, s[6:7], 0, 0, vcc
	v_add_co_u32_e32 v29, vcc, s8, v0
	v_lshlrev_b32_e32 v16, 3, v29
	v_addc_co_u32_e64 v30, s[6:7], 0, 0, vcc
	v_add_co_u32_e32 v14, vcc, s2, v16
	v_addc_co_u32_e32 v13, vcc, 0, v13, vcc
	v_add_co_u32_e32 v16, vcc, s0, v16
	s_mov_b32 s26, 0
	s_lshl_b32 s27, s8, 2
	s_lshl_b32 s28, s8, 5
	v_addc_co_u32_e32 v15, vcc, 0, v15, vcc
	s_mov_b64 s[18:19], 0
	s_branch .LBB121_4
.LBB121_3:                              ;   in Loop: Header=BB121_4 Depth=1
	s_or_b64 exec, exec, s[2:3]
	s_add_u32 s18, s18, s27
	s_addc_u32 s19, s19, 0
	s_waitcnt vmcnt(0)
	v_pk_mov_b32 v[18:19], s[16:17], s[16:17] op_sel:[0,1]
	v_cmp_lt_i64_e32 vcc, s[18:19], v[18:19]
	v_mov_b32_e32 v18, 0x10000
	v_mov_b32_e32 v19, 0
	v_cmp_lt_u64_e64 s[0:1], s[18:19], v[18:19]
	s_and_b64 s[0:1], vcc, s[0:1]
	v_mov_b32_e32 v18, s26
	v_add_co_u32_e32 v2, vcc, s28, v2
	v_addc_co_u32_e32 v1, vcc, v1, v18, vcc
	v_add_co_u32_e32 v4, vcc, s28, v4
	v_addc_co_u32_e32 v3, vcc, v3, v18, vcc
	;; [unrolled: 2-line block ×8, first 2 shown]
	s_and_b64 vcc, exec, s[0:1]
	s_cbranch_vccz .LBB121_20
.LBB121_4:                              ; =>This Inner Loop Header: Depth=1
	v_mov_b32_e32 v19, s19
	v_add_co_u32_e32 v18, vcc, s18, v0
	v_addc_co_u32_e32 v19, vcc, 0, v19, vcc
	v_cmp_gt_u64_e32 vcc, s[12:13], v[18:19]
	v_pk_mov_b32 v[18:19], 0, 0
	v_pk_mov_b32 v[22:23], v[18:19], v[18:19] op_sel:[0,1]
	s_and_saveexec_b64 s[2:3], vcc
	s_cbranch_execz .LBB121_6
; %bb.5:                                ;   in Loop: Header=BB121_4 Depth=1
	v_mov_b32_e32 v21, s11
	v_add_co_u32_e64 v20, s[0:1], s10, v2
	v_addc_co_u32_e64 v21, s[0:1], v1, v21, s[0:1]
	global_load_dwordx2 v[22:23], v[20:21], off
.LBB121_6:                              ;   in Loop: Header=BB121_4 Depth=1
	s_or_b64 exec, exec, s[2:3]
	v_mov_b32_e32 v21, s19
	v_add_co_u32_e64 v20, s[0:1], s18, v29
	v_addc_co_u32_e64 v21, s[0:1], v30, v21, s[0:1]
	v_cmp_gt_u64_e64 s[0:1], s[12:13], v[20:21]
	s_and_saveexec_b64 s[6:7], s[0:1]
	s_cbranch_execz .LBB121_8
; %bb.7:                                ;   in Loop: Header=BB121_4 Depth=1
	v_mov_b32_e32 v19, s11
	v_add_co_u32_e64 v18, s[2:3], s10, v14
	v_addc_co_u32_e64 v19, s[2:3], v13, v19, s[2:3]
	global_load_dwordx2 v[18:19], v[18:19], off
.LBB121_8:                              ;   in Loop: Header=BB121_4 Depth=1
	s_or_b64 exec, exec, s[6:7]
	v_mov_b32_e32 v21, s19
	v_add_co_u32_e64 v20, s[2:3], s18, v27
	v_addc_co_u32_e64 v21, s[2:3], v28, v21, s[2:3]
	v_cmp_gt_u64_e64 s[2:3], s[12:13], v[20:21]
	v_pk_mov_b32 v[20:21], 0, 0
	v_pk_mov_b32 v[24:25], v[20:21], v[20:21] op_sel:[0,1]
	s_and_saveexec_b64 s[8:9], s[2:3]
	s_cbranch_execz .LBB121_10
; %bb.9:                                ;   in Loop: Header=BB121_4 Depth=1
	v_mov_b32_e32 v25, s11
	v_add_co_u32_e64 v24, s[6:7], s10, v10
	v_addc_co_u32_e64 v25, s[6:7], v9, v25, s[6:7]
	global_load_dwordx2 v[24:25], v[24:25], off
.LBB121_10:                             ;   in Loop: Header=BB121_4 Depth=1
	s_or_b64 exec, exec, s[8:9]
	v_mov_b32_e32 v31, s19
	v_add_co_u32_e64 v32, s[6:7], s18, v17
	v_addc_co_u32_e64 v33, s[6:7], v26, v31, s[6:7]
	v_cmp_gt_u64_e64 s[6:7], s[12:13], v[32:33]
	s_and_saveexec_b64 s[20:21], s[6:7]
	s_cbranch_execnz .LBB121_15
; %bb.11:                               ;   in Loop: Header=BB121_4 Depth=1
	s_or_b64 exec, exec, s[20:21]
	s_and_saveexec_b64 s[20:21], vcc
	s_cbranch_execnz .LBB121_16
.LBB121_12:                             ;   in Loop: Header=BB121_4 Depth=1
	s_or_b64 exec, exec, s[20:21]
	s_and_saveexec_b64 s[8:9], s[0:1]
	s_cbranch_execnz .LBB121_17
.LBB121_13:                             ;   in Loop: Header=BB121_4 Depth=1
	s_or_b64 exec, exec, s[8:9]
	s_and_saveexec_b64 s[8:9], s[2:3]
	s_cbranch_execnz .LBB121_18
.LBB121_14:                             ;   in Loop: Header=BB121_4 Depth=1
	s_or_b64 exec, exec, s[8:9]
	s_and_saveexec_b64 s[2:3], s[6:7]
	s_cbranch_execz .LBB121_3
	s_branch .LBB121_19
.LBB121_15:                             ;   in Loop: Header=BB121_4 Depth=1
	v_mov_b32_e32 v21, s11
	v_add_co_u32_e64 v20, s[8:9], s10, v6
	v_addc_co_u32_e64 v21, s[8:9], v5, v21, s[8:9]
	global_load_dwordx2 v[20:21], v[20:21], off
	s_or_b64 exec, exec, s[20:21]
	s_and_saveexec_b64 s[20:21], vcc
	s_cbranch_execz .LBB121_12
.LBB121_16:                             ;   in Loop: Header=BB121_4 Depth=1
	s_waitcnt vmcnt(0)
	v_cmp_u_f64_e32 vcc, v[22:23], v[22:23]
	v_cmp_gt_f64_e64 s[8:9], s[14:15], v[22:23]
	v_mov_b32_e32 v31, s15
	s_or_b64 vcc, vcc, s[8:9]
	v_cndmask_b32_e32 v23, v31, v23, vcc
	v_mov_b32_e32 v31, s14
	v_cndmask_b32_e32 v22, v31, v22, vcc
	v_mov_b32_e32 v31, s11
	v_add_co_u32_e32 v32, vcc, s10, v4
	v_addc_co_u32_e32 v33, vcc, v3, v31, vcc
	global_store_dwordx2 v[32:33], v[22:23], off
	s_or_b64 exec, exec, s[20:21]
	s_and_saveexec_b64 s[8:9], s[0:1]
	s_cbranch_execz .LBB121_13
.LBB121_17:                             ;   in Loop: Header=BB121_4 Depth=1
	s_waitcnt vmcnt(0)
	v_cmp_u_f64_e32 vcc, v[18:19], v[18:19]
	v_cmp_gt_f64_e64 s[0:1], s[14:15], v[18:19]
	v_mov_b32_e32 v22, s15
	s_or_b64 vcc, vcc, s[0:1]
	v_cndmask_b32_e32 v19, v22, v19, vcc
	v_mov_b32_e32 v22, s14
	v_cndmask_b32_e32 v18, v22, v18, vcc
	v_mov_b32_e32 v23, s11
	v_add_co_u32_e32 v22, vcc, s10, v16
	v_addc_co_u32_e32 v23, vcc, v15, v23, vcc
	global_store_dwordx2 v[22:23], v[18:19], off
	s_or_b64 exec, exec, s[8:9]
	s_and_saveexec_b64 s[8:9], s[2:3]
	s_cbranch_execz .LBB121_14
.LBB121_18:                             ;   in Loop: Header=BB121_4 Depth=1
	s_waitcnt vmcnt(0)
	v_cmp_u_f64_e32 vcc, v[24:25], v[24:25]
	v_cmp_gt_f64_e64 s[0:1], s[14:15], v[24:25]
	v_mov_b32_e32 v18, s15
	s_or_b64 vcc, vcc, s[0:1]
	v_cndmask_b32_e32 v19, v18, v25, vcc
	v_mov_b32_e32 v18, s14
	v_cndmask_b32_e32 v18, v18, v24, vcc
	v_mov_b32_e32 v23, s11
	v_add_co_u32_e32 v22, vcc, s10, v12
	v_addc_co_u32_e32 v23, vcc, v11, v23, vcc
	global_store_dwordx2 v[22:23], v[18:19], off
	s_or_b64 exec, exec, s[8:9]
	s_and_saveexec_b64 s[2:3], s[6:7]
	s_cbranch_execz .LBB121_3
.LBB121_19:                             ;   in Loop: Header=BB121_4 Depth=1
	s_waitcnt vmcnt(0)
	v_cmp_u_f64_e32 vcc, v[20:21], v[20:21]
	v_cmp_gt_f64_e64 s[0:1], s[14:15], v[20:21]
	v_mov_b32_e32 v18, s15
	s_or_b64 vcc, vcc, s[0:1]
	v_cndmask_b32_e32 v19, v18, v21, vcc
	v_mov_b32_e32 v18, s14
	v_cndmask_b32_e32 v18, v18, v20, vcc
	v_mov_b32_e32 v21, s11
	v_add_co_u32_e32 v20, vcc, s10, v8
	v_addc_co_u32_e32 v21, vcc, v7, v21, vcc
	global_store_dwordx2 v[20:21], v[18:19], off
	s_branch .LBB121_3
.LBB121_20:
	s_mov_b64 s[6:7], 0
.LBB121_21:
	s_andn2_b64 vcc, exec, s[6:7]
	s_cbranch_vccnz .LBB121_25
; %bb.22:
	v_mov_b32_e32 v3, 0
	v_lshlrev_b32_e32 v2, 2, v0
	s_mov_b32 s0, 0
	v_cmp_gt_i64_e32 vcc, s[16:17], v[2:3]
	s_and_saveexec_b64 s[2:3], vcc
	s_cbranch_execz .LBB121_25
; %bb.23:
	s_load_dword s1, s[4:5], 0xc64
	v_lshlrev_b32_e32 v4, 5, v0
	s_mov_b64 s[18:19], 0
	v_mov_b32_e32 v1, s14
	s_mov_b64 s[20:21], 0xffff
	s_waitcnt lgkmcnt(0)
	s_and_b32 s1, s1, 0xffff
	v_add_lshl_u32 v2, v0, s1, 2
	s_lshl_b32 s26, s1, 2
	s_lshl_b32 s27, s1, 5
	v_mov_b32_e32 v0, s15
	v_mov_b32_e32 v5, s0
.LBB121_24:                             ; =>This Inner Loop Header: Depth=1
	v_mov_b32_e32 v6, s23
	v_add_co_u32_e32 v14, vcc, s22, v4
	v_addc_co_u32_e32 v15, vcc, 0, v6, vcc
	global_load_dwordx4 v[6:9], v[14:15], off
	global_load_dwordx4 v[10:13], v[14:15], off offset:16
	v_cmp_le_i64_e32 vcc, s[16:17], v[2:3]
	v_cmp_lt_u64_e64 s[0:1], s[20:21], v[2:3]
	v_add_co_u32_e64 v2, s[2:3], s26, v2
	v_addc_co_u32_e64 v3, s[2:3], v3, v5, s[2:3]
	v_mov_b32_e32 v15, s25
	v_add_co_u32_e64 v14, s[2:3], s24, v4
	v_addc_co_u32_e64 v15, s[2:3], 0, v15, s[2:3]
	s_or_b64 s[28:29], vcc, s[0:1]
	s_waitcnt vmcnt(1)
	v_cmp_u_f64_e32 vcc, v[6:7], v[6:7]
	v_cmp_gt_f64_e64 s[0:1], s[14:15], v[6:7]
	v_cmp_u_f64_e64 s[2:3], v[8:9], v[8:9]
	v_cmp_gt_f64_e64 s[4:5], s[14:15], v[8:9]
	s_waitcnt vmcnt(0)
	v_cmp_u_f64_e64 s[6:7], v[10:11], v[10:11]
	v_cmp_gt_f64_e64 s[8:9], s[14:15], v[10:11]
	v_cmp_u_f64_e64 s[10:11], v[12:13], v[12:13]
	v_cmp_gt_f64_e64 s[12:13], s[14:15], v[12:13]
	s_or_b64 vcc, vcc, s[0:1]
	s_or_b64 s[0:1], s[2:3], s[4:5]
	s_or_b64 s[2:3], s[6:7], s[8:9]
	;; [unrolled: 1-line block ×3, first 2 shown]
	s_add_u32 s22, s22, s27
	s_addc_u32 s23, s23, 0
	s_add_u32 s24, s24, s27
	s_addc_u32 s25, s25, 0
	v_cndmask_b32_e64 v9, v0, v9, s[0:1]
	v_cndmask_b32_e64 v8, v1, v8, s[0:1]
	s_and_b64 s[0:1], exec, s[28:29]
	v_cndmask_b32_e32 v7, v0, v7, vcc
	v_cndmask_b32_e64 v11, v0, v11, s[2:3]
	v_cndmask_b32_e64 v13, v0, v13, s[4:5]
	v_cndmask_b32_e32 v6, v1, v6, vcc
	v_cndmask_b32_e64 v10, v1, v10, s[2:3]
	v_cndmask_b32_e64 v12, v1, v12, s[4:5]
	s_or_b64 s[18:19], s[0:1], s[18:19]
	global_store_dwordx4 v[14:15], v[6:9], off
	global_store_dwordx4 v[14:15], v[10:13], off offset:16
	s_andn2_b64 exec, exec, s[18:19]
	s_cbranch_execnz .LBB121_24
.LBB121_25:
	s_endpgm
	.section	.rodata,"a",@progbits
	.p2align	6, 0x0
	.amdhsa_kernel _ZN2at6native12_GLOBAL__N_125multi_tensor_apply_kernelINS1_18TensorListMetadataILi2EEENS1_21BinaryOpScalarFunctorIdLi2ELi1ELi1EEEJNS0_7minimumIdEEdEEEvT_T0_DpT1_
		.amdhsa_group_segment_fixed_size 0
		.amdhsa_private_segment_fixed_size 0
		.amdhsa_kernarg_size 3416
		.amdhsa_user_sgpr_count 6
		.amdhsa_user_sgpr_private_segment_buffer 1
		.amdhsa_user_sgpr_dispatch_ptr 0
		.amdhsa_user_sgpr_queue_ptr 0
		.amdhsa_user_sgpr_kernarg_segment_ptr 1
		.amdhsa_user_sgpr_dispatch_id 0
		.amdhsa_user_sgpr_flat_scratch_init 0
		.amdhsa_user_sgpr_kernarg_preload_length 0
		.amdhsa_user_sgpr_kernarg_preload_offset 0
		.amdhsa_user_sgpr_private_segment_size 0
		.amdhsa_uses_dynamic_stack 0
		.amdhsa_system_sgpr_private_segment_wavefront_offset 0
		.amdhsa_system_sgpr_workgroup_id_x 1
		.amdhsa_system_sgpr_workgroup_id_y 0
		.amdhsa_system_sgpr_workgroup_id_z 0
		.amdhsa_system_sgpr_workgroup_info 0
		.amdhsa_system_vgpr_workitem_id 0
		.amdhsa_next_free_vgpr 34
		.amdhsa_next_free_sgpr 30
		.amdhsa_accum_offset 36
		.amdhsa_reserve_vcc 1
		.amdhsa_reserve_flat_scratch 0
		.amdhsa_float_round_mode_32 0
		.amdhsa_float_round_mode_16_64 0
		.amdhsa_float_denorm_mode_32 3
		.amdhsa_float_denorm_mode_16_64 3
		.amdhsa_dx10_clamp 1
		.amdhsa_ieee_mode 1
		.amdhsa_fp16_overflow 0
		.amdhsa_tg_split 0
		.amdhsa_exception_fp_ieee_invalid_op 0
		.amdhsa_exception_fp_denorm_src 0
		.amdhsa_exception_fp_ieee_div_zero 0
		.amdhsa_exception_fp_ieee_overflow 0
		.amdhsa_exception_fp_ieee_underflow 0
		.amdhsa_exception_fp_ieee_inexact 0
		.amdhsa_exception_int_div_zero 0
	.end_amdhsa_kernel
	.section	.text._ZN2at6native12_GLOBAL__N_125multi_tensor_apply_kernelINS1_18TensorListMetadataILi2EEENS1_21BinaryOpScalarFunctorIdLi2ELi1ELi1EEEJNS0_7minimumIdEEdEEEvT_T0_DpT1_,"axG",@progbits,_ZN2at6native12_GLOBAL__N_125multi_tensor_apply_kernelINS1_18TensorListMetadataILi2EEENS1_21BinaryOpScalarFunctorIdLi2ELi1ELi1EEEJNS0_7minimumIdEEdEEEvT_T0_DpT1_,comdat
.Lfunc_end121:
	.size	_ZN2at6native12_GLOBAL__N_125multi_tensor_apply_kernelINS1_18TensorListMetadataILi2EEENS1_21BinaryOpScalarFunctorIdLi2ELi1ELi1EEEJNS0_7minimumIdEEdEEEvT_T0_DpT1_, .Lfunc_end121-_ZN2at6native12_GLOBAL__N_125multi_tensor_apply_kernelINS1_18TensorListMetadataILi2EEENS1_21BinaryOpScalarFunctorIdLi2ELi1ELi1EEEJNS0_7minimumIdEEdEEEvT_T0_DpT1_
                                        ; -- End function
	.section	.AMDGPU.csdata,"",@progbits
; Kernel info:
; codeLenInByte = 1532
; NumSgprs: 34
; NumVgprs: 34
; NumAgprs: 0
; TotalNumVgprs: 34
; ScratchSize: 0
; MemoryBound: 0
; FloatMode: 240
; IeeeMode: 1
; LDSByteSize: 0 bytes/workgroup (compile time only)
; SGPRBlocks: 4
; VGPRBlocks: 4
; NumSGPRsForWavesPerEU: 34
; NumVGPRsForWavesPerEU: 34
; AccumOffset: 36
; Occupancy: 8
; WaveLimiterHint : 0
; COMPUTE_PGM_RSRC2:SCRATCH_EN: 0
; COMPUTE_PGM_RSRC2:USER_SGPR: 6
; COMPUTE_PGM_RSRC2:TRAP_HANDLER: 0
; COMPUTE_PGM_RSRC2:TGID_X_EN: 1
; COMPUTE_PGM_RSRC2:TGID_Y_EN: 0
; COMPUTE_PGM_RSRC2:TGID_Z_EN: 0
; COMPUTE_PGM_RSRC2:TIDIG_COMP_CNT: 0
; COMPUTE_PGM_RSRC3_GFX90A:ACCUM_OFFSET: 8
; COMPUTE_PGM_RSRC3_GFX90A:TG_SPLIT: 0
	.section	.text._ZN2at6native12_GLOBAL__N_125multi_tensor_apply_kernelINS1_18TensorListMetadataILi2EEENS1_21BinaryOpScalarFunctorIfLi2ELi1ELi1EEEJNS0_7minimumIfEEfEEEvT_T0_DpT1_,"axG",@progbits,_ZN2at6native12_GLOBAL__N_125multi_tensor_apply_kernelINS1_18TensorListMetadataILi2EEENS1_21BinaryOpScalarFunctorIfLi2ELi1ELi1EEEJNS0_7minimumIfEEfEEEvT_T0_DpT1_,comdat
	.globl	_ZN2at6native12_GLOBAL__N_125multi_tensor_apply_kernelINS1_18TensorListMetadataILi2EEENS1_21BinaryOpScalarFunctorIfLi2ELi1ELi1EEEJNS0_7minimumIfEEfEEEvT_T0_DpT1_ ; -- Begin function _ZN2at6native12_GLOBAL__N_125multi_tensor_apply_kernelINS1_18TensorListMetadataILi2EEENS1_21BinaryOpScalarFunctorIfLi2ELi1ELi1EEEJNS0_7minimumIfEEfEEEvT_T0_DpT1_
	.p2align	8
	.type	_ZN2at6native12_GLOBAL__N_125multi_tensor_apply_kernelINS1_18TensorListMetadataILi2EEENS1_21BinaryOpScalarFunctorIfLi2ELi1ELi1EEEJNS0_7minimumIfEEfEEEvT_T0_DpT1_,@function
_ZN2at6native12_GLOBAL__N_125multi_tensor_apply_kernelINS1_18TensorListMetadataILi2EEENS1_21BinaryOpScalarFunctorIfLi2ELi1ELi1EEEJNS0_7minimumIfEEfEEEvT_T0_DpT1_: ; @_ZN2at6native12_GLOBAL__N_125multi_tensor_apply_kernelINS1_18TensorListMetadataILi2EEENS1_21BinaryOpScalarFunctorIfLi2ELi1ELi1EEEJNS0_7minimumIfEEfEEEvT_T0_DpT1_
; %bb.0:
	v_mov_b32_e32 v1, s6
	global_load_ubyte v1, v1, s[4:5] offset:1536
	s_add_u32 s0, s4, s6
	s_mul_hi_u32 s2, s6, 3
	s_mul_i32 s6, s6, 3
	s_addc_u32 s7, s5, 0
	s_add_u32 s6, s0, s6
	s_addc_u32 s7, s7, s2
	s_load_dword s6, s[6:7], 0x740
	s_mov_b32 s1, 0
	s_mov_b32 s13, s1
	;; [unrolled: 1-line block ×3, first 2 shown]
	s_waitcnt lgkmcnt(0)
	s_ashr_i32 s7, s6, 31
	s_lshl_b64 s[10:11], s[6:7], 18
	s_waitcnt vmcnt(0)
	v_readfirstlane_b32 s0, v1
	s_lshl_b32 s0, s0, 3
	s_load_dwordx2 s[14:15], s[4:5], s0 offset:0x0
	s_load_dword s24, s[4:5], 0xc4c
	s_load_dwordx2 s[8:9], s[4:5], s0 offset:0x400
	s_load_dwordx2 s[16:17], s[4:5], s0 offset:0x200
	s_waitcnt lgkmcnt(0)
	s_and_b32 s0, s14, 15
	s_and_b32 s12, s8, 3
	;; [unrolled: 1-line block ×3, first 2 shown]
	s_or_b64 s[0:1], s[0:1], s[12:13]
	s_or_b64 s[0:1], s[2:3], s[0:1]
	s_lshl_b64 s[2:3], s[6:7], 16
	s_sub_u32 s18, s8, s2
	s_subb_u32 s19, s9, s3
	s_cmp_eq_u64 s[0:1], 0
	s_mov_b64 s[0:1], -1
	s_cbranch_scc1 .LBB122_21
; %bb.1:
	v_cmp_lt_i64_e64 s[0:1], s[18:19], 1
	s_and_b64 vcc, exec, s[0:1]
	s_cbranch_vccnz .LBB122_20
; %bb.2:
	s_load_dword s0, s[4:5], 0xc5c
	v_mov_b32_e32 v2, 0x10000
	v_mov_b32_e32 v3, 0
	v_cmp_lt_u64_e32 vcc, s[18:19], v[2:3]
	v_lshlrev_b32_e32 v10, 2, v0
	s_waitcnt lgkmcnt(0)
	s_and_b32 s2, s0, 0xffff
	s_and_b64 s[0:1], vcc, exec
	v_mov_b32_e32 v13, s15
	v_add_co_u32_e32 v2, vcc, s14, v10
	v_addc_co_u32_e32 v1, vcc, 0, v13, vcc
	v_mov_b32_e32 v11, 0
	v_mov_b32_e32 v15, s17
	v_add_co_u32_e32 v4, vcc, s16, v10
	v_addc_co_u32_e32 v3, vcc, 0, v15, vcc
	v_mad_u64_u32 v[8:9], s[0:1], s2, 12, v[10:11]
	v_add_co_u32_e32 v6, vcc, s14, v8
	v_addc_co_u32_e32 v5, vcc, v13, v9, vcc
	v_add_co_u32_e32 v8, vcc, s16, v8
	s_mul_i32 s6, s2, 3
	v_addc_co_u32_e32 v7, vcc, v15, v9, vcc
	v_add_co_u32_e32 v17, vcc, s6, v0
	v_addc_co_u32_e64 v18, s[0:1], 0, 0, vcc
	s_cselect_b32 s13, s19, 0
	s_cselect_b32 s12, s18, 0x10000
	s_lshl_b32 s0, s2, 3
	v_add_co_u32_e32 v11, vcc, s0, v10
	v_addc_co_u32_e64 v14, s[0:1], 0, 0, vcc
	v_add_co_u32_e32 v10, vcc, s14, v11
	v_addc_co_u32_e32 v9, vcc, v13, v14, vcc
	v_add_co_u32_e32 v12, vcc, s16, v11
	s_lshl_b32 s3, s2, 1
	v_addc_co_u32_e32 v11, vcc, v15, v14, vcc
	v_add_co_u32_e32 v19, vcc, s3, v0
	v_addc_co_u32_e64 v20, s[0:1], 0, 0, vcc
	v_add_co_u32_e32 v21, vcc, s2, v0
	v_lshlrev_b32_e32 v16, 2, v21
	v_addc_co_u32_e64 v22, s[0:1], 0, 0, vcc
	v_add_co_u32_e32 v14, vcc, s14, v16
	v_addc_co_u32_e32 v13, vcc, 0, v13, vcc
	v_add_co_u32_e32 v16, vcc, s16, v16
	s_mov_b32 s25, 0
	s_lshl_b32 s26, s2, 2
	s_lshl_b32 s27, s2, 4
	v_addc_co_u32_e32 v15, vcc, 0, v15, vcc
	s_mov_b64 s[20:21], 0
	s_branch .LBB122_4
.LBB122_3:                              ;   in Loop: Header=BB122_4 Depth=1
	s_or_b64 exec, exec, s[2:3]
	s_add_u32 s20, s20, s26
	s_addc_u32 s21, s21, 0
	s_waitcnt vmcnt(0)
	v_pk_mov_b32 v[24:25], s[18:19], s[18:19] op_sel:[0,1]
	v_cmp_lt_i64_e32 vcc, s[20:21], v[24:25]
	v_mov_b32_e32 v24, 0x10000
	v_mov_b32_e32 v25, 0
	v_cmp_lt_u64_e64 s[0:1], s[20:21], v[24:25]
	s_and_b64 s[0:1], vcc, s[0:1]
	v_mov_b32_e32 v23, s25
	v_add_co_u32_e32 v2, vcc, s27, v2
	v_addc_co_u32_e32 v1, vcc, v1, v23, vcc
	v_add_co_u32_e32 v4, vcc, s27, v4
	v_addc_co_u32_e32 v3, vcc, v3, v23, vcc
	v_add_co_u32_e32 v6, vcc, s27, v6
	v_addc_co_u32_e32 v5, vcc, v5, v23, vcc
	v_add_co_u32_e32 v8, vcc, s27, v8
	v_addc_co_u32_e32 v7, vcc, v7, v23, vcc
	v_add_co_u32_e32 v10, vcc, s27, v10
	v_addc_co_u32_e32 v9, vcc, v9, v23, vcc
	v_add_co_u32_e32 v12, vcc, s27, v12
	v_addc_co_u32_e32 v11, vcc, v11, v23, vcc
	v_add_co_u32_e32 v14, vcc, s27, v14
	v_addc_co_u32_e32 v13, vcc, v13, v23, vcc
	v_add_co_u32_e32 v16, vcc, s27, v16
	v_addc_co_u32_e32 v15, vcc, v15, v23, vcc
	s_and_b64 vcc, exec, s[0:1]
	s_cbranch_vccz .LBB122_20
.LBB122_4:                              ; =>This Inner Loop Header: Depth=1
	v_mov_b32_e32 v23, s21
	v_add_co_u32_e32 v24, vcc, s20, v0
	v_addc_co_u32_e32 v25, vcc, 0, v23, vcc
	v_cmp_gt_u64_e32 vcc, s[12:13], v[24:25]
	v_mov_b32_e32 v24, 0
	s_and_saveexec_b64 s[2:3], vcc
	s_cbranch_execz .LBB122_6
; %bb.5:                                ;   in Loop: Header=BB122_4 Depth=1
	v_mov_b32_e32 v23, s11
	v_add_co_u32_e64 v24, s[0:1], s10, v2
	v_addc_co_u32_e64 v25, s[0:1], v1, v23, s[0:1]
	global_load_dword v24, v[24:25], off
.LBB122_6:                              ;   in Loop: Header=BB122_4 Depth=1
	s_or_b64 exec, exec, s[2:3]
	v_mov_b32_e32 v23, s21
	v_add_co_u32_e64 v26, s[0:1], s20, v21
	v_addc_co_u32_e64 v27, s[0:1], v22, v23, s[0:1]
	v_cmp_gt_u64_e64 s[0:1], s[12:13], v[26:27]
	v_mov_b32_e32 v25, 0
	s_and_saveexec_b64 s[6:7], s[0:1]
	s_cbranch_execz .LBB122_8
; %bb.7:                                ;   in Loop: Header=BB122_4 Depth=1
	v_mov_b32_e32 v23, s11
	v_add_co_u32_e64 v26, s[2:3], s10, v14
	v_addc_co_u32_e64 v27, s[2:3], v13, v23, s[2:3]
	global_load_dword v25, v[26:27], off
.LBB122_8:                              ;   in Loop: Header=BB122_4 Depth=1
	s_or_b64 exec, exec, s[6:7]
	v_mov_b32_e32 v23, s21
	v_add_co_u32_e64 v26, s[2:3], s20, v19
	v_addc_co_u32_e64 v27, s[2:3], v20, v23, s[2:3]
	v_cmp_gt_u64_e64 s[2:3], s[12:13], v[26:27]
	v_mov_b32_e32 v23, 0
	v_mov_b32_e32 v26, 0
	s_and_saveexec_b64 s[8:9], s[2:3]
	s_cbranch_execz .LBB122_10
; %bb.9:                                ;   in Loop: Header=BB122_4 Depth=1
	v_mov_b32_e32 v27, s11
	v_add_co_u32_e64 v26, s[6:7], s10, v10
	v_addc_co_u32_e64 v27, s[6:7], v9, v27, s[6:7]
	global_load_dword v26, v[26:27], off
.LBB122_10:                             ;   in Loop: Header=BB122_4 Depth=1
	s_or_b64 exec, exec, s[8:9]
	v_mov_b32_e32 v27, s21
	v_add_co_u32_e64 v28, s[6:7], s20, v17
	v_addc_co_u32_e64 v29, s[6:7], v18, v27, s[6:7]
	v_cmp_gt_u64_e64 s[6:7], s[12:13], v[28:29]
	s_and_saveexec_b64 s[22:23], s[6:7]
	s_cbranch_execnz .LBB122_15
; %bb.11:                               ;   in Loop: Header=BB122_4 Depth=1
	s_or_b64 exec, exec, s[22:23]
	s_and_saveexec_b64 s[22:23], vcc
	s_cbranch_execnz .LBB122_16
.LBB122_12:                             ;   in Loop: Header=BB122_4 Depth=1
	s_or_b64 exec, exec, s[22:23]
	s_and_saveexec_b64 s[8:9], s[0:1]
	s_cbranch_execnz .LBB122_17
.LBB122_13:                             ;   in Loop: Header=BB122_4 Depth=1
	s_or_b64 exec, exec, s[8:9]
	s_and_saveexec_b64 s[8:9], s[2:3]
	s_cbranch_execnz .LBB122_18
.LBB122_14:                             ;   in Loop: Header=BB122_4 Depth=1
	s_or_b64 exec, exec, s[8:9]
	s_and_saveexec_b64 s[2:3], s[6:7]
	s_cbranch_execz .LBB122_3
	s_branch .LBB122_19
.LBB122_15:                             ;   in Loop: Header=BB122_4 Depth=1
	v_mov_b32_e32 v23, s11
	v_add_co_u32_e64 v28, s[8:9], s10, v6
	v_addc_co_u32_e64 v29, s[8:9], v5, v23, s[8:9]
	global_load_dword v23, v[28:29], off
	s_or_b64 exec, exec, s[22:23]
	s_and_saveexec_b64 s[22:23], vcc
	s_cbranch_execz .LBB122_12
.LBB122_16:                             ;   in Loop: Header=BB122_4 Depth=1
	s_waitcnt vmcnt(0)
	v_cmp_u_f32_e32 vcc, v24, v24
	v_cmp_gt_f32_e64 s[8:9], s24, v24
	v_mov_b32_e32 v27, s24
	s_or_b64 vcc, vcc, s[8:9]
	v_cndmask_b32_e32 v24, v27, v24, vcc
	v_mov_b32_e32 v27, s11
	v_add_co_u32_e32 v28, vcc, s10, v4
	v_addc_co_u32_e32 v29, vcc, v3, v27, vcc
	global_store_dword v[28:29], v24, off
	s_or_b64 exec, exec, s[22:23]
	s_and_saveexec_b64 s[8:9], s[0:1]
	s_cbranch_execz .LBB122_13
.LBB122_17:                             ;   in Loop: Header=BB122_4 Depth=1
	s_waitcnt vmcnt(0)
	v_cmp_u_f32_e32 vcc, v25, v25
	v_cmp_gt_f32_e64 s[0:1], s24, v25
	v_mov_b32_e32 v24, s24
	s_or_b64 vcc, vcc, s[0:1]
	v_cndmask_b32_e32 v27, v24, v25, vcc
	v_mov_b32_e32 v25, s11
	v_add_co_u32_e32 v24, vcc, s10, v16
	v_addc_co_u32_e32 v25, vcc, v15, v25, vcc
	global_store_dword v[24:25], v27, off
	s_or_b64 exec, exec, s[8:9]
	s_and_saveexec_b64 s[8:9], s[2:3]
	s_cbranch_execz .LBB122_14
.LBB122_18:                             ;   in Loop: Header=BB122_4 Depth=1
	s_waitcnt vmcnt(0)
	v_cmp_u_f32_e32 vcc, v26, v26
	v_cmp_gt_f32_e64 s[0:1], s24, v26
	v_mov_b32_e32 v24, s24
	s_or_b64 vcc, vcc, s[0:1]
	v_cndmask_b32_e32 v26, v24, v26, vcc
	v_mov_b32_e32 v25, s11
	v_add_co_u32_e32 v24, vcc, s10, v12
	v_addc_co_u32_e32 v25, vcc, v11, v25, vcc
	global_store_dword v[24:25], v26, off
	s_or_b64 exec, exec, s[8:9]
	s_and_saveexec_b64 s[2:3], s[6:7]
	s_cbranch_execz .LBB122_3
.LBB122_19:                             ;   in Loop: Header=BB122_4 Depth=1
	s_waitcnt vmcnt(0)
	v_cmp_u_f32_e32 vcc, v23, v23
	v_cmp_gt_f32_e64 s[0:1], s24, v23
	v_mov_b32_e32 v24, s24
	s_or_b64 vcc, vcc, s[0:1]
	v_cndmask_b32_e32 v23, v24, v23, vcc
	v_mov_b32_e32 v25, s11
	v_add_co_u32_e32 v24, vcc, s10, v8
	v_addc_co_u32_e32 v25, vcc, v7, v25, vcc
	global_store_dword v[24:25], v23, off
	s_branch .LBB122_3
.LBB122_20:
	s_mov_b64 s[0:1], 0
.LBB122_21:
	s_andn2_b64 vcc, exec, s[0:1]
	s_cbranch_vccnz .LBB122_25
; %bb.22:
	v_mov_b32_e32 v3, 0
	v_lshlrev_b32_e32 v2, 2, v0
	s_mov_b32 s0, 0
	v_cmp_gt_i64_e32 vcc, s[18:19], v[2:3]
	s_and_saveexec_b64 s[2:3], vcc
	s_cbranch_execz .LBB122_25
; %bb.23:
	s_load_dword s1, s[4:5], 0xc5c
	v_lshlrev_b32_e32 v1, 4, v0
	v_mov_b32_e32 v4, s11
	s_mov_b32 s25, s24
	s_mov_b64 s[20:21], 0
	s_waitcnt lgkmcnt(0)
	s_and_b32 s1, s1, 0xffff
	v_add_lshl_u32 v2, v0, s1, 2
	v_add_co_u32_e32 v0, vcc, s10, v1
	v_addc_co_u32_e32 v1, vcc, 0, v4, vcc
	v_add_co_u32_e32 v0, vcc, 8, v0
	s_lshl_b32 s26, s1, 2
	v_addc_co_u32_e32 v1, vcc, 0, v1, vcc
	s_lshl_b32 s27, s1, 4
	v_mov_b32_e32 v4, s15
	v_mov_b32_e32 v5, s17
	;; [unrolled: 1-line block ×4, first 2 shown]
	s_mov_b64 s[22:23], 0xffff
	v_mov_b32_e32 v8, s0
	v_mov_b32_e32 v9, s0
.LBB122_24:                             ; =>This Inner Loop Header: Depth=1
	v_add_co_u32_e32 v10, vcc, s14, v0
	v_addc_co_u32_e32 v11, vcc, v4, v1, vcc
	global_load_dwordx4 v[10:13], v[10:11], off offset:-8
	v_add_co_u32_e32 v14, vcc, s16, v0
	v_addc_co_u32_e32 v15, vcc, v5, v1, vcc
	v_cmp_le_i64_e32 vcc, s[18:19], v[2:3]
	v_cmp_lt_u64_e64 s[0:1], s[22:23], v[2:3]
	v_add_co_u32_e64 v2, s[2:3], s26, v2
	v_addc_co_u32_e64 v3, s[2:3], v3, v8, s[2:3]
	v_add_co_u32_e64 v0, s[2:3], s27, v0
	v_addc_co_u32_e64 v1, s[2:3], v1, v9, s[2:3]
	s_or_b64 s[28:29], vcc, s[0:1]
	s_waitcnt vmcnt(0)
	v_cmp_u_f32_e32 vcc, v11, v11
	v_cmp_gt_f32_e64 s[2:3], s25, v11
	v_cmp_u_f32_e64 s[0:1], v10, v10
	v_cmp_gt_f32_e64 s[4:5], s24, v10
	s_or_b64 vcc, vcc, s[2:3]
	v_cmp_u_f32_e64 s[6:7], v13, v13
	v_cmp_gt_f32_e64 s[10:11], s25, v13
	v_cndmask_b32_e32 v11, v6, v11, vcc
	s_or_b64 vcc, s[0:1], s[4:5]
	v_cmp_u_f32_e64 s[8:9], v12, v12
	v_cmp_gt_f32_e64 s[12:13], s24, v12
	v_cndmask_b32_e32 v10, v7, v10, vcc
	s_or_b64 vcc, s[6:7], s[10:11]
	v_cndmask_b32_e32 v13, v6, v13, vcc
	s_or_b64 vcc, s[8:9], s[12:13]
	s_and_b64 s[0:1], exec, s[28:29]
	v_cndmask_b32_e32 v12, v7, v12, vcc
	s_or_b64 s[20:21], s[0:1], s[20:21]
	global_store_dwordx4 v[14:15], v[10:13], off offset:-8
	s_andn2_b64 exec, exec, s[20:21]
	s_cbranch_execnz .LBB122_24
.LBB122_25:
	s_endpgm
	.section	.rodata,"a",@progbits
	.p2align	6, 0x0
	.amdhsa_kernel _ZN2at6native12_GLOBAL__N_125multi_tensor_apply_kernelINS1_18TensorListMetadataILi2EEENS1_21BinaryOpScalarFunctorIfLi2ELi1ELi1EEEJNS0_7minimumIfEEfEEEvT_T0_DpT1_
		.amdhsa_group_segment_fixed_size 0
		.amdhsa_private_segment_fixed_size 0
		.amdhsa_kernarg_size 3408
		.amdhsa_user_sgpr_count 6
		.amdhsa_user_sgpr_private_segment_buffer 1
		.amdhsa_user_sgpr_dispatch_ptr 0
		.amdhsa_user_sgpr_queue_ptr 0
		.amdhsa_user_sgpr_kernarg_segment_ptr 1
		.amdhsa_user_sgpr_dispatch_id 0
		.amdhsa_user_sgpr_flat_scratch_init 0
		.amdhsa_user_sgpr_kernarg_preload_length 0
		.amdhsa_user_sgpr_kernarg_preload_offset 0
		.amdhsa_user_sgpr_private_segment_size 0
		.amdhsa_uses_dynamic_stack 0
		.amdhsa_system_sgpr_private_segment_wavefront_offset 0
		.amdhsa_system_sgpr_workgroup_id_x 1
		.amdhsa_system_sgpr_workgroup_id_y 0
		.amdhsa_system_sgpr_workgroup_id_z 0
		.amdhsa_system_sgpr_workgroup_info 0
		.amdhsa_system_vgpr_workitem_id 0
		.amdhsa_next_free_vgpr 30
		.amdhsa_next_free_sgpr 30
		.amdhsa_accum_offset 32
		.amdhsa_reserve_vcc 1
		.amdhsa_reserve_flat_scratch 0
		.amdhsa_float_round_mode_32 0
		.amdhsa_float_round_mode_16_64 0
		.amdhsa_float_denorm_mode_32 3
		.amdhsa_float_denorm_mode_16_64 3
		.amdhsa_dx10_clamp 1
		.amdhsa_ieee_mode 1
		.amdhsa_fp16_overflow 0
		.amdhsa_tg_split 0
		.amdhsa_exception_fp_ieee_invalid_op 0
		.amdhsa_exception_fp_denorm_src 0
		.amdhsa_exception_fp_ieee_div_zero 0
		.amdhsa_exception_fp_ieee_overflow 0
		.amdhsa_exception_fp_ieee_underflow 0
		.amdhsa_exception_fp_ieee_inexact 0
		.amdhsa_exception_int_div_zero 0
	.end_amdhsa_kernel
	.section	.text._ZN2at6native12_GLOBAL__N_125multi_tensor_apply_kernelINS1_18TensorListMetadataILi2EEENS1_21BinaryOpScalarFunctorIfLi2ELi1ELi1EEEJNS0_7minimumIfEEfEEEvT_T0_DpT1_,"axG",@progbits,_ZN2at6native12_GLOBAL__N_125multi_tensor_apply_kernelINS1_18TensorListMetadataILi2EEENS1_21BinaryOpScalarFunctorIfLi2ELi1ELi1EEEJNS0_7minimumIfEEfEEEvT_T0_DpT1_,comdat
.Lfunc_end122:
	.size	_ZN2at6native12_GLOBAL__N_125multi_tensor_apply_kernelINS1_18TensorListMetadataILi2EEENS1_21BinaryOpScalarFunctorIfLi2ELi1ELi1EEEJNS0_7minimumIfEEfEEEvT_T0_DpT1_, .Lfunc_end122-_ZN2at6native12_GLOBAL__N_125multi_tensor_apply_kernelINS1_18TensorListMetadataILi2EEENS1_21BinaryOpScalarFunctorIfLi2ELi1ELi1EEEJNS0_7minimumIfEEfEEEvT_T0_DpT1_
                                        ; -- End function
	.section	.AMDGPU.csdata,"",@progbits
; Kernel info:
; codeLenInByte = 1428
; NumSgprs: 34
; NumVgprs: 30
; NumAgprs: 0
; TotalNumVgprs: 30
; ScratchSize: 0
; MemoryBound: 0
; FloatMode: 240
; IeeeMode: 1
; LDSByteSize: 0 bytes/workgroup (compile time only)
; SGPRBlocks: 4
; VGPRBlocks: 3
; NumSGPRsForWavesPerEU: 34
; NumVGPRsForWavesPerEU: 30
; AccumOffset: 32
; Occupancy: 8
; WaveLimiterHint : 0
; COMPUTE_PGM_RSRC2:SCRATCH_EN: 0
; COMPUTE_PGM_RSRC2:USER_SGPR: 6
; COMPUTE_PGM_RSRC2:TRAP_HANDLER: 0
; COMPUTE_PGM_RSRC2:TGID_X_EN: 1
; COMPUTE_PGM_RSRC2:TGID_Y_EN: 0
; COMPUTE_PGM_RSRC2:TGID_Z_EN: 0
; COMPUTE_PGM_RSRC2:TIDIG_COMP_CNT: 0
; COMPUTE_PGM_RSRC3_GFX90A:ACCUM_OFFSET: 7
; COMPUTE_PGM_RSRC3_GFX90A:TG_SPLIT: 0
	.section	.text._ZN2at6native12_GLOBAL__N_125multi_tensor_apply_kernelINS1_18TensorListMetadataILi2EEENS1_21BinaryOpScalarFunctorIN3c104HalfELi2ELi1ELi1EEEJNS0_7minimumIfEEfEEEvT_T0_DpT1_,"axG",@progbits,_ZN2at6native12_GLOBAL__N_125multi_tensor_apply_kernelINS1_18TensorListMetadataILi2EEENS1_21BinaryOpScalarFunctorIN3c104HalfELi2ELi1ELi1EEEJNS0_7minimumIfEEfEEEvT_T0_DpT1_,comdat
	.globl	_ZN2at6native12_GLOBAL__N_125multi_tensor_apply_kernelINS1_18TensorListMetadataILi2EEENS1_21BinaryOpScalarFunctorIN3c104HalfELi2ELi1ELi1EEEJNS0_7minimumIfEEfEEEvT_T0_DpT1_ ; -- Begin function _ZN2at6native12_GLOBAL__N_125multi_tensor_apply_kernelINS1_18TensorListMetadataILi2EEENS1_21BinaryOpScalarFunctorIN3c104HalfELi2ELi1ELi1EEEJNS0_7minimumIfEEfEEEvT_T0_DpT1_
	.p2align	8
	.type	_ZN2at6native12_GLOBAL__N_125multi_tensor_apply_kernelINS1_18TensorListMetadataILi2EEENS1_21BinaryOpScalarFunctorIN3c104HalfELi2ELi1ELi1EEEJNS0_7minimumIfEEfEEEvT_T0_DpT1_,@function
_ZN2at6native12_GLOBAL__N_125multi_tensor_apply_kernelINS1_18TensorListMetadataILi2EEENS1_21BinaryOpScalarFunctorIN3c104HalfELi2ELi1ELi1EEEJNS0_7minimumIfEEfEEEvT_T0_DpT1_: ; @_ZN2at6native12_GLOBAL__N_125multi_tensor_apply_kernelINS1_18TensorListMetadataILi2EEENS1_21BinaryOpScalarFunctorIN3c104HalfELi2ELi1ELi1EEEJNS0_7minimumIfEEfEEEvT_T0_DpT1_
; %bb.0:
	v_mov_b32_e32 v1, s6
	global_load_ubyte v1, v1, s[4:5] offset:1536
	s_add_u32 s0, s4, s6
	s_mul_hi_u32 s2, s6, 3
	s_mul_i32 s6, s6, 3
	s_addc_u32 s7, s5, 0
	s_add_u32 s6, s0, s6
	s_addc_u32 s7, s7, s2
	s_load_dword s6, s[6:7], 0x740
	s_mov_b32 s1, 0
	s_mov_b32 s13, s1
	;; [unrolled: 1-line block ×3, first 2 shown]
	s_waitcnt lgkmcnt(0)
	s_ashr_i32 s7, s6, 31
	s_lshl_b64 s[10:11], s[6:7], 17
	s_waitcnt vmcnt(0)
	v_readfirstlane_b32 s0, v1
	s_lshl_b32 s0, s0, 3
	s_load_dwordx2 s[14:15], s[4:5], s0 offset:0x0
	s_load_dword s24, s[4:5], 0xc4c
	s_load_dwordx2 s[8:9], s[4:5], s0 offset:0x400
	s_load_dwordx2 s[16:17], s[4:5], s0 offset:0x200
	s_waitcnt lgkmcnt(0)
	s_and_b32 s0, s14, 7
	s_and_b32 s12, s8, 3
	;; [unrolled: 1-line block ×3, first 2 shown]
	s_or_b64 s[0:1], s[0:1], s[12:13]
	s_or_b64 s[0:1], s[2:3], s[0:1]
	s_lshl_b64 s[2:3], s[6:7], 16
	s_sub_u32 s18, s8, s2
	s_subb_u32 s19, s9, s3
	s_cmp_eq_u64 s[0:1], 0
	s_mov_b64 s[0:1], -1
	s_cbranch_scc1 .LBB123_21
; %bb.1:
	v_cmp_lt_i64_e64 s[0:1], s[18:19], 1
	s_and_b64 vcc, exec, s[0:1]
	s_cbranch_vccnz .LBB123_20
; %bb.2:
	s_load_dword s0, s[4:5], 0xc5c
	v_mov_b32_e32 v2, 0x10000
	v_mov_b32_e32 v3, 0
	v_cmp_lt_u64_e32 vcc, s[18:19], v[2:3]
	v_lshlrev_b32_e32 v10, 1, v0
	s_waitcnt lgkmcnt(0)
	s_and_b32 s2, s0, 0xffff
	s_and_b64 s[0:1], vcc, exec
	v_mov_b32_e32 v13, s15
	v_add_co_u32_e32 v2, vcc, s14, v10
	v_addc_co_u32_e32 v1, vcc, 0, v13, vcc
	v_mov_b32_e32 v11, 0
	v_mov_b32_e32 v15, s17
	v_add_co_u32_e32 v4, vcc, s16, v10
	v_addc_co_u32_e32 v3, vcc, 0, v15, vcc
	v_mad_u64_u32 v[8:9], s[0:1], s2, 6, v[10:11]
	v_add_co_u32_e32 v6, vcc, s14, v8
	v_addc_co_u32_e32 v5, vcc, v13, v9, vcc
	v_add_co_u32_e32 v8, vcc, s16, v8
	s_mul_i32 s6, s2, 3
	v_addc_co_u32_e32 v7, vcc, v15, v9, vcc
	s_cselect_b32 s13, s19, 0
	s_cselect_b32 s12, s18, 0x10000
	s_lshl_b32 s26, s2, 2
	v_add_co_u32_e32 v18, vcc, s6, v0
	v_addc_co_u32_e64 v19, s[0:1], 0, 0, vcc
	v_add_co_u32_e32 v11, vcc, s26, v10
	v_addc_co_u32_e64 v14, s[0:1], 0, 0, vcc
	v_add_co_u32_e32 v10, vcc, s14, v11
	v_addc_co_u32_e32 v9, vcc, v13, v14, vcc
	v_add_co_u32_e32 v12, vcc, s16, v11
	s_lshl_b32 s3, s2, 1
	v_addc_co_u32_e32 v11, vcc, v15, v14, vcc
	v_add_co_u32_e32 v20, vcc, s3, v0
	v_addc_co_u32_e64 v21, s[0:1], 0, 0, vcc
	v_add_co_u32_e32 v22, vcc, s2, v0
	v_lshlrev_b32_e32 v16, 1, v22
	v_cvt_f16_f32_e32 v17, s24
	v_addc_co_u32_e64 v23, s[0:1], 0, 0, vcc
	v_add_co_u32_e32 v14, vcc, s14, v16
	v_addc_co_u32_e32 v13, vcc, 0, v13, vcc
	v_add_co_u32_e32 v16, vcc, s16, v16
	s_mov_b32 s25, 0
	s_lshl_b32 s27, s2, 3
	v_addc_co_u32_e32 v15, vcc, 0, v15, vcc
	s_mov_b64 s[20:21], 0
	s_branch .LBB123_4
.LBB123_3:                              ;   in Loop: Header=BB123_4 Depth=1
	s_or_b64 exec, exec, s[2:3]
	s_add_u32 s20, s20, s26
	s_addc_u32 s21, s21, 0
	s_waitcnt vmcnt(0)
	v_pk_mov_b32 v[24:25], s[18:19], s[18:19] op_sel:[0,1]
	v_cmp_lt_i64_e32 vcc, s[20:21], v[24:25]
	v_mov_b32_e32 v24, 0x10000
	v_mov_b32_e32 v25, 0
	v_cmp_lt_u64_e64 s[0:1], s[20:21], v[24:25]
	s_and_b64 s[0:1], vcc, s[0:1]
	v_mov_b32_e32 v24, s25
	v_add_co_u32_e32 v2, vcc, s27, v2
	v_addc_co_u32_e32 v1, vcc, v1, v24, vcc
	v_add_co_u32_e32 v4, vcc, s27, v4
	v_addc_co_u32_e32 v3, vcc, v3, v24, vcc
	;; [unrolled: 2-line block ×8, first 2 shown]
	s_and_b64 vcc, exec, s[0:1]
	s_cbranch_vccz .LBB123_20
.LBB123_4:                              ; =>This Inner Loop Header: Depth=1
	v_mov_b32_e32 v25, s21
	v_add_co_u32_e32 v24, vcc, s20, v0
	v_addc_co_u32_e32 v25, vcc, 0, v25, vcc
	v_cmp_gt_u64_e32 vcc, s[12:13], v[24:25]
	v_mov_b32_e32 v25, 0
	s_and_saveexec_b64 s[2:3], vcc
	s_cbranch_execz .LBB123_6
; %bb.5:                                ;   in Loop: Header=BB123_4 Depth=1
	v_mov_b32_e32 v25, s11
	v_add_co_u32_e64 v24, s[0:1], s10, v2
	v_addc_co_u32_e64 v25, s[0:1], v1, v25, s[0:1]
	global_load_ushort v25, v[24:25], off
.LBB123_6:                              ;   in Loop: Header=BB123_4 Depth=1
	s_or_b64 exec, exec, s[2:3]
	v_mov_b32_e32 v24, s21
	v_add_co_u32_e64 v26, s[0:1], s20, v22
	v_addc_co_u32_e64 v27, s[0:1], v23, v24, s[0:1]
	v_cmp_gt_u64_e64 s[0:1], s[12:13], v[26:27]
	v_mov_b32_e32 v26, 0
	s_and_saveexec_b64 s[6:7], s[0:1]
	s_cbranch_execz .LBB123_8
; %bb.7:                                ;   in Loop: Header=BB123_4 Depth=1
	v_mov_b32_e32 v24, s11
	v_add_co_u32_e64 v26, s[2:3], s10, v14
	v_addc_co_u32_e64 v27, s[2:3], v13, v24, s[2:3]
	global_load_ushort v26, v[26:27], off
.LBB123_8:                              ;   in Loop: Header=BB123_4 Depth=1
	s_or_b64 exec, exec, s[6:7]
	v_mov_b32_e32 v24, s21
	v_add_co_u32_e64 v28, s[2:3], s20, v20
	v_addc_co_u32_e64 v29, s[2:3], v21, v24, s[2:3]
	v_cmp_gt_u64_e64 s[2:3], s[12:13], v[28:29]
	v_mov_b32_e32 v24, 0
	v_mov_b32_e32 v27, 0
	s_and_saveexec_b64 s[8:9], s[2:3]
	s_cbranch_execz .LBB123_10
; %bb.9:                                ;   in Loop: Header=BB123_4 Depth=1
	v_mov_b32_e32 v27, s11
	v_add_co_u32_e64 v28, s[6:7], s10, v10
	v_addc_co_u32_e64 v29, s[6:7], v9, v27, s[6:7]
	global_load_ushort v27, v[28:29], off
.LBB123_10:                             ;   in Loop: Header=BB123_4 Depth=1
	s_or_b64 exec, exec, s[8:9]
	v_mov_b32_e32 v29, s21
	v_add_co_u32_e64 v28, s[6:7], s20, v18
	v_addc_co_u32_e64 v29, s[6:7], v19, v29, s[6:7]
	v_cmp_gt_u64_e64 s[6:7], s[12:13], v[28:29]
	s_and_saveexec_b64 s[22:23], s[6:7]
	s_cbranch_execnz .LBB123_15
; %bb.11:                               ;   in Loop: Header=BB123_4 Depth=1
	s_or_b64 exec, exec, s[22:23]
	s_and_saveexec_b64 s[22:23], vcc
	s_cbranch_execnz .LBB123_16
.LBB123_12:                             ;   in Loop: Header=BB123_4 Depth=1
	s_or_b64 exec, exec, s[22:23]
	s_and_saveexec_b64 s[8:9], s[0:1]
	s_cbranch_execnz .LBB123_17
.LBB123_13:                             ;   in Loop: Header=BB123_4 Depth=1
	s_or_b64 exec, exec, s[8:9]
	s_and_saveexec_b64 s[8:9], s[2:3]
	s_cbranch_execnz .LBB123_18
.LBB123_14:                             ;   in Loop: Header=BB123_4 Depth=1
	s_or_b64 exec, exec, s[8:9]
	s_and_saveexec_b64 s[2:3], s[6:7]
	s_cbranch_execz .LBB123_3
	s_branch .LBB123_19
.LBB123_15:                             ;   in Loop: Header=BB123_4 Depth=1
	v_mov_b32_e32 v24, s11
	v_add_co_u32_e64 v28, s[8:9], s10, v6
	v_addc_co_u32_e64 v29, s[8:9], v5, v24, s[8:9]
	global_load_ushort v24, v[28:29], off
	s_or_b64 exec, exec, s[22:23]
	s_and_saveexec_b64 s[22:23], vcc
	s_cbranch_execz .LBB123_12
.LBB123_16:                             ;   in Loop: Header=BB123_4 Depth=1
	s_waitcnt vmcnt(0)
	v_cvt_f32_f16_e32 v28, v25
	v_cmp_u_f16_e32 vcc, v25, v25
	v_mov_b32_e32 v29, s11
	v_cmp_gt_f32_e64 s[8:9], s24, v28
	s_or_b64 vcc, vcc, s[8:9]
	v_cndmask_b32_e32 v25, v17, v25, vcc
	v_add_co_u32_e32 v28, vcc, s10, v4
	v_addc_co_u32_e32 v29, vcc, v3, v29, vcc
	global_store_short v[28:29], v25, off
	s_or_b64 exec, exec, s[22:23]
	s_and_saveexec_b64 s[8:9], s[0:1]
	s_cbranch_execz .LBB123_13
.LBB123_17:                             ;   in Loop: Header=BB123_4 Depth=1
	s_waitcnt vmcnt(0)
	v_cvt_f32_f16_e32 v25, v26
	v_cmp_u_f16_e32 vcc, v26, v26
	v_mov_b32_e32 v29, s11
	v_cmp_gt_f32_e64 s[0:1], s24, v25
	s_or_b64 vcc, vcc, s[0:1]
	v_cndmask_b32_e32 v25, v17, v26, vcc
	v_add_co_u32_e32 v28, vcc, s10, v16
	v_addc_co_u32_e32 v29, vcc, v15, v29, vcc
	global_store_short v[28:29], v25, off
	s_or_b64 exec, exec, s[8:9]
	s_and_saveexec_b64 s[8:9], s[2:3]
	s_cbranch_execz .LBB123_14
.LBB123_18:                             ;   in Loop: Header=BB123_4 Depth=1
	s_waitcnt vmcnt(0)
	v_cvt_f32_f16_e32 v25, v27
	v_cmp_u_f16_e32 vcc, v27, v27
	v_mov_b32_e32 v28, s11
	v_cmp_gt_f32_e64 s[0:1], s24, v25
	s_or_b64 vcc, vcc, s[0:1]
	v_cndmask_b32_e32 v25, v17, v27, vcc
	v_add_co_u32_e32 v26, vcc, s10, v12
	v_addc_co_u32_e32 v27, vcc, v11, v28, vcc
	global_store_short v[26:27], v25, off
	s_or_b64 exec, exec, s[8:9]
	s_and_saveexec_b64 s[2:3], s[6:7]
	s_cbranch_execz .LBB123_3
.LBB123_19:                             ;   in Loop: Header=BB123_4 Depth=1
	s_waitcnt vmcnt(0)
	v_cvt_f32_f16_e32 v25, v24
	v_cmp_u_f16_e32 vcc, v24, v24
	v_mov_b32_e32 v26, s11
	v_cmp_gt_f32_e64 s[0:1], s24, v25
	s_or_b64 vcc, vcc, s[0:1]
	v_cndmask_b32_e32 v27, v17, v24, vcc
	v_add_co_u32_e32 v24, vcc, s10, v8
	v_addc_co_u32_e32 v25, vcc, v7, v26, vcc
	global_store_short v[24:25], v27, off
	s_branch .LBB123_3
.LBB123_20:
	s_mov_b64 s[0:1], 0
.LBB123_21:
	s_andn2_b64 vcc, exec, s[0:1]
	s_cbranch_vccnz .LBB123_25
; %bb.22:
	v_mov_b32_e32 v3, 0
	v_lshlrev_b32_e32 v2, 2, v0
	s_mov_b32 s0, 0
	v_cmp_gt_i64_e32 vcc, s[18:19], v[2:3]
	s_and_saveexec_b64 s[2:3], vcc
	s_cbranch_execz .LBB123_25
; %bb.23:
	s_load_dword s1, s[4:5], 0xc5c
	v_cvt_f16_f32_e32 v1, s24
	v_mov_b32_e32 v2, s11
	s_mov_b32 s25, s24
	s_mov_b32 s26, s24
	v_pack_b32_f16 v5, v1, v1
	v_lshlrev_b32_e32 v1, 3, v0
	s_waitcnt lgkmcnt(0)
	s_and_b32 s1, s1, 0xffff
	v_add_co_u32_e32 v4, vcc, s10, v1
	s_mov_b32 s27, s24
	v_addc_co_u32_e32 v1, vcc, 0, v2, vcc
	s_lshl_b32 s28, s1, 3
	v_add_lshl_u32 v2, v0, s1, 2
	s_lshl_b32 s29, s1, 2
	s_mov_b64 s[20:21], 0
	v_mov_b32_e32 v0, s15
	v_mov_b32_e32 v6, s17
	v_lshrrev_b32_e32 v7, 16, v5
	s_mov_b32 s15, 0x5040100
	s_mov_b64 s[22:23], 0xffff
	v_mov_b32_e32 v8, s0
	v_mov_b32_e32 v9, s0
.LBB123_24:                             ; =>This Inner Loop Header: Depth=1
	v_add_co_u32_e32 v10, vcc, s14, v4
	v_addc_co_u32_e32 v11, vcc, v0, v1, vcc
	global_load_dwordx2 v[10:11], v[10:11], off
	v_add_co_u32_e32 v12, vcc, s16, v4
	v_addc_co_u32_e32 v13, vcc, v6, v1, vcc
	v_add_co_u32_e64 v4, s[2:3], s28, v4
	v_cmp_le_i64_e32 vcc, s[18:19], v[2:3]
	v_cmp_lt_u64_e64 s[0:1], s[22:23], v[2:3]
	v_addc_co_u32_e64 v1, s[2:3], v1, v8, s[2:3]
	v_add_co_u32_e64 v2, s[2:3], s29, v2
	s_or_b64 s[30:31], vcc, s[0:1]
	v_addc_co_u32_e64 v3, s[2:3], v3, v9, s[2:3]
	s_waitcnt vmcnt(0)
	v_cvt_f32_f16_e32 v17, v11
	v_lshrrev_b32_e32 v15, 16, v11
	v_cvt_f32_f16_e32 v16, v10
	v_lshrrev_b32_e32 v14, 16, v10
	v_cvt_f32_f16_e32 v19, v15
	v_cvt_f32_f16_e32 v18, v14
	v_cmp_u_f16_e32 vcc, v11, v11
	v_cmp_gt_f32_e64 s[6:7], s26, v17
	v_cmp_u_f16_e64 s[0:1], v10, v10
	v_cmp_gt_f32_e64 s[8:9], s24, v16
	s_or_b64 vcc, vcc, s[6:7]
	v_cmp_u_f16_e64 s[2:3], v15, v15
	v_cmp_gt_f32_e64 s[10:11], s27, v19
	v_cndmask_b32_e32 v11, v5, v11, vcc
	s_or_b64 vcc, s[0:1], s[8:9]
	v_cmp_u_f16_e64 s[4:5], v14, v14
	v_cmp_gt_f32_e64 s[12:13], s25, v18
	v_cndmask_b32_e32 v10, v5, v10, vcc
	s_or_b64 vcc, s[2:3], s[10:11]
	v_cndmask_b32_e32 v15, v7, v15, vcc
	s_or_b64 vcc, s[4:5], s[12:13]
	v_cndmask_b32_e32 v14, v7, v14, vcc
	s_and_b64 s[0:1], exec, s[30:31]
	v_perm_b32 v11, v15, v11, s15
	v_perm_b32 v10, v14, v10, s15
	s_or_b64 s[20:21], s[0:1], s[20:21]
	global_store_dwordx2 v[12:13], v[10:11], off
	s_andn2_b64 exec, exec, s[20:21]
	s_cbranch_execnz .LBB123_24
.LBB123_25:
	s_endpgm
	.section	.rodata,"a",@progbits
	.p2align	6, 0x0
	.amdhsa_kernel _ZN2at6native12_GLOBAL__N_125multi_tensor_apply_kernelINS1_18TensorListMetadataILi2EEENS1_21BinaryOpScalarFunctorIN3c104HalfELi2ELi1ELi1EEEJNS0_7minimumIfEEfEEEvT_T0_DpT1_
		.amdhsa_group_segment_fixed_size 0
		.amdhsa_private_segment_fixed_size 0
		.amdhsa_kernarg_size 3408
		.amdhsa_user_sgpr_count 6
		.amdhsa_user_sgpr_private_segment_buffer 1
		.amdhsa_user_sgpr_dispatch_ptr 0
		.amdhsa_user_sgpr_queue_ptr 0
		.amdhsa_user_sgpr_kernarg_segment_ptr 1
		.amdhsa_user_sgpr_dispatch_id 0
		.amdhsa_user_sgpr_flat_scratch_init 0
		.amdhsa_user_sgpr_kernarg_preload_length 0
		.amdhsa_user_sgpr_kernarg_preload_offset 0
		.amdhsa_user_sgpr_private_segment_size 0
		.amdhsa_uses_dynamic_stack 0
		.amdhsa_system_sgpr_private_segment_wavefront_offset 0
		.amdhsa_system_sgpr_workgroup_id_x 1
		.amdhsa_system_sgpr_workgroup_id_y 0
		.amdhsa_system_sgpr_workgroup_id_z 0
		.amdhsa_system_sgpr_workgroup_info 0
		.amdhsa_system_vgpr_workitem_id 0
		.amdhsa_next_free_vgpr 30
		.amdhsa_next_free_sgpr 32
		.amdhsa_accum_offset 32
		.amdhsa_reserve_vcc 1
		.amdhsa_reserve_flat_scratch 0
		.amdhsa_float_round_mode_32 0
		.amdhsa_float_round_mode_16_64 0
		.amdhsa_float_denorm_mode_32 3
		.amdhsa_float_denorm_mode_16_64 3
		.amdhsa_dx10_clamp 1
		.amdhsa_ieee_mode 1
		.amdhsa_fp16_overflow 0
		.amdhsa_tg_split 0
		.amdhsa_exception_fp_ieee_invalid_op 0
		.amdhsa_exception_fp_denorm_src 0
		.amdhsa_exception_fp_ieee_div_zero 0
		.amdhsa_exception_fp_ieee_overflow 0
		.amdhsa_exception_fp_ieee_underflow 0
		.amdhsa_exception_fp_ieee_inexact 0
		.amdhsa_exception_int_div_zero 0
	.end_amdhsa_kernel
	.section	.text._ZN2at6native12_GLOBAL__N_125multi_tensor_apply_kernelINS1_18TensorListMetadataILi2EEENS1_21BinaryOpScalarFunctorIN3c104HalfELi2ELi1ELi1EEEJNS0_7minimumIfEEfEEEvT_T0_DpT1_,"axG",@progbits,_ZN2at6native12_GLOBAL__N_125multi_tensor_apply_kernelINS1_18TensorListMetadataILi2EEENS1_21BinaryOpScalarFunctorIN3c104HalfELi2ELi1ELi1EEEJNS0_7minimumIfEEfEEEvT_T0_DpT1_,comdat
.Lfunc_end123:
	.size	_ZN2at6native12_GLOBAL__N_125multi_tensor_apply_kernelINS1_18TensorListMetadataILi2EEENS1_21BinaryOpScalarFunctorIN3c104HalfELi2ELi1ELi1EEEJNS0_7minimumIfEEfEEEvT_T0_DpT1_, .Lfunc_end123-_ZN2at6native12_GLOBAL__N_125multi_tensor_apply_kernelINS1_18TensorListMetadataILi2EEENS1_21BinaryOpScalarFunctorIN3c104HalfELi2ELi1ELi1EEEJNS0_7minimumIfEEfEEEvT_T0_DpT1_
                                        ; -- End function
	.section	.AMDGPU.csdata,"",@progbits
; Kernel info:
; codeLenInByte = 1484
; NumSgprs: 36
; NumVgprs: 30
; NumAgprs: 0
; TotalNumVgprs: 30
; ScratchSize: 0
; MemoryBound: 0
; FloatMode: 240
; IeeeMode: 1
; LDSByteSize: 0 bytes/workgroup (compile time only)
; SGPRBlocks: 4
; VGPRBlocks: 3
; NumSGPRsForWavesPerEU: 36
; NumVGPRsForWavesPerEU: 30
; AccumOffset: 32
; Occupancy: 8
; WaveLimiterHint : 0
; COMPUTE_PGM_RSRC2:SCRATCH_EN: 0
; COMPUTE_PGM_RSRC2:USER_SGPR: 6
; COMPUTE_PGM_RSRC2:TRAP_HANDLER: 0
; COMPUTE_PGM_RSRC2:TGID_X_EN: 1
; COMPUTE_PGM_RSRC2:TGID_Y_EN: 0
; COMPUTE_PGM_RSRC2:TGID_Z_EN: 0
; COMPUTE_PGM_RSRC2:TIDIG_COMP_CNT: 0
; COMPUTE_PGM_RSRC3_GFX90A:ACCUM_OFFSET: 7
; COMPUTE_PGM_RSRC3_GFX90A:TG_SPLIT: 0
	.section	.text._ZN2at6native12_GLOBAL__N_125multi_tensor_apply_kernelINS1_18TensorListMetadataILi2EEENS1_21BinaryOpScalarFunctorIN3c108BFloat16ELi2ELi1ELi1EEEJNS0_7minimumIfEEfEEEvT_T0_DpT1_,"axG",@progbits,_ZN2at6native12_GLOBAL__N_125multi_tensor_apply_kernelINS1_18TensorListMetadataILi2EEENS1_21BinaryOpScalarFunctorIN3c108BFloat16ELi2ELi1ELi1EEEJNS0_7minimumIfEEfEEEvT_T0_DpT1_,comdat
	.globl	_ZN2at6native12_GLOBAL__N_125multi_tensor_apply_kernelINS1_18TensorListMetadataILi2EEENS1_21BinaryOpScalarFunctorIN3c108BFloat16ELi2ELi1ELi1EEEJNS0_7minimumIfEEfEEEvT_T0_DpT1_ ; -- Begin function _ZN2at6native12_GLOBAL__N_125multi_tensor_apply_kernelINS1_18TensorListMetadataILi2EEENS1_21BinaryOpScalarFunctorIN3c108BFloat16ELi2ELi1ELi1EEEJNS0_7minimumIfEEfEEEvT_T0_DpT1_
	.p2align	8
	.type	_ZN2at6native12_GLOBAL__N_125multi_tensor_apply_kernelINS1_18TensorListMetadataILi2EEENS1_21BinaryOpScalarFunctorIN3c108BFloat16ELi2ELi1ELi1EEEJNS0_7minimumIfEEfEEEvT_T0_DpT1_,@function
_ZN2at6native12_GLOBAL__N_125multi_tensor_apply_kernelINS1_18TensorListMetadataILi2EEENS1_21BinaryOpScalarFunctorIN3c108BFloat16ELi2ELi1ELi1EEEJNS0_7minimumIfEEfEEEvT_T0_DpT1_: ; @_ZN2at6native12_GLOBAL__N_125multi_tensor_apply_kernelINS1_18TensorListMetadataILi2EEENS1_21BinaryOpScalarFunctorIN3c108BFloat16ELi2ELi1ELi1EEEJNS0_7minimumIfEEfEEEvT_T0_DpT1_
; %bb.0:
	v_mov_b32_e32 v1, s6
	global_load_ubyte v1, v1, s[4:5] offset:1536
	s_add_u32 s0, s4, s6
	s_mul_hi_u32 s2, s6, 3
	s_mul_i32 s6, s6, 3
	s_addc_u32 s7, s5, 0
	s_add_u32 s6, s0, s6
	s_addc_u32 s7, s7, s2
	s_load_dword s6, s[6:7], 0x740
	s_mov_b32 s1, 0
	s_mov_b32 s15, s1
	;; [unrolled: 1-line block ×3, first 2 shown]
	s_waitcnt lgkmcnt(0)
	s_ashr_i32 s7, s6, 31
	s_lshl_b64 s[16:17], s[6:7], 17
	s_waitcnt vmcnt(0)
	v_readfirstlane_b32 s0, v1
	s_lshl_b32 s0, s0, 3
	s_load_dwordx2 s[10:11], s[4:5], s0 offset:0x0
	s_load_dword s24, s[4:5], 0xc4c
	s_load_dwordx2 s[8:9], s[4:5], s0 offset:0x400
	s_load_dwordx2 s[12:13], s[4:5], s0 offset:0x200
	s_waitcnt lgkmcnt(0)
	s_and_b32 s0, s10, 7
	s_and_b32 s14, s8, 3
	;; [unrolled: 1-line block ×3, first 2 shown]
	s_or_b64 s[0:1], s[0:1], s[14:15]
	s_or_b64 s[0:1], s[2:3], s[0:1]
	s_lshl_b64 s[2:3], s[6:7], 16
	s_sub_u32 s14, s8, s2
	s_subb_u32 s15, s9, s3
	s_cmp_eq_u64 s[0:1], 0
	s_mov_b64 s[0:1], -1
	s_cbranch_scc1 .LBB124_21
; %bb.1:
	v_cmp_lt_i64_e64 s[0:1], s[14:15], 1
	s_and_b64 vcc, exec, s[0:1]
	s_cbranch_vccnz .LBB124_20
; %bb.2:
	s_load_dword s0, s[4:5], 0xc5c
	v_mov_b32_e32 v2, 0x10000
	v_mov_b32_e32 v3, 0
	v_cmp_lt_u64_e32 vcc, s[14:15], v[2:3]
	v_lshlrev_b32_e32 v10, 1, v0
	s_waitcnt lgkmcnt(0)
	s_and_b32 s2, s0, 0xffff
	s_and_b64 s[0:1], vcc, exec
	v_mov_b32_e32 v13, s11
	v_add_co_u32_e32 v2, vcc, s10, v10
	v_addc_co_u32_e32 v1, vcc, 0, v13, vcc
	v_mov_b32_e32 v11, 0
	v_mov_b32_e32 v15, s13
	v_add_co_u32_e32 v4, vcc, s12, v10
	v_addc_co_u32_e32 v3, vcc, 0, v15, vcc
	v_mad_u64_u32 v[8:9], s[0:1], s2, 6, v[10:11]
	v_add_co_u32_e32 v6, vcc, s10, v8
	v_addc_co_u32_e32 v5, vcc, v13, v9, vcc
	v_add_co_u32_e32 v8, vcc, s12, v8
	s_mul_i32 s6, s2, 3
	v_addc_co_u32_e32 v7, vcc, v15, v9, vcc
	s_cselect_b32 s19, s15, 0
	s_cselect_b32 s18, s14, 0x10000
	s_lshl_b32 s26, s2, 2
	v_add_co_u32_e32 v17, vcc, s6, v0
	v_addc_co_u32_e64 v18, s[0:1], 0, 0, vcc
	v_add_co_u32_e32 v11, vcc, s26, v10
	v_addc_co_u32_e64 v14, s[0:1], 0, 0, vcc
	v_add_co_u32_e32 v10, vcc, s10, v11
	v_addc_co_u32_e32 v9, vcc, v13, v14, vcc
	v_add_co_u32_e32 v12, vcc, s12, v11
	s_lshl_b32 s3, s2, 1
	v_addc_co_u32_e32 v11, vcc, v15, v14, vcc
	v_add_co_u32_e32 v19, vcc, s3, v0
	v_addc_co_u32_e64 v20, s[0:1], 0, 0, vcc
	v_add_co_u32_e32 v21, vcc, s2, v0
	v_lshlrev_b32_e32 v16, 1, v21
	v_addc_co_u32_e64 v22, s[0:1], 0, 0, vcc
	v_add_co_u32_e32 v14, vcc, s10, v16
	v_addc_co_u32_e32 v13, vcc, 0, v13, vcc
	v_add_co_u32_e32 v16, vcc, s12, v16
	s_mov_b32 s25, 0
	s_lshl_b32 s27, s2, 3
	v_addc_co_u32_e32 v15, vcc, 0, v15, vcc
	s_mov_b64 s[20:21], 0
	s_movk_i32 s28, 0x7fff
	v_mov_b32_e32 v23, 0x7fc0
	s_branch .LBB124_4
.LBB124_3:                              ;   in Loop: Header=BB124_4 Depth=1
	s_or_b64 exec, exec, s[2:3]
	s_add_u32 s20, s20, s26
	s_addc_u32 s21, s21, 0
	s_waitcnt vmcnt(0)
	v_pk_mov_b32 v[24:25], s[14:15], s[14:15] op_sel:[0,1]
	v_cmp_lt_i64_e32 vcc, s[20:21], v[24:25]
	v_mov_b32_e32 v24, 0x10000
	v_mov_b32_e32 v25, 0
	v_cmp_lt_u64_e64 s[0:1], s[20:21], v[24:25]
	s_and_b64 s[0:1], vcc, s[0:1]
	v_mov_b32_e32 v24, s25
	v_add_co_u32_e32 v2, vcc, s27, v2
	v_addc_co_u32_e32 v1, vcc, v1, v24, vcc
	v_add_co_u32_e32 v4, vcc, s27, v4
	v_addc_co_u32_e32 v3, vcc, v3, v24, vcc
	;; [unrolled: 2-line block ×8, first 2 shown]
	s_and_b64 vcc, exec, s[0:1]
	s_cbranch_vccz .LBB124_20
.LBB124_4:                              ; =>This Inner Loop Header: Depth=1
	v_mov_b32_e32 v25, s21
	v_add_co_u32_e32 v24, vcc, s20, v0
	v_addc_co_u32_e32 v25, vcc, 0, v25, vcc
	v_cmp_gt_u64_e64 s[6:7], s[18:19], v[24:25]
	v_mov_b32_e32 v25, 0
	s_and_saveexec_b64 s[0:1], s[6:7]
	s_cbranch_execz .LBB124_6
; %bb.5:                                ;   in Loop: Header=BB124_4 Depth=1
	v_mov_b32_e32 v25, s17
	v_add_co_u32_e32 v24, vcc, s16, v2
	v_addc_co_u32_e32 v25, vcc, v1, v25, vcc
	global_load_ushort v25, v[24:25], off
.LBB124_6:                              ;   in Loop: Header=BB124_4 Depth=1
	s_or_b64 exec, exec, s[0:1]
	v_mov_b32_e32 v24, s21
	v_add_co_u32_e32 v26, vcc, s20, v21
	v_addc_co_u32_e32 v27, vcc, v22, v24, vcc
	v_cmp_gt_u64_e64 s[2:3], s[18:19], v[26:27]
	v_mov_b32_e32 v27, 0
	s_and_saveexec_b64 s[0:1], s[2:3]
	s_cbranch_execz .LBB124_8
; %bb.7:                                ;   in Loop: Header=BB124_4 Depth=1
	v_mov_b32_e32 v24, s17
	v_add_co_u32_e32 v26, vcc, s16, v14
	v_addc_co_u32_e32 v27, vcc, v13, v24, vcc
	global_load_ushort v27, v[26:27], off
.LBB124_8:                              ;   in Loop: Header=BB124_4 Depth=1
	s_or_b64 exec, exec, s[0:1]
	v_mov_b32_e32 v24, s21
	v_add_co_u32_e32 v28, vcc, s20, v19
	v_addc_co_u32_e32 v29, vcc, v20, v24, vcc
	v_cmp_gt_u64_e64 s[0:1], s[18:19], v[28:29]
	v_mov_b32_e32 v24, 0
	v_mov_b32_e32 v26, 0
	s_and_saveexec_b64 s[8:9], s[0:1]
	s_cbranch_execz .LBB124_10
; %bb.9:                                ;   in Loop: Header=BB124_4 Depth=1
	v_mov_b32_e32 v26, s17
	v_add_co_u32_e32 v28, vcc, s16, v10
	v_addc_co_u32_e32 v29, vcc, v9, v26, vcc
	global_load_ushort v26, v[28:29], off
.LBB124_10:                             ;   in Loop: Header=BB124_4 Depth=1
	s_or_b64 exec, exec, s[8:9]
	v_mov_b32_e32 v29, s21
	v_add_co_u32_e32 v28, vcc, s20, v17
	v_addc_co_u32_e32 v29, vcc, v18, v29, vcc
	v_cmp_gt_u64_e32 vcc, s[18:19], v[28:29]
	s_and_saveexec_b64 s[22:23], vcc
	s_cbranch_execnz .LBB124_15
; %bb.11:                               ;   in Loop: Header=BB124_4 Depth=1
	s_or_b64 exec, exec, s[22:23]
	s_and_saveexec_b64 s[22:23], s[6:7]
	s_cbranch_execnz .LBB124_16
.LBB124_12:                             ;   in Loop: Header=BB124_4 Depth=1
	s_or_b64 exec, exec, s[22:23]
	s_and_saveexec_b64 s[8:9], s[2:3]
	s_cbranch_execnz .LBB124_17
.LBB124_13:                             ;   in Loop: Header=BB124_4 Depth=1
	s_or_b64 exec, exec, s[8:9]
	s_and_saveexec_b64 s[6:7], s[0:1]
	s_cbranch_execnz .LBB124_18
.LBB124_14:                             ;   in Loop: Header=BB124_4 Depth=1
	s_or_b64 exec, exec, s[6:7]
	s_and_saveexec_b64 s[2:3], vcc
	s_cbranch_execz .LBB124_3
	s_branch .LBB124_19
.LBB124_15:                             ;   in Loop: Header=BB124_4 Depth=1
	v_mov_b32_e32 v24, s17
	v_add_co_u32_e64 v28, s[8:9], s16, v6
	v_addc_co_u32_e64 v29, s[8:9], v5, v24, s[8:9]
	global_load_ushort v24, v[28:29], off
	s_or_b64 exec, exec, s[22:23]
	s_and_saveexec_b64 s[22:23], s[6:7]
	s_cbranch_execz .LBB124_12
.LBB124_16:                             ;   in Loop: Header=BB124_4 Depth=1
	v_mov_b32_e32 v29, s17
	v_add_co_u32_e64 v28, s[6:7], s16, v4
	v_addc_co_u32_e64 v29, s[6:7], v3, v29, s[6:7]
	s_waitcnt vmcnt(0)
	v_lshlrev_b32_e32 v25, 16, v25
	v_cmp_u_f32_e64 s[6:7], v25, v25
	v_cmp_gt_f32_e64 s[8:9], s24, v25
	v_mov_b32_e32 v30, s24
	s_or_b64 s[6:7], s[6:7], s[8:9]
	v_cndmask_b32_e64 v25, v30, v25, s[6:7]
	v_bfe_u32 v30, v25, 16, 1
	v_add3_u32 v30, v25, v30, s28
	v_lshrrev_b32_e32 v30, 16, v30
	v_cmp_o_f32_e64 s[6:7], v25, v25
	v_cndmask_b32_e64 v25, v23, v30, s[6:7]
	global_store_short v[28:29], v25, off
	s_or_b64 exec, exec, s[22:23]
	s_and_saveexec_b64 s[8:9], s[2:3]
	s_cbranch_execz .LBB124_13
.LBB124_17:                             ;   in Loop: Header=BB124_4 Depth=1
	s_waitcnt vmcnt(0)
	v_lshlrev_b32_e32 v25, 16, v27
	v_cmp_u_f32_e64 s[2:3], v25, v25
	v_cmp_gt_f32_e64 s[6:7], s24, v25
	v_mov_b32_e32 v27, s24
	s_or_b64 s[2:3], s[2:3], s[6:7]
	v_cndmask_b32_e64 v25, v27, v25, s[2:3]
	v_bfe_u32 v27, v25, 16, 1
	v_add3_u32 v27, v25, v27, s28
	v_lshrrev_b32_e32 v27, 16, v27
	v_cmp_o_f32_e64 s[2:3], v25, v25
	v_cndmask_b32_e64 v25, v23, v27, s[2:3]
	v_mov_b32_e32 v27, s17
	v_add_co_u32_e64 v28, s[2:3], s16, v16
	v_addc_co_u32_e64 v29, s[2:3], v15, v27, s[2:3]
	global_store_short v[28:29], v25, off
	s_or_b64 exec, exec, s[8:9]
	s_and_saveexec_b64 s[6:7], s[0:1]
	s_cbranch_execz .LBB124_14
.LBB124_18:                             ;   in Loop: Header=BB124_4 Depth=1
	s_waitcnt vmcnt(0)
	v_lshlrev_b32_e32 v25, 16, v26
	v_cmp_u_f32_e64 s[0:1], v25, v25
	v_cmp_gt_f32_e64 s[2:3], s24, v25
	v_mov_b32_e32 v26, s24
	s_or_b64 s[0:1], s[0:1], s[2:3]
	v_cndmask_b32_e64 v25, v26, v25, s[0:1]
	v_bfe_u32 v26, v25, 16, 1
	v_add3_u32 v26, v25, v26, s28
	v_lshrrev_b32_e32 v26, 16, v26
	v_cmp_o_f32_e64 s[0:1], v25, v25
	v_cndmask_b32_e64 v25, v23, v26, s[0:1]
	v_mov_b32_e32 v27, s17
	v_add_co_u32_e64 v26, s[0:1], s16, v12
	v_addc_co_u32_e64 v27, s[0:1], v11, v27, s[0:1]
	global_store_short v[26:27], v25, off
	s_or_b64 exec, exec, s[6:7]
	s_and_saveexec_b64 s[2:3], vcc
	s_cbranch_execz .LBB124_3
.LBB124_19:                             ;   in Loop: Header=BB124_4 Depth=1
	s_waitcnt vmcnt(0)
	v_lshlrev_b32_e32 v24, 16, v24
	v_cmp_u_f32_e32 vcc, v24, v24
	v_cmp_gt_f32_e64 s[0:1], s24, v24
	v_mov_b32_e32 v25, s24
	s_or_b64 vcc, vcc, s[0:1]
	v_cndmask_b32_e32 v24, v25, v24, vcc
	v_bfe_u32 v25, v24, 16, 1
	v_add3_u32 v25, v24, v25, s28
	v_lshrrev_b32_e32 v25, 16, v25
	v_cmp_o_f32_e32 vcc, v24, v24
	v_cndmask_b32_e32 v26, v23, v25, vcc
	v_mov_b32_e32 v25, s17
	v_add_co_u32_e32 v24, vcc, s16, v8
	v_addc_co_u32_e32 v25, vcc, v7, v25, vcc
	global_store_short v[24:25], v26, off
	s_branch .LBB124_3
.LBB124_20:
	s_mov_b64 s[0:1], 0
.LBB124_21:
	s_andn2_b64 vcc, exec, s[0:1]
	s_cbranch_vccnz .LBB124_25
; %bb.22:
	v_mov_b32_e32 v3, 0
	v_lshlrev_b32_e32 v2, 2, v0
	s_mov_b32 s0, 0
	v_cmp_gt_i64_e32 vcc, s[14:15], v[2:3]
	s_and_saveexec_b64 s[2:3], vcc
	s_cbranch_execz .LBB124_25
; %bb.23:
	s_load_dword s1, s[4:5], 0xc5c
	v_lshlrev_b32_e32 v1, 3, v0
	v_mov_b32_e32 v2, s17
	v_add_co_u32_e32 v4, vcc, s16, v1
	s_waitcnt lgkmcnt(0)
	s_and_b32 s1, s1, 0xffff
	v_addc_co_u32_e32 v1, vcc, 0, v2, vcc
	s_lshl_b32 s20, s1, 3
	v_add_lshl_u32 v2, v0, s1, 2
	s_lshl_b32 s21, s1, 2
	s_mov_b64 s[16:17], 0
	v_mov_b32_e32 v0, s11
	v_mov_b32_e32 v5, s24
	s_movk_i32 s11, 0x7fff
	v_mov_b32_e32 v6, s13
	v_mov_b32_e32 v7, 0x7fc00000
	;; [unrolled: 1-line block ×3, first 2 shown]
	s_mov_b64 s[18:19], 0xffff
	v_mov_b32_e32 v9, s0
	v_mov_b32_e32 v10, s0
.LBB124_24:                             ; =>This Inner Loop Header: Depth=1
	v_add_co_u32_e32 v12, vcc, s10, v4
	v_addc_co_u32_e32 v13, vcc, v0, v1, vcc
	global_load_dwordx2 v[12:13], v[12:13], off
	v_add_co_u32_e32 v14, vcc, s12, v4
	v_add_co_u32_e64 v4, s[2:3], s20, v4
	v_addc_co_u32_e32 v15, vcc, v6, v1, vcc
	v_addc_co_u32_e64 v1, s[2:3], v1, v9, s[2:3]
	v_cmp_le_i64_e32 vcc, s[14:15], v[2:3]
	v_cmp_lt_u64_e64 s[0:1], s[18:19], v[2:3]
	v_add_co_u32_e64 v2, s[2:3], s21, v2
	v_addc_co_u32_e64 v3, s[2:3], v3, v10, s[2:3]
	s_or_b64 s[22:23], vcc, s[0:1]
	s_waitcnt vmcnt(0)
	v_lshlrev_b32_e32 v11, 16, v12
	v_and_b32_e32 v16, 0xffff0000, v12
	v_cmp_u_f32_e32 vcc, v11, v11
	v_cmp_gt_f32_e64 s[0:1], s24, v11
	v_alignbit_b32 v12, v13, v12, 16
	v_cmp_u_f32_e64 s[2:3], v16, v16
	v_cmp_gt_f32_e64 s[4:5], s24, v16
	s_or_b64 vcc, vcc, s[0:1]
	v_and_b32_e32 v13, 0xffff0000, v13
	v_and_b32_e32 v12, 0xffff0000, v12
	v_cndmask_b32_e32 v11, v5, v11, vcc
	s_or_b64 vcc, s[2:3], s[4:5]
	v_cmp_u_f32_e64 s[6:7], v13, v13
	v_cmp_gt_f32_e64 s[8:9], s24, v13
	v_cndmask_b32_e32 v16, v5, v16, vcc
	v_cmp_u_f32_e32 vcc, v12, v12
	v_cmp_gt_f32_e64 s[0:1], s24, v12
	s_or_b64 s[2:3], s[6:7], s[8:9]
	s_or_b64 vcc, vcc, s[0:1]
	v_cndmask_b32_e64 v13, v5, v13, s[2:3]
	v_bfe_u32 v17, v11, 16, 1
	v_bfe_u32 v18, v16, 16, 1
	v_cndmask_b32_e32 v12, v5, v12, vcc
	v_bfe_u32 v19, v13, 16, 1
	v_add3_u32 v17, v11, v17, s11
	v_add3_u32 v18, v16, v18, s11
	v_bfe_u32 v20, v12, 16, 1
	v_add3_u32 v19, v13, v19, s11
	s_and_b64 s[2:3], exec, s[22:23]
	v_lshrrev_b32_e32 v17, 16, v17
	v_and_b32_e32 v18, 0xffff0000, v18
	v_add3_u32 v20, v12, v20, s11
	v_cmp_o_f32_e32 vcc, v16, v16
	v_cmp_o_f32_e64 s[0:1], v11, v11
	v_and_b32_e32 v19, 0xffff0000, v19
	s_or_b64 s[16:17], s[2:3], s[16:17]
	v_cmp_o_f32_e64 s[2:3], v13, v13
	v_lshrrev_b32_e32 v11, 16, v20
	v_cndmask_b32_e32 v16, v7, v18, vcc
	v_cndmask_b32_e64 v17, v8, v17, s[0:1]
	v_cmp_o_f32_e32 vcc, v12, v12
	v_cndmask_b32_e64 v13, v7, v19, s[2:3]
	v_cndmask_b32_e32 v11, v8, v11, vcc
	v_or_b32_e32 v12, v17, v16
	v_or3_b32 v13, 0, v11, v13
	v_or3_b32 v12, v12, 0, 0
	global_store_dwordx2 v[14:15], v[12:13], off
	s_andn2_b64 exec, exec, s[16:17]
	s_cbranch_execnz .LBB124_24
.LBB124_25:
	s_endpgm
	.section	.rodata,"a",@progbits
	.p2align	6, 0x0
	.amdhsa_kernel _ZN2at6native12_GLOBAL__N_125multi_tensor_apply_kernelINS1_18TensorListMetadataILi2EEENS1_21BinaryOpScalarFunctorIN3c108BFloat16ELi2ELi1ELi1EEEJNS0_7minimumIfEEfEEEvT_T0_DpT1_
		.amdhsa_group_segment_fixed_size 0
		.amdhsa_private_segment_fixed_size 0
		.amdhsa_kernarg_size 3408
		.amdhsa_user_sgpr_count 6
		.amdhsa_user_sgpr_private_segment_buffer 1
		.amdhsa_user_sgpr_dispatch_ptr 0
		.amdhsa_user_sgpr_queue_ptr 0
		.amdhsa_user_sgpr_kernarg_segment_ptr 1
		.amdhsa_user_sgpr_dispatch_id 0
		.amdhsa_user_sgpr_flat_scratch_init 0
		.amdhsa_user_sgpr_kernarg_preload_length 0
		.amdhsa_user_sgpr_kernarg_preload_offset 0
		.amdhsa_user_sgpr_private_segment_size 0
		.amdhsa_uses_dynamic_stack 0
		.amdhsa_system_sgpr_private_segment_wavefront_offset 0
		.amdhsa_system_sgpr_workgroup_id_x 1
		.amdhsa_system_sgpr_workgroup_id_y 0
		.amdhsa_system_sgpr_workgroup_id_z 0
		.amdhsa_system_sgpr_workgroup_info 0
		.amdhsa_system_vgpr_workitem_id 0
		.amdhsa_next_free_vgpr 31
		.amdhsa_next_free_sgpr 29
		.amdhsa_accum_offset 32
		.amdhsa_reserve_vcc 1
		.amdhsa_reserve_flat_scratch 0
		.amdhsa_float_round_mode_32 0
		.amdhsa_float_round_mode_16_64 0
		.amdhsa_float_denorm_mode_32 3
		.amdhsa_float_denorm_mode_16_64 3
		.amdhsa_dx10_clamp 1
		.amdhsa_ieee_mode 1
		.amdhsa_fp16_overflow 0
		.amdhsa_tg_split 0
		.amdhsa_exception_fp_ieee_invalid_op 0
		.amdhsa_exception_fp_denorm_src 0
		.amdhsa_exception_fp_ieee_div_zero 0
		.amdhsa_exception_fp_ieee_overflow 0
		.amdhsa_exception_fp_ieee_underflow 0
		.amdhsa_exception_fp_ieee_inexact 0
		.amdhsa_exception_int_div_zero 0
	.end_amdhsa_kernel
	.section	.text._ZN2at6native12_GLOBAL__N_125multi_tensor_apply_kernelINS1_18TensorListMetadataILi2EEENS1_21BinaryOpScalarFunctorIN3c108BFloat16ELi2ELi1ELi1EEEJNS0_7minimumIfEEfEEEvT_T0_DpT1_,"axG",@progbits,_ZN2at6native12_GLOBAL__N_125multi_tensor_apply_kernelINS1_18TensorListMetadataILi2EEENS1_21BinaryOpScalarFunctorIN3c108BFloat16ELi2ELi1ELi1EEEJNS0_7minimumIfEEfEEEvT_T0_DpT1_,comdat
.Lfunc_end124:
	.size	_ZN2at6native12_GLOBAL__N_125multi_tensor_apply_kernelINS1_18TensorListMetadataILi2EEENS1_21BinaryOpScalarFunctorIN3c108BFloat16ELi2ELi1ELi1EEEJNS0_7minimumIfEEfEEEvT_T0_DpT1_, .Lfunc_end124-_ZN2at6native12_GLOBAL__N_125multi_tensor_apply_kernelINS1_18TensorListMetadataILi2EEENS1_21BinaryOpScalarFunctorIN3c108BFloat16ELi2ELi1ELi1EEEJNS0_7minimumIfEEfEEEvT_T0_DpT1_
                                        ; -- End function
	.section	.AMDGPU.csdata,"",@progbits
; Kernel info:
; codeLenInByte = 1784
; NumSgprs: 33
; NumVgprs: 31
; NumAgprs: 0
; TotalNumVgprs: 31
; ScratchSize: 0
; MemoryBound: 0
; FloatMode: 240
; IeeeMode: 1
; LDSByteSize: 0 bytes/workgroup (compile time only)
; SGPRBlocks: 4
; VGPRBlocks: 3
; NumSGPRsForWavesPerEU: 33
; NumVGPRsForWavesPerEU: 31
; AccumOffset: 32
; Occupancy: 8
; WaveLimiterHint : 0
; COMPUTE_PGM_RSRC2:SCRATCH_EN: 0
; COMPUTE_PGM_RSRC2:USER_SGPR: 6
; COMPUTE_PGM_RSRC2:TRAP_HANDLER: 0
; COMPUTE_PGM_RSRC2:TGID_X_EN: 1
; COMPUTE_PGM_RSRC2:TGID_Y_EN: 0
; COMPUTE_PGM_RSRC2:TGID_Z_EN: 0
; COMPUTE_PGM_RSRC2:TIDIG_COMP_CNT: 0
; COMPUTE_PGM_RSRC3_GFX90A:ACCUM_OFFSET: 7
; COMPUTE_PGM_RSRC3_GFX90A:TG_SPLIT: 0
	.section	.text._ZN2at6native12_GLOBAL__N_125multi_tensor_apply_kernelINS1_18TensorListMetadataILi1EEENS1_21BinaryOpScalarFunctorIhLi1ELi1ELi0EEEJNS0_7maximumIhEEhEEEvT_T0_DpT1_,"axG",@progbits,_ZN2at6native12_GLOBAL__N_125multi_tensor_apply_kernelINS1_18TensorListMetadataILi1EEENS1_21BinaryOpScalarFunctorIhLi1ELi1ELi0EEEJNS0_7maximumIhEEhEEEvT_T0_DpT1_,comdat
	.globl	_ZN2at6native12_GLOBAL__N_125multi_tensor_apply_kernelINS1_18TensorListMetadataILi1EEENS1_21BinaryOpScalarFunctorIhLi1ELi1ELi0EEEJNS0_7maximumIhEEhEEEvT_T0_DpT1_ ; -- Begin function _ZN2at6native12_GLOBAL__N_125multi_tensor_apply_kernelINS1_18TensorListMetadataILi1EEENS1_21BinaryOpScalarFunctorIhLi1ELi1ELi0EEEJNS0_7maximumIhEEhEEEvT_T0_DpT1_
	.p2align	8
	.type	_ZN2at6native12_GLOBAL__N_125multi_tensor_apply_kernelINS1_18TensorListMetadataILi1EEENS1_21BinaryOpScalarFunctorIhLi1ELi1ELi0EEEJNS0_7maximumIhEEhEEEvT_T0_DpT1_,@function
_ZN2at6native12_GLOBAL__N_125multi_tensor_apply_kernelINS1_18TensorListMetadataILi1EEENS1_21BinaryOpScalarFunctorIhLi1ELi1ELi0EEEJNS0_7maximumIhEEhEEEvT_T0_DpT1_: ; @_ZN2at6native12_GLOBAL__N_125multi_tensor_apply_kernelINS1_18TensorListMetadataILi1EEENS1_21BinaryOpScalarFunctorIhLi1ELi1ELi0EEEJNS0_7maximumIhEEhEEEvT_T0_DpT1_
; %bb.0:
	v_mov_b32_e32 v1, s6
	global_load_ubyte v1, v1, s[4:5] offset:1760
	s_load_dword s0, s[4:5], 0xd28
	s_mul_i32 s2, s6, 3
	s_mul_hi_u32 s1, s6, 3
	s_waitcnt lgkmcnt(0)
	s_lshr_b32 s18, s0, 16
	s_add_u32 s0, s4, s6
	s_addc_u32 s3, s5, 0
	s_add_u32 s0, s0, s2
	s_addc_u32 s1, s3, s1
	s_load_dword s2, s[0:1], 0x820
	s_waitcnt vmcnt(0)
	v_readfirstlane_b32 s0, v1
	s_lshl_b32 s3, s0, 3
	s_load_dwordx2 s[0:1], s[4:5], s3 offset:0x0
	s_load_dwordx2 s[6:7], s[4:5], s3 offset:0x370
	s_waitcnt lgkmcnt(0)
	s_ashr_i32 s3, s2, 31
	s_lshl_b64 s[2:3], s[2:3], 16
	s_add_u32 s19, s0, s2
	s_addc_u32 s20, s1, s3
	s_sub_u32 s10, s6, s2
	s_subb_u32 s11, s7, s3
	s_or_b32 s6, s6, s19
	s_and_b32 s6, s6, 3
	s_cmp_eq_u32 s6, 0
	s_cbranch_scc1 .LBB125_21
; %bb.1:
	v_cmp_lt_i64_e64 s[6:7], s[10:11], 1
	s_and_b64 vcc, exec, s[6:7]
	s_cbranch_vccnz .LBB125_20
; %bb.2:
	s_load_dword s6, s[4:5], 0xd3c
	v_mov_b32_e32 v2, 0x10000
	v_mov_b32_e32 v3, 0
	v_cmp_lt_u64_e32 vcc, s[10:11], v[2:3]
	v_mov_b32_e32 v1, s3
	s_waitcnt lgkmcnt(0)
	s_and_b32 s8, s6, 0xffff
	s_and_b64 s[6:7], vcc, exec
	s_cselect_b32 s13, s11, 0
	s_cselect_b32 s12, s10, 0x10000
	s_lshl_b32 s9, s8, 1
	s_mul_i32 s6, s8, 3
	s_lshl_b32 s21, s8, 2
	s_add_u32 s7, s2, s6
	v_add_co_u32_e32 v4, vcc, s2, v0
	s_addc_u32 s14, s3, 0
	v_addc_co_u32_e32 v5, vcc, 0, v1, vcc
	s_add_u32 s7, s0, s7
	v_mov_b32_e32 v6, s1
	v_add_co_u32_e32 v1, vcc, s0, v4
	s_addc_u32 s14, s1, s14
	v_addc_co_u32_e32 v6, vcc, v6, v5, vcc
	s_add_u32 s2, s2, s9
	v_mov_b32_e32 v8, s14
	v_add_co_u32_e32 v7, vcc, s7, v0
	s_addc_u32 s3, s3, 0
	v_addc_co_u32_e32 v8, vcc, 0, v8, vcc
	s_add_u32 s2, s0, s2
	v_add_co_u32_e32 v9, vcc, s6, v0
	s_addc_u32 s3, s1, s3
	v_addc_co_u32_e64 v10, s[6:7], 0, 0, vcc
	v_mov_b32_e32 v12, s3
	v_add_co_u32_e32 v11, vcc, s2, v0
	v_addc_co_u32_e32 v12, vcc, 0, v12, vcc
	s_add_u32 s0, s0, s8
	v_add_co_u32_e32 v13, vcc, s9, v0
	s_addc_u32 s1, s1, 0
	v_addc_co_u32_e64 v14, s[2:3], 0, 0, vcc
	v_mov_b32_e32 v16, s1
	v_add_co_u32_e32 v15, vcc, s0, v4
	v_addc_co_u32_e32 v16, vcc, v16, v5, vcc
	v_add_co_u32_e32 v17, vcc, s8, v0
	v_addc_co_u32_e64 v18, s[0:1], 0, 0, vcc
	s_mov_b64 s[14:15], 0
	v_pk_mov_b32 v[4:5], s[10:11], s[10:11] op_sel:[0,1]
	s_branch .LBB125_4
.LBB125_3:                              ;   in Loop: Header=BB125_4 Depth=1
	s_or_b64 exec, exec, s[0:1]
	s_add_u32 s14, s14, s21
	s_addc_u32 s15, s15, 0
	v_cmp_lt_i64_e32 vcc, s[14:15], v[4:5]
	v_cmp_lt_u64_e64 s[0:1], s[14:15], v[2:3]
	s_and_b64 s[0:1], vcc, s[0:1]
	s_and_b64 vcc, exec, s[0:1]
	s_cbranch_vccz .LBB125_20
.LBB125_4:                              ; =>This Inner Loop Header: Depth=1
	s_waitcnt vmcnt(0)
	v_mov_b32_e32 v19, s15
	v_add_co_u32_e32 v20, vcc, s14, v0
	v_addc_co_u32_e32 v21, vcc, 0, v19, vcc
	v_cmp_gt_u64_e32 vcc, s[12:13], v[20:21]
	v_mov_b32_e32 v19, 0
	s_and_saveexec_b64 s[2:3], vcc
	s_cbranch_execz .LBB125_6
; %bb.5:                                ;   in Loop: Header=BB125_4 Depth=1
	v_mov_b32_e32 v19, s15
	v_add_co_u32_e64 v20, s[0:1], s14, v1
	v_addc_co_u32_e64 v21, s[0:1], v6, v19, s[0:1]
	global_load_ubyte v19, v[20:21], off
.LBB125_6:                              ;   in Loop: Header=BB125_4 Depth=1
	s_or_b64 exec, exec, s[2:3]
	v_mov_b32_e32 v21, s15
	v_add_co_u32_e64 v20, s[0:1], s14, v17
	v_addc_co_u32_e64 v21, s[0:1], v18, v21, s[0:1]
	v_cmp_gt_u64_e64 s[0:1], s[12:13], v[20:21]
	v_mov_b32_e32 v21, 0
	s_and_saveexec_b64 s[6:7], s[0:1]
	s_cbranch_execz .LBB125_8
; %bb.7:                                ;   in Loop: Header=BB125_4 Depth=1
	v_mov_b32_e32 v21, s15
	v_add_co_u32_e64 v20, s[2:3], s14, v15
	v_addc_co_u32_e64 v21, s[2:3], v16, v21, s[2:3]
	global_load_ubyte v21, v[20:21], off
.LBB125_8:                              ;   in Loop: Header=BB125_4 Depth=1
	s_or_b64 exec, exec, s[6:7]
	v_mov_b32_e32 v20, s15
	v_add_co_u32_e64 v22, s[2:3], s14, v13
	v_addc_co_u32_e64 v23, s[2:3], v14, v20, s[2:3]
	v_cmp_gt_u64_e64 s[2:3], s[12:13], v[22:23]
	v_mov_b32_e32 v20, 0
	v_mov_b32_e32 v22, 0
	s_and_saveexec_b64 s[8:9], s[2:3]
	s_cbranch_execz .LBB125_10
; %bb.9:                                ;   in Loop: Header=BB125_4 Depth=1
	v_mov_b32_e32 v23, s15
	v_add_co_u32_e64 v22, s[6:7], s14, v11
	v_addc_co_u32_e64 v23, s[6:7], v12, v23, s[6:7]
	global_load_ubyte v22, v[22:23], off
.LBB125_10:                             ;   in Loop: Header=BB125_4 Depth=1
	s_or_b64 exec, exec, s[8:9]
	v_mov_b32_e32 v23, s15
	v_add_co_u32_e64 v24, s[6:7], s14, v9
	v_addc_co_u32_e64 v25, s[6:7], v10, v23, s[6:7]
	v_cmp_gt_u64_e64 s[6:7], s[12:13], v[24:25]
	s_and_saveexec_b64 s[16:17], s[6:7]
	s_cbranch_execnz .LBB125_15
; %bb.11:                               ;   in Loop: Header=BB125_4 Depth=1
	s_or_b64 exec, exec, s[16:17]
	s_and_saveexec_b64 s[8:9], vcc
	s_cbranch_execnz .LBB125_16
.LBB125_12:                             ;   in Loop: Header=BB125_4 Depth=1
	s_or_b64 exec, exec, s[8:9]
	s_and_saveexec_b64 s[8:9], s[0:1]
	s_cbranch_execnz .LBB125_17
.LBB125_13:                             ;   in Loop: Header=BB125_4 Depth=1
	s_or_b64 exec, exec, s[8:9]
	s_and_saveexec_b64 s[0:1], s[2:3]
	s_cbranch_execnz .LBB125_18
.LBB125_14:                             ;   in Loop: Header=BB125_4 Depth=1
	s_or_b64 exec, exec, s[0:1]
	s_and_saveexec_b64 s[0:1], s[6:7]
	s_cbranch_execz .LBB125_3
	s_branch .LBB125_19
.LBB125_15:                             ;   in Loop: Header=BB125_4 Depth=1
	v_mov_b32_e32 v20, s15
	v_add_co_u32_e64 v24, s[8:9], s14, v7
	v_addc_co_u32_e64 v25, s[8:9], v8, v20, s[8:9]
	global_load_ubyte v20, v[24:25], off
	s_or_b64 exec, exec, s[16:17]
	s_and_saveexec_b64 s[8:9], vcc
	s_cbranch_execz .LBB125_12
.LBB125_16:                             ;   in Loop: Header=BB125_4 Depth=1
	v_mov_b32_e32 v23, s15
	v_add_co_u32_e32 v24, vcc, s14, v1
	s_waitcnt vmcnt(0)
	v_max_u16_sdwa v19, v19, s18 dst_sel:DWORD dst_unused:UNUSED_PAD src0_sel:BYTE_0 src1_sel:BYTE_0
	v_addc_co_u32_e32 v25, vcc, v6, v23, vcc
	global_store_byte v[24:25], v19, off
	s_or_b64 exec, exec, s[8:9]
	s_and_saveexec_b64 s[8:9], s[0:1]
	s_cbranch_execz .LBB125_13
.LBB125_17:                             ;   in Loop: Header=BB125_4 Depth=1
	s_waitcnt vmcnt(0)
	v_max_u16_sdwa v19, v21, s18 dst_sel:DWORD dst_unused:UNUSED_PAD src0_sel:BYTE_0 src1_sel:BYTE_0
	v_mov_b32_e32 v21, s15
	v_add_co_u32_e32 v24, vcc, s14, v15
	v_addc_co_u32_e32 v25, vcc, v16, v21, vcc
	global_store_byte v[24:25], v19, off
	s_or_b64 exec, exec, s[8:9]
	s_and_saveexec_b64 s[0:1], s[2:3]
	s_cbranch_execz .LBB125_14
.LBB125_18:                             ;   in Loop: Header=BB125_4 Depth=1
	s_waitcnt vmcnt(0)
	v_max_u16_sdwa v19, v22, s18 dst_sel:DWORD dst_unused:UNUSED_PAD src0_sel:BYTE_0 src1_sel:BYTE_0
	v_mov_b32_e32 v21, s15
	v_add_co_u32_e32 v22, vcc, s14, v11
	v_addc_co_u32_e32 v23, vcc, v12, v21, vcc
	global_store_byte v[22:23], v19, off
	s_or_b64 exec, exec, s[0:1]
	s_and_saveexec_b64 s[0:1], s[6:7]
	s_cbranch_execz .LBB125_3
.LBB125_19:                             ;   in Loop: Header=BB125_4 Depth=1
	s_waitcnt vmcnt(0)
	v_max_u16_sdwa v19, v20, s18 dst_sel:DWORD dst_unused:UNUSED_PAD src0_sel:BYTE_0 src1_sel:BYTE_0
	v_mov_b32_e32 v21, s15
	v_add_co_u32_e32 v20, vcc, s14, v7
	v_addc_co_u32_e32 v21, vcc, v8, v21, vcc
	global_store_byte v[20:21], v19, off
	s_branch .LBB125_3
.LBB125_20:
	s_cbranch_execz .LBB125_22
	s_branch .LBB125_25
.LBB125_21:
.LBB125_22:
	v_lshlrev_b32_e32 v0, 2, v0
	v_mov_b32_e32 v1, 0
	v_cmp_gt_i64_e32 vcc, s[10:11], v[0:1]
	s_and_saveexec_b64 s[0:1], vcc
	s_cbranch_execz .LBB125_25
; %bb.23:
	s_load_dword s0, s[4:5], 0xd3c
	s_mov_b32 s1, 0
	s_mov_b64 s[2:3], 0
	v_mov_b32_e32 v2, s20
	s_movk_i32 s6, 0xff
	s_waitcnt lgkmcnt(0)
	s_and_b32 s0, s0, 0xffff
	s_lshl_b32 s7, s0, 2
	v_mov_b32_e32 v3, s1
	s_mov_b64 s[4:5], 0xffff
.LBB125_24:                             ; =>This Inner Loop Header: Depth=1
	v_add_co_u32_e32 v4, vcc, s19, v0
	v_addc_co_u32_e32 v5, vcc, v2, v1, vcc
	global_load_dword v6, v[4:5], off
	v_add_co_u32_e32 v0, vcc, s7, v0
	v_addc_co_u32_e32 v1, vcc, v3, v1, vcc
	v_cmp_le_i64_e32 vcc, s[10:11], v[0:1]
	v_cmp_lt_u64_e64 s[0:1], s[4:5], v[0:1]
	s_or_b64 s[0:1], vcc, s[0:1]
	s_and_b64 s[0:1], exec, s[0:1]
	s_or_b64 s[2:3], s[0:1], s[2:3]
	s_waitcnt vmcnt(0)
	v_lshrrev_b32_e32 v8, 8, v6
	v_and_b32_sdwa v9, v6, s6 dst_sel:DWORD dst_unused:UNUSED_PAD src0_sel:WORD_1 src1_sel:DWORD
	v_and_b32_e32 v7, 0xff, v6
	v_lshrrev_b32_e32 v6, 24, v6
	v_and_b32_e32 v8, 0xff, v8
	v_max_u16_sdwa v9, v9, s18 dst_sel:DWORD dst_unused:UNUSED_PAD src0_sel:DWORD src1_sel:BYTE_0
	v_max_u16_sdwa v6, v6, s18 dst_sel:DWORD dst_unused:UNUSED_PAD src0_sel:DWORD src1_sel:BYTE_0
	v_lshlrev_b32_e32 v9, 16, v9
	v_max_u16_sdwa v8, v8, s18 dst_sel:DWORD dst_unused:UNUSED_PAD src0_sel:DWORD src1_sel:BYTE_0
	v_max_u16_sdwa v7, v7, s18 dst_sel:DWORD dst_unused:UNUSED_PAD src0_sel:DWORD src1_sel:BYTE_0
	v_lshl_or_b32 v6, v6, 24, v9
	v_lshlrev_b32_e32 v8, 8, v8
	v_or3_b32 v6, v6, v8, v7
	global_store_dword v[4:5], v6, off
	s_andn2_b64 exec, exec, s[2:3]
	s_cbranch_execnz .LBB125_24
.LBB125_25:
	s_endpgm
	.section	.rodata,"a",@progbits
	.p2align	6, 0x0
	.amdhsa_kernel _ZN2at6native12_GLOBAL__N_125multi_tensor_apply_kernelINS1_18TensorListMetadataILi1EEENS1_21BinaryOpScalarFunctorIhLi1ELi1ELi0EEEJNS0_7maximumIhEEhEEEvT_T0_DpT1_
		.amdhsa_group_segment_fixed_size 0
		.amdhsa_private_segment_fixed_size 0
		.amdhsa_kernarg_size 3632
		.amdhsa_user_sgpr_count 6
		.amdhsa_user_sgpr_private_segment_buffer 1
		.amdhsa_user_sgpr_dispatch_ptr 0
		.amdhsa_user_sgpr_queue_ptr 0
		.amdhsa_user_sgpr_kernarg_segment_ptr 1
		.amdhsa_user_sgpr_dispatch_id 0
		.amdhsa_user_sgpr_flat_scratch_init 0
		.amdhsa_user_sgpr_kernarg_preload_length 0
		.amdhsa_user_sgpr_kernarg_preload_offset 0
		.amdhsa_user_sgpr_private_segment_size 0
		.amdhsa_uses_dynamic_stack 0
		.amdhsa_system_sgpr_private_segment_wavefront_offset 0
		.amdhsa_system_sgpr_workgroup_id_x 1
		.amdhsa_system_sgpr_workgroup_id_y 0
		.amdhsa_system_sgpr_workgroup_id_z 0
		.amdhsa_system_sgpr_workgroup_info 0
		.amdhsa_system_vgpr_workitem_id 0
		.amdhsa_next_free_vgpr 26
		.amdhsa_next_free_sgpr 22
		.amdhsa_accum_offset 28
		.amdhsa_reserve_vcc 1
		.amdhsa_reserve_flat_scratch 0
		.amdhsa_float_round_mode_32 0
		.amdhsa_float_round_mode_16_64 0
		.amdhsa_float_denorm_mode_32 3
		.amdhsa_float_denorm_mode_16_64 3
		.amdhsa_dx10_clamp 1
		.amdhsa_ieee_mode 1
		.amdhsa_fp16_overflow 0
		.amdhsa_tg_split 0
		.amdhsa_exception_fp_ieee_invalid_op 0
		.amdhsa_exception_fp_denorm_src 0
		.amdhsa_exception_fp_ieee_div_zero 0
		.amdhsa_exception_fp_ieee_overflow 0
		.amdhsa_exception_fp_ieee_underflow 0
		.amdhsa_exception_fp_ieee_inexact 0
		.amdhsa_exception_int_div_zero 0
	.end_amdhsa_kernel
	.section	.text._ZN2at6native12_GLOBAL__N_125multi_tensor_apply_kernelINS1_18TensorListMetadataILi1EEENS1_21BinaryOpScalarFunctorIhLi1ELi1ELi0EEEJNS0_7maximumIhEEhEEEvT_T0_DpT1_,"axG",@progbits,_ZN2at6native12_GLOBAL__N_125multi_tensor_apply_kernelINS1_18TensorListMetadataILi1EEENS1_21BinaryOpScalarFunctorIhLi1ELi1ELi0EEEJNS0_7maximumIhEEhEEEvT_T0_DpT1_,comdat
.Lfunc_end125:
	.size	_ZN2at6native12_GLOBAL__N_125multi_tensor_apply_kernelINS1_18TensorListMetadataILi1EEENS1_21BinaryOpScalarFunctorIhLi1ELi1ELi0EEEJNS0_7maximumIhEEhEEEvT_T0_DpT1_, .Lfunc_end125-_ZN2at6native12_GLOBAL__N_125multi_tensor_apply_kernelINS1_18TensorListMetadataILi1EEENS1_21BinaryOpScalarFunctorIhLi1ELi1ELi0EEEJNS0_7maximumIhEEhEEEvT_T0_DpT1_
                                        ; -- End function
	.section	.AMDGPU.csdata,"",@progbits
; Kernel info:
; codeLenInByte = 1148
; NumSgprs: 26
; NumVgprs: 26
; NumAgprs: 0
; TotalNumVgprs: 26
; ScratchSize: 0
; MemoryBound: 0
; FloatMode: 240
; IeeeMode: 1
; LDSByteSize: 0 bytes/workgroup (compile time only)
; SGPRBlocks: 3
; VGPRBlocks: 3
; NumSGPRsForWavesPerEU: 26
; NumVGPRsForWavesPerEU: 26
; AccumOffset: 28
; Occupancy: 8
; WaveLimiterHint : 0
; COMPUTE_PGM_RSRC2:SCRATCH_EN: 0
; COMPUTE_PGM_RSRC2:USER_SGPR: 6
; COMPUTE_PGM_RSRC2:TRAP_HANDLER: 0
; COMPUTE_PGM_RSRC2:TGID_X_EN: 1
; COMPUTE_PGM_RSRC2:TGID_Y_EN: 0
; COMPUTE_PGM_RSRC2:TGID_Z_EN: 0
; COMPUTE_PGM_RSRC2:TIDIG_COMP_CNT: 0
; COMPUTE_PGM_RSRC3_GFX90A:ACCUM_OFFSET: 6
; COMPUTE_PGM_RSRC3_GFX90A:TG_SPLIT: 0
	.section	.text._ZN2at6native12_GLOBAL__N_125multi_tensor_apply_kernelINS1_18TensorListMetadataILi1EEENS1_21BinaryOpScalarFunctorIaLi1ELi1ELi0EEEJNS0_7maximumIaEEaEEEvT_T0_DpT1_,"axG",@progbits,_ZN2at6native12_GLOBAL__N_125multi_tensor_apply_kernelINS1_18TensorListMetadataILi1EEENS1_21BinaryOpScalarFunctorIaLi1ELi1ELi0EEEJNS0_7maximumIaEEaEEEvT_T0_DpT1_,comdat
	.globl	_ZN2at6native12_GLOBAL__N_125multi_tensor_apply_kernelINS1_18TensorListMetadataILi1EEENS1_21BinaryOpScalarFunctorIaLi1ELi1ELi0EEEJNS0_7maximumIaEEaEEEvT_T0_DpT1_ ; -- Begin function _ZN2at6native12_GLOBAL__N_125multi_tensor_apply_kernelINS1_18TensorListMetadataILi1EEENS1_21BinaryOpScalarFunctorIaLi1ELi1ELi0EEEJNS0_7maximumIaEEaEEEvT_T0_DpT1_
	.p2align	8
	.type	_ZN2at6native12_GLOBAL__N_125multi_tensor_apply_kernelINS1_18TensorListMetadataILi1EEENS1_21BinaryOpScalarFunctorIaLi1ELi1ELi0EEEJNS0_7maximumIaEEaEEEvT_T0_DpT1_,@function
_ZN2at6native12_GLOBAL__N_125multi_tensor_apply_kernelINS1_18TensorListMetadataILi1EEENS1_21BinaryOpScalarFunctorIaLi1ELi1ELi0EEEJNS0_7maximumIaEEaEEEvT_T0_DpT1_: ; @_ZN2at6native12_GLOBAL__N_125multi_tensor_apply_kernelINS1_18TensorListMetadataILi1EEENS1_21BinaryOpScalarFunctorIaLi1ELi1ELi0EEEJNS0_7maximumIaEEaEEEvT_T0_DpT1_
; %bb.0:
	v_mov_b32_e32 v1, s6
	global_load_ubyte v1, v1, s[4:5] offset:1760
	s_load_dword s0, s[4:5], 0xd28
	s_mul_i32 s2, s6, 3
	s_mul_hi_u32 s1, s6, 3
	s_waitcnt lgkmcnt(0)
	s_lshr_b32 s19, s0, 16
	s_add_u32 s0, s4, s6
	s_addc_u32 s3, s5, 0
	s_add_u32 s0, s0, s2
	s_addc_u32 s1, s3, s1
	s_load_dword s2, s[0:1], 0x820
	s_waitcnt vmcnt(0)
	v_readfirstlane_b32 s0, v1
	s_lshl_b32 s3, s0, 3
	s_load_dwordx2 s[0:1], s[4:5], s3 offset:0x0
	s_load_dwordx2 s[6:7], s[4:5], s3 offset:0x370
	s_waitcnt lgkmcnt(0)
	s_ashr_i32 s3, s2, 31
	s_lshl_b64 s[2:3], s[2:3], 16
	s_add_u32 s18, s0, s2
	s_addc_u32 s20, s1, s3
	s_sub_u32 s10, s6, s2
	s_subb_u32 s11, s7, s3
	s_or_b32 s6, s6, s18
	s_and_b32 s6, s6, 3
	s_cmp_eq_u32 s6, 0
	s_cbranch_scc1 .LBB126_21
; %bb.1:
	v_cmp_lt_i64_e64 s[6:7], s[10:11], 1
	s_and_b64 vcc, exec, s[6:7]
	s_cbranch_vccnz .LBB126_20
; %bb.2:
	s_load_dword s6, s[4:5], 0xd3c
	v_mov_b32_e32 v2, 0x10000
	v_mov_b32_e32 v3, 0
	v_cmp_lt_u64_e32 vcc, s[10:11], v[2:3]
	v_mov_b32_e32 v1, s3
	s_waitcnt lgkmcnt(0)
	s_and_b32 s8, s6, 0xffff
	s_and_b64 s[6:7], vcc, exec
	s_cselect_b32 s13, s11, 0
	s_cselect_b32 s12, s10, 0x10000
	s_lshl_b32 s9, s8, 1
	s_mul_i32 s6, s8, 3
	s_lshl_b32 s21, s8, 2
	s_add_u32 s7, s2, s6
	v_add_co_u32_e32 v4, vcc, s2, v0
	s_addc_u32 s14, s3, 0
	v_addc_co_u32_e32 v5, vcc, 0, v1, vcc
	s_add_u32 s7, s0, s7
	v_mov_b32_e32 v6, s1
	v_add_co_u32_e32 v1, vcc, s0, v4
	s_addc_u32 s14, s1, s14
	v_addc_co_u32_e32 v6, vcc, v6, v5, vcc
	s_add_u32 s2, s2, s9
	v_mov_b32_e32 v8, s14
	v_add_co_u32_e32 v7, vcc, s7, v0
	s_addc_u32 s3, s3, 0
	v_addc_co_u32_e32 v8, vcc, 0, v8, vcc
	s_add_u32 s2, s0, s2
	v_add_co_u32_e32 v9, vcc, s6, v0
	s_addc_u32 s3, s1, s3
	v_addc_co_u32_e64 v10, s[6:7], 0, 0, vcc
	v_mov_b32_e32 v12, s3
	v_add_co_u32_e32 v11, vcc, s2, v0
	v_addc_co_u32_e32 v12, vcc, 0, v12, vcc
	s_add_u32 s0, s0, s8
	v_add_co_u32_e32 v13, vcc, s9, v0
	s_addc_u32 s1, s1, 0
	v_addc_co_u32_e64 v14, s[2:3], 0, 0, vcc
	v_mov_b32_e32 v16, s1
	v_add_co_u32_e32 v15, vcc, s0, v4
	v_addc_co_u32_e32 v16, vcc, v16, v5, vcc
	v_add_co_u32_e32 v17, vcc, s8, v0
	v_addc_co_u32_e64 v18, s[0:1], 0, 0, vcc
	s_mov_b64 s[14:15], 0
	v_pk_mov_b32 v[4:5], s[10:11], s[10:11] op_sel:[0,1]
	s_bfe_i32 s22, s19, 0x80000
	s_branch .LBB126_4
.LBB126_3:                              ;   in Loop: Header=BB126_4 Depth=1
	s_or_b64 exec, exec, s[0:1]
	s_add_u32 s14, s14, s21
	s_addc_u32 s15, s15, 0
	v_cmp_lt_i64_e32 vcc, s[14:15], v[4:5]
	v_cmp_lt_u64_e64 s[0:1], s[14:15], v[2:3]
	s_and_b64 s[0:1], vcc, s[0:1]
	s_and_b64 vcc, exec, s[0:1]
	s_cbranch_vccz .LBB126_20
.LBB126_4:                              ; =>This Inner Loop Header: Depth=1
	s_waitcnt vmcnt(0)
	v_mov_b32_e32 v19, s15
	v_add_co_u32_e32 v20, vcc, s14, v0
	v_addc_co_u32_e32 v21, vcc, 0, v19, vcc
	v_cmp_gt_u64_e32 vcc, s[12:13], v[20:21]
	v_mov_b32_e32 v19, 0
	s_and_saveexec_b64 s[2:3], vcc
	s_cbranch_execz .LBB126_6
; %bb.5:                                ;   in Loop: Header=BB126_4 Depth=1
	v_mov_b32_e32 v19, s15
	v_add_co_u32_e64 v20, s[0:1], s14, v1
	v_addc_co_u32_e64 v21, s[0:1], v6, v19, s[0:1]
	global_load_ubyte v19, v[20:21], off
.LBB126_6:                              ;   in Loop: Header=BB126_4 Depth=1
	s_or_b64 exec, exec, s[2:3]
	v_mov_b32_e32 v21, s15
	v_add_co_u32_e64 v20, s[0:1], s14, v17
	v_addc_co_u32_e64 v21, s[0:1], v18, v21, s[0:1]
	v_cmp_gt_u64_e64 s[0:1], s[12:13], v[20:21]
	v_mov_b32_e32 v21, 0
	s_and_saveexec_b64 s[6:7], s[0:1]
	s_cbranch_execz .LBB126_8
; %bb.7:                                ;   in Loop: Header=BB126_4 Depth=1
	v_mov_b32_e32 v21, s15
	v_add_co_u32_e64 v20, s[2:3], s14, v15
	v_addc_co_u32_e64 v21, s[2:3], v16, v21, s[2:3]
	global_load_ubyte v21, v[20:21], off
.LBB126_8:                              ;   in Loop: Header=BB126_4 Depth=1
	s_or_b64 exec, exec, s[6:7]
	v_mov_b32_e32 v20, s15
	v_add_co_u32_e64 v22, s[2:3], s14, v13
	v_addc_co_u32_e64 v23, s[2:3], v14, v20, s[2:3]
	v_cmp_gt_u64_e64 s[2:3], s[12:13], v[22:23]
	v_mov_b32_e32 v20, 0
	v_mov_b32_e32 v22, 0
	s_and_saveexec_b64 s[8:9], s[2:3]
	s_cbranch_execz .LBB126_10
; %bb.9:                                ;   in Loop: Header=BB126_4 Depth=1
	v_mov_b32_e32 v23, s15
	v_add_co_u32_e64 v22, s[6:7], s14, v11
	v_addc_co_u32_e64 v23, s[6:7], v12, v23, s[6:7]
	global_load_ubyte v22, v[22:23], off
.LBB126_10:                             ;   in Loop: Header=BB126_4 Depth=1
	s_or_b64 exec, exec, s[8:9]
	v_mov_b32_e32 v23, s15
	v_add_co_u32_e64 v24, s[6:7], s14, v9
	v_addc_co_u32_e64 v25, s[6:7], v10, v23, s[6:7]
	v_cmp_gt_u64_e64 s[6:7], s[12:13], v[24:25]
	s_and_saveexec_b64 s[16:17], s[6:7]
	s_cbranch_execnz .LBB126_15
; %bb.11:                               ;   in Loop: Header=BB126_4 Depth=1
	s_or_b64 exec, exec, s[16:17]
	s_and_saveexec_b64 s[8:9], vcc
	s_cbranch_execnz .LBB126_16
.LBB126_12:                             ;   in Loop: Header=BB126_4 Depth=1
	s_or_b64 exec, exec, s[8:9]
	s_and_saveexec_b64 s[8:9], s[0:1]
	s_cbranch_execnz .LBB126_17
.LBB126_13:                             ;   in Loop: Header=BB126_4 Depth=1
	s_or_b64 exec, exec, s[8:9]
	s_and_saveexec_b64 s[0:1], s[2:3]
	s_cbranch_execnz .LBB126_18
.LBB126_14:                             ;   in Loop: Header=BB126_4 Depth=1
	s_or_b64 exec, exec, s[0:1]
	s_and_saveexec_b64 s[0:1], s[6:7]
	s_cbranch_execz .LBB126_3
	s_branch .LBB126_19
.LBB126_15:                             ;   in Loop: Header=BB126_4 Depth=1
	v_mov_b32_e32 v20, s15
	v_add_co_u32_e64 v24, s[8:9], s14, v7
	v_addc_co_u32_e64 v25, s[8:9], v8, v20, s[8:9]
	global_load_ubyte v20, v[24:25], off
	s_or_b64 exec, exec, s[16:17]
	s_and_saveexec_b64 s[8:9], vcc
	s_cbranch_execz .LBB126_12
.LBB126_16:                             ;   in Loop: Header=BB126_4 Depth=1
	v_mov_b32_e32 v23, s15
	v_add_co_u32_e32 v24, vcc, s14, v1
	s_waitcnt vmcnt(0)
	v_max_i16_sdwa v19, sext(v19), s22 dst_sel:DWORD dst_unused:UNUSED_PAD src0_sel:BYTE_0 src1_sel:DWORD
	v_addc_co_u32_e32 v25, vcc, v6, v23, vcc
	global_store_byte v[24:25], v19, off
	s_or_b64 exec, exec, s[8:9]
	s_and_saveexec_b64 s[8:9], s[0:1]
	s_cbranch_execz .LBB126_13
.LBB126_17:                             ;   in Loop: Header=BB126_4 Depth=1
	s_waitcnt vmcnt(0)
	v_max_i16_sdwa v19, sext(v21), s22 dst_sel:DWORD dst_unused:UNUSED_PAD src0_sel:BYTE_0 src1_sel:DWORD
	v_mov_b32_e32 v21, s15
	v_add_co_u32_e32 v24, vcc, s14, v15
	v_addc_co_u32_e32 v25, vcc, v16, v21, vcc
	global_store_byte v[24:25], v19, off
	s_or_b64 exec, exec, s[8:9]
	s_and_saveexec_b64 s[0:1], s[2:3]
	s_cbranch_execz .LBB126_14
.LBB126_18:                             ;   in Loop: Header=BB126_4 Depth=1
	s_waitcnt vmcnt(0)
	v_max_i16_sdwa v19, sext(v22), s22 dst_sel:DWORD dst_unused:UNUSED_PAD src0_sel:BYTE_0 src1_sel:DWORD
	v_mov_b32_e32 v21, s15
	v_add_co_u32_e32 v22, vcc, s14, v11
	v_addc_co_u32_e32 v23, vcc, v12, v21, vcc
	global_store_byte v[22:23], v19, off
	s_or_b64 exec, exec, s[0:1]
	s_and_saveexec_b64 s[0:1], s[6:7]
	s_cbranch_execz .LBB126_3
.LBB126_19:                             ;   in Loop: Header=BB126_4 Depth=1
	s_waitcnt vmcnt(0)
	v_max_i16_sdwa v19, sext(v20), s22 dst_sel:DWORD dst_unused:UNUSED_PAD src0_sel:BYTE_0 src1_sel:DWORD
	v_mov_b32_e32 v21, s15
	v_add_co_u32_e32 v20, vcc, s14, v7
	v_addc_co_u32_e32 v21, vcc, v8, v21, vcc
	global_store_byte v[20:21], v19, off
	s_branch .LBB126_3
.LBB126_20:
	s_cbranch_execz .LBB126_22
	s_branch .LBB126_25
.LBB126_21:
.LBB126_22:
	v_lshlrev_b32_e32 v0, 2, v0
	v_mov_b32_e32 v1, 0
	v_cmp_gt_i64_e32 vcc, s[10:11], v[0:1]
	s_and_saveexec_b64 s[0:1], vcc
	s_cbranch_execz .LBB126_25
; %bb.23:
	s_load_dword s0, s[4:5], 0xd3c
	s_mov_b32 s1, 0
	s_mov_b64 s[2:3], 0
	v_mov_b32_e32 v2, s20
	s_bfe_i32 s6, s19, 0x80000
	s_waitcnt lgkmcnt(0)
	s_and_b32 s0, s0, 0xffff
	s_lshl_b32 s7, s0, 2
	v_mov_b32_e32 v3, s1
	s_mov_b64 s[4:5], 0xffff
	v_mov_b32_e32 v4, 8
.LBB126_24:                             ; =>This Inner Loop Header: Depth=1
	v_add_co_u32_e32 v6, vcc, s18, v0
	v_addc_co_u32_e32 v7, vcc, v2, v1, vcc
	global_load_dword v5, v[6:7], off
	v_add_co_u32_e32 v0, vcc, s7, v0
	v_addc_co_u32_e32 v1, vcc, v3, v1, vcc
	v_cmp_le_i64_e32 vcc, s[10:11], v[0:1]
	v_cmp_lt_u64_e64 s[0:1], s[4:5], v[0:1]
	s_or_b64 s[0:1], vcc, s[0:1]
	s_and_b64 s[0:1], exec, s[0:1]
	s_or_b64 s[2:3], s[0:1], s[2:3]
	s_waitcnt vmcnt(0)
	v_lshrrev_b32_e32 v10, 16, v5
	v_max_i16_sdwa v10, sext(v10), s6 dst_sel:DWORD dst_unused:UNUSED_PAD src0_sel:BYTE_0 src1_sel:DWORD
	v_max_i16_sdwa v8, sext(v5), s6 dst_sel:DWORD dst_unused:UNUSED_PAD src0_sel:BYTE_0 src1_sel:DWORD
	v_lshrrev_b32_e32 v9, 8, v5
	v_lshrrev_b32_e32 v5, 24, v5
	v_and_b32_e32 v10, 0xff, v10
	v_max_i16_sdwa v9, sext(v9), s6 dst_sel:DWORD dst_unused:UNUSED_PAD src0_sel:BYTE_0 src1_sel:DWORD
	v_max_i16_sdwa v5, sext(v5), s6 dst_sel:DWORD dst_unused:UNUSED_PAD src0_sel:BYTE_0 src1_sel:DWORD
	v_lshlrev_b32_e32 v10, 16, v10
	v_and_b32_e32 v8, 0xff, v8
	v_lshlrev_b32_sdwa v9, v4, v9 dst_sel:DWORD dst_unused:UNUSED_PAD src0_sel:DWORD src1_sel:BYTE_0
	v_lshl_or_b32 v5, v5, 24, v10
	v_or3_b32 v5, v5, v9, v8
	global_store_dword v[6:7], v5, off
	s_andn2_b64 exec, exec, s[2:3]
	s_cbranch_execnz .LBB126_24
.LBB126_25:
	s_endpgm
	.section	.rodata,"a",@progbits
	.p2align	6, 0x0
	.amdhsa_kernel _ZN2at6native12_GLOBAL__N_125multi_tensor_apply_kernelINS1_18TensorListMetadataILi1EEENS1_21BinaryOpScalarFunctorIaLi1ELi1ELi0EEEJNS0_7maximumIaEEaEEEvT_T0_DpT1_
		.amdhsa_group_segment_fixed_size 0
		.amdhsa_private_segment_fixed_size 0
		.amdhsa_kernarg_size 3632
		.amdhsa_user_sgpr_count 6
		.amdhsa_user_sgpr_private_segment_buffer 1
		.amdhsa_user_sgpr_dispatch_ptr 0
		.amdhsa_user_sgpr_queue_ptr 0
		.amdhsa_user_sgpr_kernarg_segment_ptr 1
		.amdhsa_user_sgpr_dispatch_id 0
		.amdhsa_user_sgpr_flat_scratch_init 0
		.amdhsa_user_sgpr_kernarg_preload_length 0
		.amdhsa_user_sgpr_kernarg_preload_offset 0
		.amdhsa_user_sgpr_private_segment_size 0
		.amdhsa_uses_dynamic_stack 0
		.amdhsa_system_sgpr_private_segment_wavefront_offset 0
		.amdhsa_system_sgpr_workgroup_id_x 1
		.amdhsa_system_sgpr_workgroup_id_y 0
		.amdhsa_system_sgpr_workgroup_id_z 0
		.amdhsa_system_sgpr_workgroup_info 0
		.amdhsa_system_vgpr_workitem_id 0
		.amdhsa_next_free_vgpr 26
		.amdhsa_next_free_sgpr 23
		.amdhsa_accum_offset 28
		.amdhsa_reserve_vcc 1
		.amdhsa_reserve_flat_scratch 0
		.amdhsa_float_round_mode_32 0
		.amdhsa_float_round_mode_16_64 0
		.amdhsa_float_denorm_mode_32 3
		.amdhsa_float_denorm_mode_16_64 3
		.amdhsa_dx10_clamp 1
		.amdhsa_ieee_mode 1
		.amdhsa_fp16_overflow 0
		.amdhsa_tg_split 0
		.amdhsa_exception_fp_ieee_invalid_op 0
		.amdhsa_exception_fp_denorm_src 0
		.amdhsa_exception_fp_ieee_div_zero 0
		.amdhsa_exception_fp_ieee_overflow 0
		.amdhsa_exception_fp_ieee_underflow 0
		.amdhsa_exception_fp_ieee_inexact 0
		.amdhsa_exception_int_div_zero 0
	.end_amdhsa_kernel
	.section	.text._ZN2at6native12_GLOBAL__N_125multi_tensor_apply_kernelINS1_18TensorListMetadataILi1EEENS1_21BinaryOpScalarFunctorIaLi1ELi1ELi0EEEJNS0_7maximumIaEEaEEEvT_T0_DpT1_,"axG",@progbits,_ZN2at6native12_GLOBAL__N_125multi_tensor_apply_kernelINS1_18TensorListMetadataILi1EEENS1_21BinaryOpScalarFunctorIaLi1ELi1ELi0EEEJNS0_7maximumIaEEaEEEvT_T0_DpT1_,comdat
.Lfunc_end126:
	.size	_ZN2at6native12_GLOBAL__N_125multi_tensor_apply_kernelINS1_18TensorListMetadataILi1EEENS1_21BinaryOpScalarFunctorIaLi1ELi1ELi0EEEJNS0_7maximumIaEEaEEEvT_T0_DpT1_, .Lfunc_end126-_ZN2at6native12_GLOBAL__N_125multi_tensor_apply_kernelINS1_18TensorListMetadataILi1EEENS1_21BinaryOpScalarFunctorIaLi1ELi1ELi0EEEJNS0_7maximumIaEEaEEEvT_T0_DpT1_
                                        ; -- End function
	.section	.AMDGPU.csdata,"",@progbits
; Kernel info:
; codeLenInByte = 1164
; NumSgprs: 27
; NumVgprs: 26
; NumAgprs: 0
; TotalNumVgprs: 26
; ScratchSize: 0
; MemoryBound: 0
; FloatMode: 240
; IeeeMode: 1
; LDSByteSize: 0 bytes/workgroup (compile time only)
; SGPRBlocks: 3
; VGPRBlocks: 3
; NumSGPRsForWavesPerEU: 27
; NumVGPRsForWavesPerEU: 26
; AccumOffset: 28
; Occupancy: 8
; WaveLimiterHint : 0
; COMPUTE_PGM_RSRC2:SCRATCH_EN: 0
; COMPUTE_PGM_RSRC2:USER_SGPR: 6
; COMPUTE_PGM_RSRC2:TRAP_HANDLER: 0
; COMPUTE_PGM_RSRC2:TGID_X_EN: 1
; COMPUTE_PGM_RSRC2:TGID_Y_EN: 0
; COMPUTE_PGM_RSRC2:TGID_Z_EN: 0
; COMPUTE_PGM_RSRC2:TIDIG_COMP_CNT: 0
; COMPUTE_PGM_RSRC3_GFX90A:ACCUM_OFFSET: 6
; COMPUTE_PGM_RSRC3_GFX90A:TG_SPLIT: 0
	.section	.text._ZN2at6native12_GLOBAL__N_125multi_tensor_apply_kernelINS1_18TensorListMetadataILi1EEENS1_21BinaryOpScalarFunctorIiLi1ELi1ELi0EEEJNS0_7maximumIiEEiEEEvT_T0_DpT1_,"axG",@progbits,_ZN2at6native12_GLOBAL__N_125multi_tensor_apply_kernelINS1_18TensorListMetadataILi1EEENS1_21BinaryOpScalarFunctorIiLi1ELi1ELi0EEEJNS0_7maximumIiEEiEEEvT_T0_DpT1_,comdat
	.globl	_ZN2at6native12_GLOBAL__N_125multi_tensor_apply_kernelINS1_18TensorListMetadataILi1EEENS1_21BinaryOpScalarFunctorIiLi1ELi1ELi0EEEJNS0_7maximumIiEEiEEEvT_T0_DpT1_ ; -- Begin function _ZN2at6native12_GLOBAL__N_125multi_tensor_apply_kernelINS1_18TensorListMetadataILi1EEENS1_21BinaryOpScalarFunctorIiLi1ELi1ELi0EEEJNS0_7maximumIiEEiEEEvT_T0_DpT1_
	.p2align	8
	.type	_ZN2at6native12_GLOBAL__N_125multi_tensor_apply_kernelINS1_18TensorListMetadataILi1EEENS1_21BinaryOpScalarFunctorIiLi1ELi1ELi0EEEJNS0_7maximumIiEEiEEEvT_T0_DpT1_,@function
_ZN2at6native12_GLOBAL__N_125multi_tensor_apply_kernelINS1_18TensorListMetadataILi1EEENS1_21BinaryOpScalarFunctorIiLi1ELi1ELi0EEEJNS0_7maximumIiEEiEEEvT_T0_DpT1_: ; @_ZN2at6native12_GLOBAL__N_125multi_tensor_apply_kernelINS1_18TensorListMetadataILi1EEENS1_21BinaryOpScalarFunctorIiLi1ELi1ELi0EEEJNS0_7maximumIiEEiEEEvT_T0_DpT1_
; %bb.0:
	v_mov_b32_e32 v1, s6
	global_load_ubyte v1, v1, s[4:5] offset:1760
	s_add_u32 s0, s4, s6
	s_mul_hi_u32 s1, s6, 3
	s_mul_i32 s6, s6, 3
	s_addc_u32 s2, s5, 0
	s_add_u32 s0, s0, s6
	s_addc_u32 s1, s2, s1
	s_load_dword s0, s[0:1], 0x820
	s_mov_b32 s7, 0
	s_waitcnt vmcnt(0)
	v_readfirstlane_b32 s1, v1
	s_lshl_b32 s1, s1, 3
	s_load_dword s22, s[4:5], 0xd2c
	s_load_dwordx2 s[2:3], s[4:5], s1 offset:0x370
	s_load_dwordx2 s[12:13], s[4:5], s1 offset:0x0
	s_waitcnt lgkmcnt(0)
	s_ashr_i32 s1, s0, 31
	s_lshl_b64 s[14:15], s[0:1], 18
	s_lshl_b64 s[0:1], s[0:1], 16
	s_and_b32 s6, s12, 15
	s_sub_u32 s10, s2, s0
	s_subb_u32 s11, s3, s1
	s_and_b32 s0, s2, 3
	s_mov_b32 s1, s7
	s_or_b64 s[0:1], s[6:7], s[0:1]
	s_cmp_eq_u64 s[0:1], 0
	s_cbranch_scc1 .LBB127_21
; %bb.1:
	v_cmp_lt_i64_e64 s[0:1], s[10:11], 1
	s_and_b64 vcc, exec, s[0:1]
	s_cbranch_vccnz .LBB127_20
; %bb.2:
	s_load_dword s0, s[4:5], 0xd3c
	v_mov_b32_e32 v2, 0x10000
	v_mov_b32_e32 v3, 0
	v_cmp_lt_u64_e32 vcc, s[10:11], v[2:3]
	v_lshlrev_b32_e32 v1, 2, v0
	s_waitcnt lgkmcnt(0)
	s_and_b32 s3, s0, 0xffff
	s_and_b64 s[0:1], vcc, exec
	s_cselect_b32 s17, s11, 0
	s_cselect_b32 s16, s10, 0x10000
	s_lshl_b32 s6, s3, 1
	s_lshl_b32 s23, s3, 2
	s_add_u32 s7, s12, s14
	s_addc_u32 s8, s13, s15
	v_mov_b32_e32 v5, s8
	v_add_co_u32_e32 v4, vcc, s7, v1
	s_mul_i32 s0, s3, 3
	v_addc_co_u32_e32 v5, vcc, 0, v5, vcc
	v_add_co_u32_e32 v1, vcc, s0, v0
	v_addc_co_u32_e64 v10, s[0:1], 0, 0, vcc
	v_add_co_u32_e32 v11, vcc, s6, v0
	v_addc_co_u32_e64 v12, s[0:1], 0, 0, vcc
	v_add_co_u32_e32 v13, vcc, s3, v0
	v_lshlrev_b32_e32 v6, 2, v13
	s_mov_b32 s2, 0
	v_addc_co_u32_e64 v14, s[0:1], 0, 0, vcc
	v_mov_b32_e32 v7, s8
	v_add_co_u32_e32 v6, vcc, s7, v6
	s_lshl_b32 s24, s3, 4
	s_mul_i32 s25, s3, 12
	s_mov_b32 s26, s2
	s_lshl_b32 s27, s3, 3
	s_mov_b32 s28, s2
	v_addc_co_u32_e32 v7, vcc, 0, v7, vcc
	s_mov_b64 s[18:19], 0
	v_pk_mov_b32 v[8:9], s[10:11], s[10:11] op_sel:[0,1]
	v_mov_b32_e32 v15, s2
	s_branch .LBB127_4
.LBB127_3:                              ;   in Loop: Header=BB127_4 Depth=1
	s_or_b64 exec, exec, s[0:1]
	s_add_u32 s18, s18, s23
	s_addc_u32 s19, s19, 0
	v_cmp_lt_i64_e32 vcc, s[18:19], v[8:9]
	v_cmp_lt_u64_e64 s[0:1], s[18:19], v[2:3]
	s_and_b64 s[0:1], vcc, s[0:1]
	v_add_co_u32_e32 v4, vcc, s24, v4
	v_addc_co_u32_e32 v5, vcc, v5, v15, vcc
	v_add_co_u32_e32 v6, vcc, s24, v6
	v_addc_co_u32_e32 v7, vcc, v7, v15, vcc
	s_and_b64 vcc, exec, s[0:1]
	s_cbranch_vccz .LBB127_20
.LBB127_4:                              ; =>This Inner Loop Header: Depth=1
	s_waitcnt vmcnt(0)
	v_mov_b32_e32 v17, s19
	v_add_co_u32_e32 v16, vcc, s18, v0
	v_addc_co_u32_e32 v17, vcc, 0, v17, vcc
	v_cmp_gt_u64_e32 vcc, s[16:17], v[16:17]
	v_mov_b32_e32 v16, 0
	s_and_saveexec_b64 s[0:1], vcc
	s_cbranch_execz .LBB127_6
; %bb.5:                                ;   in Loop: Header=BB127_4 Depth=1
	global_load_dword v16, v[4:5], off
.LBB127_6:                              ;   in Loop: Header=BB127_4 Depth=1
	s_or_b64 exec, exec, s[0:1]
	v_mov_b32_e32 v17, s19
	v_add_co_u32_e64 v18, s[0:1], s18, v13
	v_addc_co_u32_e64 v19, s[0:1], v14, v17, s[0:1]
	v_cmp_gt_u64_e64 s[0:1], s[16:17], v[18:19]
	v_mov_b32_e32 v18, 0
	s_and_saveexec_b64 s[2:3], s[0:1]
	s_cbranch_execz .LBB127_8
; %bb.7:                                ;   in Loop: Header=BB127_4 Depth=1
	global_load_dword v18, v[6:7], off
.LBB127_8:                              ;   in Loop: Header=BB127_4 Depth=1
	s_or_b64 exec, exec, s[2:3]
	v_mov_b32_e32 v17, s19
	v_add_co_u32_e64 v20, s[2:3], s18, v11
	v_addc_co_u32_e64 v21, s[2:3], v12, v17, s[2:3]
	v_cmp_gt_u64_e64 s[2:3], s[16:17], v[20:21]
	v_mov_b32_e32 v17, 0
	v_mov_b32_e32 v19, 0
	s_and_saveexec_b64 s[8:9], s[2:3]
	s_cbranch_execz .LBB127_10
; %bb.9:                                ;   in Loop: Header=BB127_4 Depth=1
	v_mov_b32_e32 v19, s28
	v_add_co_u32_e64 v20, s[6:7], s27, v4
	v_addc_co_u32_e64 v21, s[6:7], v5, v19, s[6:7]
	global_load_dword v19, v[20:21], off
.LBB127_10:                             ;   in Loop: Header=BB127_4 Depth=1
	s_or_b64 exec, exec, s[8:9]
	v_mov_b32_e32 v21, s19
	v_add_co_u32_e64 v20, s[6:7], s18, v1
	v_addc_co_u32_e64 v21, s[6:7], v10, v21, s[6:7]
	v_cmp_gt_u64_e64 s[6:7], s[16:17], v[20:21]
	s_and_saveexec_b64 s[20:21], s[6:7]
	s_cbranch_execnz .LBB127_15
; %bb.11:                               ;   in Loop: Header=BB127_4 Depth=1
	s_or_b64 exec, exec, s[20:21]
	s_and_saveexec_b64 s[8:9], vcc
	s_cbranch_execnz .LBB127_16
.LBB127_12:                             ;   in Loop: Header=BB127_4 Depth=1
	s_or_b64 exec, exec, s[8:9]
	s_and_saveexec_b64 s[8:9], s[0:1]
	s_cbranch_execnz .LBB127_17
.LBB127_13:                             ;   in Loop: Header=BB127_4 Depth=1
	s_or_b64 exec, exec, s[8:9]
	s_and_saveexec_b64 s[0:1], s[2:3]
	s_cbranch_execnz .LBB127_18
.LBB127_14:                             ;   in Loop: Header=BB127_4 Depth=1
	s_or_b64 exec, exec, s[0:1]
	s_and_saveexec_b64 s[0:1], s[6:7]
	s_cbranch_execz .LBB127_3
	s_branch .LBB127_19
.LBB127_15:                             ;   in Loop: Header=BB127_4 Depth=1
	v_mov_b32_e32 v17, s26
	v_add_co_u32_e64 v20, s[8:9], s25, v4
	v_addc_co_u32_e64 v21, s[8:9], v5, v17, s[8:9]
	global_load_dword v17, v[20:21], off
	s_or_b64 exec, exec, s[20:21]
	s_and_saveexec_b64 s[8:9], vcc
	s_cbranch_execz .LBB127_12
.LBB127_16:                             ;   in Loop: Header=BB127_4 Depth=1
	s_waitcnt vmcnt(0)
	v_max_i32_e32 v16, s22, v16
	global_store_dword v[4:5], v16, off
	s_or_b64 exec, exec, s[8:9]
	s_and_saveexec_b64 s[8:9], s[0:1]
	s_cbranch_execz .LBB127_13
.LBB127_17:                             ;   in Loop: Header=BB127_4 Depth=1
	s_waitcnt vmcnt(0)
	v_max_i32_e32 v16, s22, v18
	global_store_dword v[6:7], v16, off
	s_or_b64 exec, exec, s[8:9]
	s_and_saveexec_b64 s[0:1], s[2:3]
	s_cbranch_execz .LBB127_14
.LBB127_18:                             ;   in Loop: Header=BB127_4 Depth=1
	s_waitcnt vmcnt(0)
	v_max_i32_e32 v16, s22, v19
	v_mov_b32_e32 v19, s28
	v_add_co_u32_e32 v18, vcc, s27, v4
	v_addc_co_u32_e32 v19, vcc, v5, v19, vcc
	global_store_dword v[18:19], v16, off
	s_or_b64 exec, exec, s[0:1]
	s_and_saveexec_b64 s[0:1], s[6:7]
	s_cbranch_execz .LBB127_3
.LBB127_19:                             ;   in Loop: Header=BB127_4 Depth=1
	s_waitcnt vmcnt(0)
	v_max_i32_e32 v18, s22, v17
	v_mov_b32_e32 v17, s26
	v_add_co_u32_e32 v16, vcc, s25, v4
	v_addc_co_u32_e32 v17, vcc, v5, v17, vcc
	global_store_dword v[16:17], v18, off
	s_branch .LBB127_3
.LBB127_20:
	s_cbranch_execz .LBB127_22
	s_branch .LBB127_25
.LBB127_21:
.LBB127_22:
	v_mov_b32_e32 v3, 0
	v_lshlrev_b32_e32 v2, 2, v0
	s_mov_b32 s0, 0
	v_cmp_gt_i64_e32 vcc, s[10:11], v[2:3]
	s_and_saveexec_b64 s[2:3], vcc
	s_cbranch_execz .LBB127_25
; %bb.23:
	s_load_dword s1, s[4:5], 0xd3c
	v_lshlrev_b32_e32 v1, 4, v0
	s_mov_b32 s6, s22
	s_mov_b64 s[4:5], 0xffff
	s_waitcnt lgkmcnt(0)
	s_and_b32 s1, s1, 0xffff
	s_add_u32 s2, s12, s14
	s_addc_u32 s3, s13, s15
	v_mov_b32_e32 v2, s3
	v_add_co_u32_e32 v1, vcc, s2, v1
	v_addc_co_u32_e32 v2, vcc, 0, v2, vcc
	v_add_co_u32_e32 v4, vcc, 8, v1
	v_addc_co_u32_e32 v5, vcc, 0, v2, vcc
	s_lshl_b32 s7, s1, 4
	v_add_lshl_u32 v2, v0, s1, 2
	s_lshl_b32 s8, s1, 2
	s_mov_b64 s[2:3], 0
	v_mov_b32_e32 v0, s0
	v_mov_b32_e32 v1, s0
.LBB127_24:                             ; =>This Inner Loop Header: Depth=1
	global_load_dwordx4 v[6:9], v[4:5], off offset:-8
	v_cmp_le_i64_e32 vcc, s[10:11], v[2:3]
	v_cmp_lt_u64_e64 s[0:1], s[4:5], v[2:3]
	s_or_b64 s[0:1], vcc, s[0:1]
	s_and_b64 s[0:1], exec, s[0:1]
	s_or_b64 s[2:3], s[0:1], s[2:3]
	s_waitcnt vmcnt(0)
	v_max_i32_e32 v7, s6, v7
	v_max_i32_e32 v6, s22, v6
	;; [unrolled: 1-line block ×4, first 2 shown]
	global_store_dwordx4 v[4:5], v[6:9], off offset:-8
	v_add_co_u32_e32 v4, vcc, s7, v4
	v_addc_co_u32_e32 v5, vcc, v5, v0, vcc
	v_add_co_u32_e32 v2, vcc, s8, v2
	v_addc_co_u32_e32 v3, vcc, v3, v1, vcc
	s_andn2_b64 exec, exec, s[2:3]
	s_cbranch_execnz .LBB127_24
.LBB127_25:
	s_endpgm
	.section	.rodata,"a",@progbits
	.p2align	6, 0x0
	.amdhsa_kernel _ZN2at6native12_GLOBAL__N_125multi_tensor_apply_kernelINS1_18TensorListMetadataILi1EEENS1_21BinaryOpScalarFunctorIiLi1ELi1ELi0EEEJNS0_7maximumIiEEiEEEvT_T0_DpT1_
		.amdhsa_group_segment_fixed_size 0
		.amdhsa_private_segment_fixed_size 0
		.amdhsa_kernarg_size 3632
		.amdhsa_user_sgpr_count 6
		.amdhsa_user_sgpr_private_segment_buffer 1
		.amdhsa_user_sgpr_dispatch_ptr 0
		.amdhsa_user_sgpr_queue_ptr 0
		.amdhsa_user_sgpr_kernarg_segment_ptr 1
		.amdhsa_user_sgpr_dispatch_id 0
		.amdhsa_user_sgpr_flat_scratch_init 0
		.amdhsa_user_sgpr_kernarg_preload_length 0
		.amdhsa_user_sgpr_kernarg_preload_offset 0
		.amdhsa_user_sgpr_private_segment_size 0
		.amdhsa_uses_dynamic_stack 0
		.amdhsa_system_sgpr_private_segment_wavefront_offset 0
		.amdhsa_system_sgpr_workgroup_id_x 1
		.amdhsa_system_sgpr_workgroup_id_y 0
		.amdhsa_system_sgpr_workgroup_id_z 0
		.amdhsa_system_sgpr_workgroup_info 0
		.amdhsa_system_vgpr_workitem_id 0
		.amdhsa_next_free_vgpr 22
		.amdhsa_next_free_sgpr 29
		.amdhsa_accum_offset 24
		.amdhsa_reserve_vcc 1
		.amdhsa_reserve_flat_scratch 0
		.amdhsa_float_round_mode_32 0
		.amdhsa_float_round_mode_16_64 0
		.amdhsa_float_denorm_mode_32 3
		.amdhsa_float_denorm_mode_16_64 3
		.amdhsa_dx10_clamp 1
		.amdhsa_ieee_mode 1
		.amdhsa_fp16_overflow 0
		.amdhsa_tg_split 0
		.amdhsa_exception_fp_ieee_invalid_op 0
		.amdhsa_exception_fp_denorm_src 0
		.amdhsa_exception_fp_ieee_div_zero 0
		.amdhsa_exception_fp_ieee_overflow 0
		.amdhsa_exception_fp_ieee_underflow 0
		.amdhsa_exception_fp_ieee_inexact 0
		.amdhsa_exception_int_div_zero 0
	.end_amdhsa_kernel
	.section	.text._ZN2at6native12_GLOBAL__N_125multi_tensor_apply_kernelINS1_18TensorListMetadataILi1EEENS1_21BinaryOpScalarFunctorIiLi1ELi1ELi0EEEJNS0_7maximumIiEEiEEEvT_T0_DpT1_,"axG",@progbits,_ZN2at6native12_GLOBAL__N_125multi_tensor_apply_kernelINS1_18TensorListMetadataILi1EEENS1_21BinaryOpScalarFunctorIiLi1ELi1ELi0EEEJNS0_7maximumIiEEiEEEvT_T0_DpT1_,comdat
.Lfunc_end127:
	.size	_ZN2at6native12_GLOBAL__N_125multi_tensor_apply_kernelINS1_18TensorListMetadataILi1EEENS1_21BinaryOpScalarFunctorIiLi1ELi1ELi0EEEJNS0_7maximumIiEEiEEEvT_T0_DpT1_, .Lfunc_end127-_ZN2at6native12_GLOBAL__N_125multi_tensor_apply_kernelINS1_18TensorListMetadataILi1EEENS1_21BinaryOpScalarFunctorIiLi1ELi1ELi0EEEJNS0_7maximumIiEEiEEEvT_T0_DpT1_
                                        ; -- End function
	.section	.AMDGPU.csdata,"",@progbits
; Kernel info:
; codeLenInByte = 1024
; NumSgprs: 33
; NumVgprs: 22
; NumAgprs: 0
; TotalNumVgprs: 22
; ScratchSize: 0
; MemoryBound: 0
; FloatMode: 240
; IeeeMode: 1
; LDSByteSize: 0 bytes/workgroup (compile time only)
; SGPRBlocks: 4
; VGPRBlocks: 2
; NumSGPRsForWavesPerEU: 33
; NumVGPRsForWavesPerEU: 22
; AccumOffset: 24
; Occupancy: 8
; WaveLimiterHint : 0
; COMPUTE_PGM_RSRC2:SCRATCH_EN: 0
; COMPUTE_PGM_RSRC2:USER_SGPR: 6
; COMPUTE_PGM_RSRC2:TRAP_HANDLER: 0
; COMPUTE_PGM_RSRC2:TGID_X_EN: 1
; COMPUTE_PGM_RSRC2:TGID_Y_EN: 0
; COMPUTE_PGM_RSRC2:TGID_Z_EN: 0
; COMPUTE_PGM_RSRC2:TIDIG_COMP_CNT: 0
; COMPUTE_PGM_RSRC3_GFX90A:ACCUM_OFFSET: 5
; COMPUTE_PGM_RSRC3_GFX90A:TG_SPLIT: 0
	.section	.text._ZN2at6native12_GLOBAL__N_125multi_tensor_apply_kernelINS1_18TensorListMetadataILi1EEENS1_21BinaryOpScalarFunctorIlLi1ELi1ELi0EEEJNS0_7maximumIlEElEEEvT_T0_DpT1_,"axG",@progbits,_ZN2at6native12_GLOBAL__N_125multi_tensor_apply_kernelINS1_18TensorListMetadataILi1EEENS1_21BinaryOpScalarFunctorIlLi1ELi1ELi0EEEJNS0_7maximumIlEElEEEvT_T0_DpT1_,comdat
	.globl	_ZN2at6native12_GLOBAL__N_125multi_tensor_apply_kernelINS1_18TensorListMetadataILi1EEENS1_21BinaryOpScalarFunctorIlLi1ELi1ELi0EEEJNS0_7maximumIlEElEEEvT_T0_DpT1_ ; -- Begin function _ZN2at6native12_GLOBAL__N_125multi_tensor_apply_kernelINS1_18TensorListMetadataILi1EEENS1_21BinaryOpScalarFunctorIlLi1ELi1ELi0EEEJNS0_7maximumIlEElEEEvT_T0_DpT1_
	.p2align	8
	.type	_ZN2at6native12_GLOBAL__N_125multi_tensor_apply_kernelINS1_18TensorListMetadataILi1EEENS1_21BinaryOpScalarFunctorIlLi1ELi1ELi0EEEJNS0_7maximumIlEElEEEvT_T0_DpT1_,@function
_ZN2at6native12_GLOBAL__N_125multi_tensor_apply_kernelINS1_18TensorListMetadataILi1EEENS1_21BinaryOpScalarFunctorIlLi1ELi1ELi0EEEJNS0_7maximumIlEElEEEvT_T0_DpT1_: ; @_ZN2at6native12_GLOBAL__N_125multi_tensor_apply_kernelINS1_18TensorListMetadataILi1EEENS1_21BinaryOpScalarFunctorIlLi1ELi1ELi0EEEJNS0_7maximumIlEElEEEvT_T0_DpT1_
; %bb.0:
	v_mov_b32_e32 v1, s6
	global_load_ubyte v1, v1, s[4:5] offset:1760
	s_add_u32 s0, s4, s6
	s_mul_hi_u32 s1, s6, 3
	s_mul_i32 s6, s6, 3
	s_addc_u32 s2, s5, 0
	s_add_u32 s0, s0, s6
	s_addc_u32 s1, s2, s1
	s_load_dword s0, s[0:1], 0x820
	s_mov_b32 s7, 0
	s_waitcnt vmcnt(0)
	v_readfirstlane_b32 s1, v1
	s_lshl_b32 s1, s1, 3
	s_load_dwordx2 s[10:11], s[4:5], 0xd30
	s_load_dwordx2 s[2:3], s[4:5], s1 offset:0x370
	s_load_dwordx2 s[14:15], s[4:5], s1 offset:0x0
	s_waitcnt lgkmcnt(0)
	s_ashr_i32 s1, s0, 31
	s_lshl_b64 s[16:17], s[0:1], 19
	s_lshl_b64 s[0:1], s[0:1], 16
	s_and_b32 s6, s14, 31
	s_sub_u32 s12, s2, s0
	s_subb_u32 s13, s3, s1
	s_and_b32 s0, s2, 3
	s_mov_b32 s1, s7
	s_or_b64 s[0:1], s[6:7], s[0:1]
	s_cmp_eq_u64 s[0:1], 0
	s_cbranch_scc1 .LBB128_21
; %bb.1:
	v_cmp_lt_i64_e64 s[0:1], s[12:13], 1
	s_and_b64 vcc, exec, s[0:1]
	s_cbranch_vccnz .LBB128_20
; %bb.2:
	s_load_dword s0, s[4:5], 0xd44
	v_mov_b32_e32 v2, 0x10000
	v_mov_b32_e32 v3, 0
	v_cmp_lt_u64_e32 vcc, s[12:13], v[2:3]
	v_lshlrev_b32_e32 v1, 3, v0
	s_waitcnt lgkmcnt(0)
	s_and_b32 s3, s0, 0xffff
	s_and_b64 s[0:1], vcc, exec
	s_cselect_b32 s19, s13, 0
	s_cselect_b32 s18, s12, 0x10000
	s_lshl_b32 s6, s3, 1
	s_lshl_b32 s24, s3, 2
	s_add_u32 s7, s14, s16
	s_addc_u32 s8, s15, s17
	v_mov_b32_e32 v3, s8
	v_add_co_u32_e32 v2, vcc, s7, v1
	s_mul_i32 s0, s3, 3
	v_addc_co_u32_e32 v3, vcc, 0, v3, vcc
	v_add_co_u32_e32 v1, vcc, s0, v0
	v_addc_co_u32_e64 v16, s[0:1], 0, 0, vcc
	v_add_co_u32_e32 v17, vcc, s6, v0
	v_addc_co_u32_e64 v18, s[0:1], 0, 0, vcc
	v_add_co_u32_e32 v19, vcc, s3, v0
	v_lshlrev_b32_e32 v4, 3, v19
	s_mov_b32 s2, 0
	v_addc_co_u32_e64 v20, s[0:1], 0, 0, vcc
	v_mov_b32_e32 v5, s8
	v_add_co_u32_e32 v4, vcc, s7, v4
	s_lshl_b32 s25, s3, 5
	s_mul_i32 s26, s3, 24
	s_mov_b32 s27, s2
	s_lshl_b32 s28, s3, 4
	s_mov_b32 s29, s2
	v_addc_co_u32_e32 v5, vcc, 0, v5, vcc
	s_mov_b64 s[20:21], 0
	v_pk_mov_b32 v[6:7], s[12:13], s[12:13] op_sel:[0,1]
	v_mov_b32_e32 v21, s2
	s_branch .LBB128_4
.LBB128_3:                              ;   in Loop: Header=BB128_4 Depth=1
	s_or_b64 exec, exec, s[0:1]
	s_add_u32 s20, s20, s24
	s_waitcnt vmcnt(0)
	v_mov_b32_e32 v8, 0x10000
	s_addc_u32 s21, s21, 0
	v_mov_b32_e32 v9, 0
	v_cmp_lt_i64_e32 vcc, s[20:21], v[6:7]
	v_cmp_lt_u64_e64 s[0:1], s[20:21], v[8:9]
	s_and_b64 s[0:1], vcc, s[0:1]
	v_add_co_u32_e32 v2, vcc, s25, v2
	v_addc_co_u32_e32 v3, vcc, v3, v21, vcc
	v_add_co_u32_e32 v4, vcc, s25, v4
	v_addc_co_u32_e32 v5, vcc, v5, v21, vcc
	s_and_b64 vcc, exec, s[0:1]
	s_cbranch_vccz .LBB128_20
.LBB128_4:                              ; =>This Inner Loop Header: Depth=1
	v_mov_b32_e32 v9, s21
	v_add_co_u32_e32 v8, vcc, s20, v0
	v_addc_co_u32_e32 v9, vcc, 0, v9, vcc
	v_cmp_gt_u64_e32 vcc, s[18:19], v[8:9]
	v_pk_mov_b32 v[8:9], 0, 0
	v_pk_mov_b32 v[12:13], v[8:9], v[8:9] op_sel:[0,1]
	s_and_saveexec_b64 s[0:1], vcc
	s_cbranch_execz .LBB128_6
; %bb.5:                                ;   in Loop: Header=BB128_4 Depth=1
	global_load_dwordx2 v[12:13], v[2:3], off
.LBB128_6:                              ;   in Loop: Header=BB128_4 Depth=1
	s_or_b64 exec, exec, s[0:1]
	v_mov_b32_e32 v11, s21
	v_add_co_u32_e64 v10, s[0:1], s20, v19
	v_addc_co_u32_e64 v11, s[0:1], v20, v11, s[0:1]
	v_cmp_gt_u64_e64 s[0:1], s[18:19], v[10:11]
	s_and_saveexec_b64 s[2:3], s[0:1]
	s_cbranch_execz .LBB128_8
; %bb.7:                                ;   in Loop: Header=BB128_4 Depth=1
	global_load_dwordx2 v[8:9], v[4:5], off
.LBB128_8:                              ;   in Loop: Header=BB128_4 Depth=1
	s_or_b64 exec, exec, s[2:3]
	v_mov_b32_e32 v11, s21
	v_add_co_u32_e64 v10, s[2:3], s20, v17
	v_addc_co_u32_e64 v11, s[2:3], v18, v11, s[2:3]
	v_cmp_gt_u64_e64 s[2:3], s[18:19], v[10:11]
	v_pk_mov_b32 v[10:11], 0, 0
	v_pk_mov_b32 v[14:15], v[10:11], v[10:11] op_sel:[0,1]
	s_and_saveexec_b64 s[8:9], s[2:3]
	s_cbranch_execz .LBB128_10
; %bb.9:                                ;   in Loop: Header=BB128_4 Depth=1
	v_mov_b32_e32 v15, s29
	v_add_co_u32_e64 v14, s[6:7], s28, v2
	v_addc_co_u32_e64 v15, s[6:7], v3, v15, s[6:7]
	global_load_dwordx2 v[14:15], v[14:15], off
.LBB128_10:                             ;   in Loop: Header=BB128_4 Depth=1
	s_or_b64 exec, exec, s[8:9]
	v_mov_b32_e32 v23, s21
	v_add_co_u32_e64 v22, s[6:7], s20, v1
	v_addc_co_u32_e64 v23, s[6:7], v16, v23, s[6:7]
	v_cmp_gt_u64_e64 s[6:7], s[18:19], v[22:23]
	s_and_saveexec_b64 s[22:23], s[6:7]
	s_cbranch_execnz .LBB128_15
; %bb.11:                               ;   in Loop: Header=BB128_4 Depth=1
	s_or_b64 exec, exec, s[22:23]
	s_and_saveexec_b64 s[8:9], vcc
	s_cbranch_execnz .LBB128_16
.LBB128_12:                             ;   in Loop: Header=BB128_4 Depth=1
	s_or_b64 exec, exec, s[8:9]
	s_and_saveexec_b64 s[8:9], s[0:1]
	s_cbranch_execnz .LBB128_17
.LBB128_13:                             ;   in Loop: Header=BB128_4 Depth=1
	s_or_b64 exec, exec, s[8:9]
	s_and_saveexec_b64 s[0:1], s[2:3]
	s_cbranch_execnz .LBB128_18
.LBB128_14:                             ;   in Loop: Header=BB128_4 Depth=1
	s_or_b64 exec, exec, s[0:1]
	s_and_saveexec_b64 s[0:1], s[6:7]
	s_cbranch_execz .LBB128_3
	s_branch .LBB128_19
.LBB128_15:                             ;   in Loop: Header=BB128_4 Depth=1
	v_mov_b32_e32 v11, s27
	v_add_co_u32_e64 v10, s[8:9], s26, v2
	v_addc_co_u32_e64 v11, s[8:9], v3, v11, s[8:9]
	global_load_dwordx2 v[10:11], v[10:11], off
	s_or_b64 exec, exec, s[22:23]
	s_and_saveexec_b64 s[8:9], vcc
	s_cbranch_execz .LBB128_12
.LBB128_16:                             ;   in Loop: Header=BB128_4 Depth=1
	v_mov_b32_e32 v22, s11
	s_waitcnt vmcnt(0)
	v_cmp_lt_i64_e32 vcc, s[10:11], v[12:13]
	v_cndmask_b32_e32 v13, v22, v13, vcc
	v_mov_b32_e32 v22, s10
	v_cndmask_b32_e32 v12, v22, v12, vcc
	global_store_dwordx2 v[2:3], v[12:13], off
	s_or_b64 exec, exec, s[8:9]
	s_and_saveexec_b64 s[8:9], s[0:1]
	s_cbranch_execz .LBB128_13
.LBB128_17:                             ;   in Loop: Header=BB128_4 Depth=1
	s_waitcnt vmcnt(0)
	v_mov_b32_e32 v12, s11
	v_cmp_lt_i64_e32 vcc, s[10:11], v[8:9]
	v_cndmask_b32_e32 v9, v12, v9, vcc
	v_mov_b32_e32 v12, s10
	v_cndmask_b32_e32 v8, v12, v8, vcc
	global_store_dwordx2 v[4:5], v[8:9], off
	s_or_b64 exec, exec, s[8:9]
	s_and_saveexec_b64 s[0:1], s[2:3]
	s_cbranch_execz .LBB128_14
.LBB128_18:                             ;   in Loop: Header=BB128_4 Depth=1
	s_waitcnt vmcnt(0)
	v_mov_b32_e32 v8, s11
	v_cmp_lt_i64_e32 vcc, s[10:11], v[14:15]
	v_cndmask_b32_e32 v9, v8, v15, vcc
	v_mov_b32_e32 v8, s10
	v_cndmask_b32_e32 v8, v8, v14, vcc
	v_mov_b32_e32 v13, s29
	v_add_co_u32_e32 v12, vcc, s28, v2
	v_addc_co_u32_e32 v13, vcc, v3, v13, vcc
	global_store_dwordx2 v[12:13], v[8:9], off
	s_or_b64 exec, exec, s[0:1]
	s_and_saveexec_b64 s[0:1], s[6:7]
	s_cbranch_execz .LBB128_3
.LBB128_19:                             ;   in Loop: Header=BB128_4 Depth=1
	s_waitcnt vmcnt(0)
	v_mov_b32_e32 v8, s11
	v_cmp_lt_i64_e32 vcc, s[10:11], v[10:11]
	v_cndmask_b32_e32 v9, v8, v11, vcc
	v_mov_b32_e32 v8, s10
	v_cndmask_b32_e32 v8, v8, v10, vcc
	v_mov_b32_e32 v11, s27
	v_add_co_u32_e32 v10, vcc, s26, v2
	v_addc_co_u32_e32 v11, vcc, v3, v11, vcc
	global_store_dwordx2 v[10:11], v[8:9], off
	s_branch .LBB128_3
.LBB128_20:
	s_cbranch_execz .LBB128_22
	s_branch .LBB128_25
.LBB128_21:
.LBB128_22:
	v_mov_b32_e32 v3, 0
	v_lshlrev_b32_e32 v2, 2, v0
	s_mov_b32 s0, 0
	v_cmp_gt_i64_e32 vcc, s[12:13], v[2:3]
	s_and_saveexec_b64 s[2:3], vcc
	s_cbranch_execz .LBB128_25
; %bb.23:
	s_load_dword s1, s[4:5], 0xd44
	v_lshlrev_b32_e32 v1, 5, v0
	s_mov_b64 s[6:7], 0
	v_mov_b32_e32 v5, s10
	s_mov_b64 s[8:9], 0xffff
	s_waitcnt lgkmcnt(0)
	s_and_b32 s1, s1, 0xffff
	s_lshl_b32 s18, s1, 2
	s_add_u32 s2, s14, s16
	s_addc_u32 s3, s15, s17
	v_add_lshl_u32 v2, v0, s1, 2
	v_mov_b32_e32 v0, s3
	v_add_co_u32_e32 v1, vcc, s2, v1
	v_addc_co_u32_e32 v4, vcc, 0, v0, vcc
	v_add_co_u32_e32 v0, vcc, 16, v1
	v_addc_co_u32_e32 v1, vcc, 0, v4, vcc
	s_lshl_b32 s14, s1, 5
	v_mov_b32_e32 v4, s11
	v_mov_b32_e32 v6, s0
	;; [unrolled: 1-line block ×3, first 2 shown]
.LBB128_24:                             ; =>This Inner Loop Header: Depth=1
	global_load_dwordx4 v[8:11], v[0:1], off offset:-16
	global_load_dwordx4 v[12:15], v[0:1], off
	v_cmp_le_i64_e32 vcc, s[12:13], v[2:3]
	v_cmp_lt_u64_e64 s[0:1], s[8:9], v[2:3]
	s_or_b64 s[0:1], vcc, s[0:1]
	v_add_co_u32_e64 v2, s[2:3], s18, v2
	s_and_b64 s[0:1], exec, s[0:1]
	v_addc_co_u32_e64 v3, s[2:3], v3, v6, s[2:3]
	s_or_b64 s[6:7], s[0:1], s[6:7]
	s_waitcnt vmcnt(1)
	v_cmp_lt_i64_e32 vcc, s[10:11], v[8:9]
	v_cmp_lt_i64_e64 s[0:1], s[10:11], v[10:11]
	v_cndmask_b32_e32 v9, v4, v9, vcc
	v_cndmask_b32_e64 v11, v4, v11, s[0:1]
	s_waitcnt vmcnt(0)
	v_cmp_lt_i64_e64 s[2:3], s[10:11], v[12:13]
	v_cmp_lt_i64_e64 s[4:5], s[10:11], v[14:15]
	v_cndmask_b32_e32 v8, v5, v8, vcc
	v_cndmask_b32_e64 v10, v5, v10, s[0:1]
	v_cndmask_b32_e64 v13, v4, v13, s[2:3]
	;; [unrolled: 1-line block ×5, first 2 shown]
	global_store_dwordx4 v[0:1], v[8:11], off offset:-16
	global_store_dwordx4 v[0:1], v[12:15], off
	v_add_co_u32_e32 v0, vcc, s14, v0
	v_addc_co_u32_e32 v1, vcc, v1, v7, vcc
	s_andn2_b64 exec, exec, s[6:7]
	s_cbranch_execnz .LBB128_24
.LBB128_25:
	s_endpgm
	.section	.rodata,"a",@progbits
	.p2align	6, 0x0
	.amdhsa_kernel _ZN2at6native12_GLOBAL__N_125multi_tensor_apply_kernelINS1_18TensorListMetadataILi1EEENS1_21BinaryOpScalarFunctorIlLi1ELi1ELi0EEEJNS0_7maximumIlEElEEEvT_T0_DpT1_
		.amdhsa_group_segment_fixed_size 0
		.amdhsa_private_segment_fixed_size 0
		.amdhsa_kernarg_size 3640
		.amdhsa_user_sgpr_count 6
		.amdhsa_user_sgpr_private_segment_buffer 1
		.amdhsa_user_sgpr_dispatch_ptr 0
		.amdhsa_user_sgpr_queue_ptr 0
		.amdhsa_user_sgpr_kernarg_segment_ptr 1
		.amdhsa_user_sgpr_dispatch_id 0
		.amdhsa_user_sgpr_flat_scratch_init 0
		.amdhsa_user_sgpr_kernarg_preload_length 0
		.amdhsa_user_sgpr_kernarg_preload_offset 0
		.amdhsa_user_sgpr_private_segment_size 0
		.amdhsa_uses_dynamic_stack 0
		.amdhsa_system_sgpr_private_segment_wavefront_offset 0
		.amdhsa_system_sgpr_workgroup_id_x 1
		.amdhsa_system_sgpr_workgroup_id_y 0
		.amdhsa_system_sgpr_workgroup_id_z 0
		.amdhsa_system_sgpr_workgroup_info 0
		.amdhsa_system_vgpr_workitem_id 0
		.amdhsa_next_free_vgpr 24
		.amdhsa_next_free_sgpr 30
		.amdhsa_accum_offset 24
		.amdhsa_reserve_vcc 1
		.amdhsa_reserve_flat_scratch 0
		.amdhsa_float_round_mode_32 0
		.amdhsa_float_round_mode_16_64 0
		.amdhsa_float_denorm_mode_32 3
		.amdhsa_float_denorm_mode_16_64 3
		.amdhsa_dx10_clamp 1
		.amdhsa_ieee_mode 1
		.amdhsa_fp16_overflow 0
		.amdhsa_tg_split 0
		.amdhsa_exception_fp_ieee_invalid_op 0
		.amdhsa_exception_fp_denorm_src 0
		.amdhsa_exception_fp_ieee_div_zero 0
		.amdhsa_exception_fp_ieee_overflow 0
		.amdhsa_exception_fp_ieee_underflow 0
		.amdhsa_exception_fp_ieee_inexact 0
		.amdhsa_exception_int_div_zero 0
	.end_amdhsa_kernel
	.section	.text._ZN2at6native12_GLOBAL__N_125multi_tensor_apply_kernelINS1_18TensorListMetadataILi1EEENS1_21BinaryOpScalarFunctorIlLi1ELi1ELi0EEEJNS0_7maximumIlEElEEEvT_T0_DpT1_,"axG",@progbits,_ZN2at6native12_GLOBAL__N_125multi_tensor_apply_kernelINS1_18TensorListMetadataILi1EEENS1_21BinaryOpScalarFunctorIlLi1ELi1ELi0EEEJNS0_7maximumIlEElEEEvT_T0_DpT1_,comdat
.Lfunc_end128:
	.size	_ZN2at6native12_GLOBAL__N_125multi_tensor_apply_kernelINS1_18TensorListMetadataILi1EEENS1_21BinaryOpScalarFunctorIlLi1ELi1ELi0EEEJNS0_7maximumIlEElEEEvT_T0_DpT1_, .Lfunc_end128-_ZN2at6native12_GLOBAL__N_125multi_tensor_apply_kernelINS1_18TensorListMetadataILi1EEENS1_21BinaryOpScalarFunctorIlLi1ELi1ELi0EEEJNS0_7maximumIlEElEEEvT_T0_DpT1_
                                        ; -- End function
	.section	.AMDGPU.csdata,"",@progbits
; Kernel info:
; codeLenInByte = 1216
; NumSgprs: 34
; NumVgprs: 24
; NumAgprs: 0
; TotalNumVgprs: 24
; ScratchSize: 0
; MemoryBound: 0
; FloatMode: 240
; IeeeMode: 1
; LDSByteSize: 0 bytes/workgroup (compile time only)
; SGPRBlocks: 4
; VGPRBlocks: 2
; NumSGPRsForWavesPerEU: 34
; NumVGPRsForWavesPerEU: 24
; AccumOffset: 24
; Occupancy: 8
; WaveLimiterHint : 0
; COMPUTE_PGM_RSRC2:SCRATCH_EN: 0
; COMPUTE_PGM_RSRC2:USER_SGPR: 6
; COMPUTE_PGM_RSRC2:TRAP_HANDLER: 0
; COMPUTE_PGM_RSRC2:TGID_X_EN: 1
; COMPUTE_PGM_RSRC2:TGID_Y_EN: 0
; COMPUTE_PGM_RSRC2:TGID_Z_EN: 0
; COMPUTE_PGM_RSRC2:TIDIG_COMP_CNT: 0
; COMPUTE_PGM_RSRC3_GFX90A:ACCUM_OFFSET: 5
; COMPUTE_PGM_RSRC3_GFX90A:TG_SPLIT: 0
	.section	.text._ZN2at6native12_GLOBAL__N_125multi_tensor_apply_kernelINS1_18TensorListMetadataILi1EEENS1_21BinaryOpScalarFunctorIsLi1ELi1ELi0EEEJNS0_7maximumIsEEsEEEvT_T0_DpT1_,"axG",@progbits,_ZN2at6native12_GLOBAL__N_125multi_tensor_apply_kernelINS1_18TensorListMetadataILi1EEENS1_21BinaryOpScalarFunctorIsLi1ELi1ELi0EEEJNS0_7maximumIsEEsEEEvT_T0_DpT1_,comdat
	.globl	_ZN2at6native12_GLOBAL__N_125multi_tensor_apply_kernelINS1_18TensorListMetadataILi1EEENS1_21BinaryOpScalarFunctorIsLi1ELi1ELi0EEEJNS0_7maximumIsEEsEEEvT_T0_DpT1_ ; -- Begin function _ZN2at6native12_GLOBAL__N_125multi_tensor_apply_kernelINS1_18TensorListMetadataILi1EEENS1_21BinaryOpScalarFunctorIsLi1ELi1ELi0EEEJNS0_7maximumIsEEsEEEvT_T0_DpT1_
	.p2align	8
	.type	_ZN2at6native12_GLOBAL__N_125multi_tensor_apply_kernelINS1_18TensorListMetadataILi1EEENS1_21BinaryOpScalarFunctorIsLi1ELi1ELi0EEEJNS0_7maximumIsEEsEEEvT_T0_DpT1_,@function
_ZN2at6native12_GLOBAL__N_125multi_tensor_apply_kernelINS1_18TensorListMetadataILi1EEENS1_21BinaryOpScalarFunctorIsLi1ELi1ELi0EEEJNS0_7maximumIsEEsEEEvT_T0_DpT1_: ; @_ZN2at6native12_GLOBAL__N_125multi_tensor_apply_kernelINS1_18TensorListMetadataILi1EEENS1_21BinaryOpScalarFunctorIsLi1ELi1ELi0EEEJNS0_7maximumIsEEsEEEvT_T0_DpT1_
; %bb.0:
	v_mov_b32_e32 v1, s6
	global_load_ubyte v1, v1, s[4:5] offset:1760
	s_load_dword s0, s[4:5], 0xd28
	s_mul_i32 s2, s6, 3
	s_mul_hi_u32 s1, s6, 3
	s_mov_b32 s7, 0
	s_waitcnt lgkmcnt(0)
	s_lshr_b32 s22, s0, 16
	s_add_u32 s0, s4, s6
	s_addc_u32 s3, s5, 0
	s_add_u32 s0, s0, s2
	s_addc_u32 s1, s3, s1
	s_load_dword s0, s[0:1], 0x820
	s_waitcnt vmcnt(0)
	v_readfirstlane_b32 s2, v1
	s_lshl_b32 s1, s2, 3
	s_load_dwordx2 s[2:3], s[4:5], s1 offset:0x370
	s_load_dwordx2 s[12:13], s[4:5], s1 offset:0x0
	s_waitcnt lgkmcnt(0)
	s_ashr_i32 s1, s0, 31
	s_lshl_b64 s[14:15], s[0:1], 17
	s_lshl_b64 s[0:1], s[0:1], 16
	s_and_b32 s6, s12, 7
	s_sub_u32 s10, s2, s0
	s_subb_u32 s11, s3, s1
	s_and_b32 s0, s2, 3
	s_mov_b32 s1, s7
	s_or_b64 s[0:1], s[6:7], s[0:1]
	s_cmp_eq_u64 s[0:1], 0
	s_cbranch_scc1 .LBB129_21
; %bb.1:
	v_cmp_lt_i64_e64 s[0:1], s[10:11], 1
	s_and_b64 vcc, exec, s[0:1]
	s_cbranch_vccnz .LBB129_20
; %bb.2:
	s_load_dword s0, s[4:5], 0xd3c
	v_mov_b32_e32 v2, 0x10000
	v_mov_b32_e32 v3, 0
	v_cmp_lt_u64_e32 vcc, s[10:11], v[2:3]
	v_lshlrev_b32_e32 v1, 1, v0
	s_waitcnt lgkmcnt(0)
	s_and_b32 s2, s0, 0xffff
	s_and_b64 s[0:1], vcc, exec
	s_cselect_b32 s17, s11, 0
	s_cselect_b32 s16, s10, 0x10000
	s_lshl_b32 s3, s2, 1
	s_lshl_b32 s24, s2, 2
	s_add_u32 s6, s12, s14
	s_addc_u32 s7, s13, s15
	v_mov_b32_e32 v5, s7
	v_add_co_u32_e32 v4, vcc, s6, v1
	s_mul_i32 s0, s2, 3
	v_addc_co_u32_e32 v5, vcc, 0, v5, vcc
	v_add_co_u32_e32 v1, vcc, s0, v0
	v_addc_co_u32_e64 v10, s[0:1], 0, 0, vcc
	v_add_co_u32_e32 v11, vcc, s3, v0
	v_addc_co_u32_e64 v12, s[0:1], 0, 0, vcc
	v_add_co_u32_e32 v13, vcc, s2, v0
	v_lshlrev_b32_e32 v6, 1, v13
	s_mov_b32 s23, 0
	v_addc_co_u32_e64 v14, s[0:1], 0, 0, vcc
	v_mov_b32_e32 v7, s7
	v_add_co_u32_e32 v6, vcc, s6, v6
	s_lshl_b32 s25, s2, 3
	s_mul_i32 s26, s2, 6
	s_mov_b32 s27, s23
	v_addc_co_u32_e32 v7, vcc, 0, v7, vcc
	s_mov_b64 s[18:19], 0
	v_pk_mov_b32 v[8:9], s[10:11], s[10:11] op_sel:[0,1]
	v_mov_b32_e32 v15, s23
	s_branch .LBB129_4
.LBB129_3:                              ;   in Loop: Header=BB129_4 Depth=1
	s_or_b64 exec, exec, s[0:1]
	s_add_u32 s18, s18, s24
	s_addc_u32 s19, s19, 0
	v_cmp_lt_i64_e32 vcc, s[18:19], v[8:9]
	v_cmp_lt_u64_e64 s[0:1], s[18:19], v[2:3]
	s_and_b64 s[0:1], vcc, s[0:1]
	v_add_co_u32_e32 v4, vcc, s25, v4
	v_addc_co_u32_e32 v5, vcc, v5, v15, vcc
	v_add_co_u32_e32 v6, vcc, s25, v6
	v_addc_co_u32_e32 v7, vcc, v7, v15, vcc
	s_and_b64 vcc, exec, s[0:1]
	s_cbranch_vccz .LBB129_20
.LBB129_4:                              ; =>This Inner Loop Header: Depth=1
	s_waitcnt vmcnt(0)
	v_mov_b32_e32 v17, s19
	v_add_co_u32_e32 v16, vcc, s18, v0
	v_addc_co_u32_e32 v17, vcc, 0, v17, vcc
	v_cmp_gt_u64_e32 vcc, s[16:17], v[16:17]
	v_mov_b32_e32 v16, 0
	s_and_saveexec_b64 s[0:1], vcc
	s_cbranch_execz .LBB129_6
; %bb.5:                                ;   in Loop: Header=BB129_4 Depth=1
	global_load_ushort v16, v[4:5], off
.LBB129_6:                              ;   in Loop: Header=BB129_4 Depth=1
	s_or_b64 exec, exec, s[0:1]
	v_mov_b32_e32 v17, s19
	v_add_co_u32_e64 v18, s[0:1], s18, v13
	v_addc_co_u32_e64 v19, s[0:1], v14, v17, s[0:1]
	v_cmp_gt_u64_e64 s[0:1], s[16:17], v[18:19]
	v_mov_b32_e32 v18, 0
	s_and_saveexec_b64 s[2:3], s[0:1]
	s_cbranch_execz .LBB129_8
; %bb.7:                                ;   in Loop: Header=BB129_4 Depth=1
	global_load_ushort v18, v[6:7], off
.LBB129_8:                              ;   in Loop: Header=BB129_4 Depth=1
	s_or_b64 exec, exec, s[2:3]
	v_mov_b32_e32 v17, s19
	v_add_co_u32_e64 v20, s[2:3], s18, v11
	v_addc_co_u32_e64 v21, s[2:3], v12, v17, s[2:3]
	v_cmp_gt_u64_e64 s[2:3], s[16:17], v[20:21]
	v_mov_b32_e32 v17, 0
	v_mov_b32_e32 v19, 0
	s_and_saveexec_b64 s[8:9], s[2:3]
	s_cbranch_execz .LBB129_10
; %bb.9:                                ;   in Loop: Header=BB129_4 Depth=1
	v_mov_b32_e32 v19, s23
	v_add_co_u32_e64 v20, s[6:7], s24, v4
	v_addc_co_u32_e64 v21, s[6:7], v5, v19, s[6:7]
	global_load_ushort v19, v[20:21], off
.LBB129_10:                             ;   in Loop: Header=BB129_4 Depth=1
	s_or_b64 exec, exec, s[8:9]
	v_mov_b32_e32 v21, s19
	v_add_co_u32_e64 v20, s[6:7], s18, v1
	v_addc_co_u32_e64 v21, s[6:7], v10, v21, s[6:7]
	v_cmp_gt_u64_e64 s[6:7], s[16:17], v[20:21]
	s_and_saveexec_b64 s[20:21], s[6:7]
	s_cbranch_execnz .LBB129_15
; %bb.11:                               ;   in Loop: Header=BB129_4 Depth=1
	s_or_b64 exec, exec, s[20:21]
	s_and_saveexec_b64 s[8:9], vcc
	s_cbranch_execnz .LBB129_16
.LBB129_12:                             ;   in Loop: Header=BB129_4 Depth=1
	s_or_b64 exec, exec, s[8:9]
	s_and_saveexec_b64 s[8:9], s[0:1]
	s_cbranch_execnz .LBB129_17
.LBB129_13:                             ;   in Loop: Header=BB129_4 Depth=1
	s_or_b64 exec, exec, s[8:9]
	s_and_saveexec_b64 s[0:1], s[2:3]
	s_cbranch_execnz .LBB129_18
.LBB129_14:                             ;   in Loop: Header=BB129_4 Depth=1
	s_or_b64 exec, exec, s[0:1]
	s_and_saveexec_b64 s[0:1], s[6:7]
	s_cbranch_execz .LBB129_3
	s_branch .LBB129_19
.LBB129_15:                             ;   in Loop: Header=BB129_4 Depth=1
	v_mov_b32_e32 v17, s27
	v_add_co_u32_e64 v20, s[8:9], s26, v4
	v_addc_co_u32_e64 v21, s[8:9], v5, v17, s[8:9]
	global_load_ushort v17, v[20:21], off
	s_or_b64 exec, exec, s[20:21]
	s_and_saveexec_b64 s[8:9], vcc
	s_cbranch_execz .LBB129_12
.LBB129_16:                             ;   in Loop: Header=BB129_4 Depth=1
	s_waitcnt vmcnt(0)
	v_max_i16_e32 v16, s22, v16
	global_store_short v[4:5], v16, off
	s_or_b64 exec, exec, s[8:9]
	s_and_saveexec_b64 s[8:9], s[0:1]
	s_cbranch_execz .LBB129_13
.LBB129_17:                             ;   in Loop: Header=BB129_4 Depth=1
	s_waitcnt vmcnt(0)
	v_max_i16_e32 v16, s22, v18
	global_store_short v[6:7], v16, off
	s_or_b64 exec, exec, s[8:9]
	s_and_saveexec_b64 s[0:1], s[2:3]
	s_cbranch_execz .LBB129_14
.LBB129_18:                             ;   in Loop: Header=BB129_4 Depth=1
	s_waitcnt vmcnt(0)
	v_max_i16_e32 v16, s22, v19
	v_mov_b32_e32 v19, s23
	v_add_co_u32_e32 v18, vcc, s24, v4
	v_addc_co_u32_e32 v19, vcc, v5, v19, vcc
	global_store_short v[18:19], v16, off
	s_or_b64 exec, exec, s[0:1]
	s_and_saveexec_b64 s[0:1], s[6:7]
	s_cbranch_execz .LBB129_3
.LBB129_19:                             ;   in Loop: Header=BB129_4 Depth=1
	s_waitcnt vmcnt(0)
	v_max_i16_e32 v18, s22, v17
	v_mov_b32_e32 v17, s27
	v_add_co_u32_e32 v16, vcc, s26, v4
	v_addc_co_u32_e32 v17, vcc, v5, v17, vcc
	global_store_short v[16:17], v18, off
	s_branch .LBB129_3
.LBB129_20:
	s_cbranch_execz .LBB129_22
	s_branch .LBB129_25
.LBB129_21:
.LBB129_22:
	v_mov_b32_e32 v3, 0
	v_lshlrev_b32_e32 v2, 2, v0
	s_mov_b32 s0, 0
	v_cmp_gt_i64_e32 vcc, s[10:11], v[2:3]
	s_and_saveexec_b64 s[2:3], vcc
	s_cbranch_execz .LBB129_25
; %bb.23:
	s_load_dword s1, s[4:5], 0xd3c
	v_lshlrev_b32_e32 v1, 3, v0
	s_mov_b64 s[4:5], 0xffff
	s_waitcnt lgkmcnt(0)
	s_and_b32 s1, s1, 0xffff
	s_add_u32 s2, s12, s14
	s_addc_u32 s3, s13, s15
	v_mov_b32_e32 v2, s3
	v_add_co_u32_e32 v4, vcc, s2, v1
	v_addc_co_u32_e32 v5, vcc, 0, v2, vcc
	s_lshl_b32 s6, s1, 3
	v_add_lshl_u32 v2, v0, s1, 2
	s_lshl_b32 s7, s1, 2
	s_mov_b64 s[2:3], 0
	v_mov_b32_e32 v0, s0
	v_mov_b32_e32 v1, s0
.LBB129_24:                             ; =>This Inner Loop Header: Depth=1
	global_load_dwordx2 v[6:7], v[4:5], off
	v_cmp_le_i64_e32 vcc, s[10:11], v[2:3]
	v_cmp_lt_u64_e64 s[0:1], s[4:5], v[2:3]
	s_or_b64 s[0:1], vcc, s[0:1]
	s_and_b64 s[0:1], exec, s[0:1]
	s_or_b64 s[2:3], s[0:1], s[2:3]
	s_waitcnt vmcnt(0)
	v_max_i16_sdwa v8, v6, s22 dst_sel:WORD_1 dst_unused:UNUSED_PAD src0_sel:WORD_1 src1_sel:DWORD
	v_max_i16_sdwa v9, v7, s22 dst_sel:WORD_1 dst_unused:UNUSED_PAD src0_sel:WORD_1 src1_sel:DWORD
	v_max_i16_e32 v7, s22, v7
	v_max_i16_e32 v6, s22, v6
	v_or_b32_e32 v7, v9, v7
	v_or_b32_e32 v6, v8, v6
	global_store_dwordx2 v[4:5], v[6:7], off
	v_add_co_u32_e32 v4, vcc, s6, v4
	v_addc_co_u32_e32 v5, vcc, v5, v0, vcc
	v_add_co_u32_e32 v2, vcc, s7, v2
	v_addc_co_u32_e32 v3, vcc, v3, v1, vcc
	s_andn2_b64 exec, exec, s[2:3]
	s_cbranch_execnz .LBB129_24
.LBB129_25:
	s_endpgm
	.section	.rodata,"a",@progbits
	.p2align	6, 0x0
	.amdhsa_kernel _ZN2at6native12_GLOBAL__N_125multi_tensor_apply_kernelINS1_18TensorListMetadataILi1EEENS1_21BinaryOpScalarFunctorIsLi1ELi1ELi0EEEJNS0_7maximumIsEEsEEEvT_T0_DpT1_
		.amdhsa_group_segment_fixed_size 0
		.amdhsa_private_segment_fixed_size 0
		.amdhsa_kernarg_size 3632
		.amdhsa_user_sgpr_count 6
		.amdhsa_user_sgpr_private_segment_buffer 1
		.amdhsa_user_sgpr_dispatch_ptr 0
		.amdhsa_user_sgpr_queue_ptr 0
		.amdhsa_user_sgpr_kernarg_segment_ptr 1
		.amdhsa_user_sgpr_dispatch_id 0
		.amdhsa_user_sgpr_flat_scratch_init 0
		.amdhsa_user_sgpr_kernarg_preload_length 0
		.amdhsa_user_sgpr_kernarg_preload_offset 0
		.amdhsa_user_sgpr_private_segment_size 0
		.amdhsa_uses_dynamic_stack 0
		.amdhsa_system_sgpr_private_segment_wavefront_offset 0
		.amdhsa_system_sgpr_workgroup_id_x 1
		.amdhsa_system_sgpr_workgroup_id_y 0
		.amdhsa_system_sgpr_workgroup_id_z 0
		.amdhsa_system_sgpr_workgroup_info 0
		.amdhsa_system_vgpr_workitem_id 0
		.amdhsa_next_free_vgpr 22
		.amdhsa_next_free_sgpr 28
		.amdhsa_accum_offset 24
		.amdhsa_reserve_vcc 1
		.amdhsa_reserve_flat_scratch 0
		.amdhsa_float_round_mode_32 0
		.amdhsa_float_round_mode_16_64 0
		.amdhsa_float_denorm_mode_32 3
		.amdhsa_float_denorm_mode_16_64 3
		.amdhsa_dx10_clamp 1
		.amdhsa_ieee_mode 1
		.amdhsa_fp16_overflow 0
		.amdhsa_tg_split 0
		.amdhsa_exception_fp_ieee_invalid_op 0
		.amdhsa_exception_fp_denorm_src 0
		.amdhsa_exception_fp_ieee_div_zero 0
		.amdhsa_exception_fp_ieee_overflow 0
		.amdhsa_exception_fp_ieee_underflow 0
		.amdhsa_exception_fp_ieee_inexact 0
		.amdhsa_exception_int_div_zero 0
	.end_amdhsa_kernel
	.section	.text._ZN2at6native12_GLOBAL__N_125multi_tensor_apply_kernelINS1_18TensorListMetadataILi1EEENS1_21BinaryOpScalarFunctorIsLi1ELi1ELi0EEEJNS0_7maximumIsEEsEEEvT_T0_DpT1_,"axG",@progbits,_ZN2at6native12_GLOBAL__N_125multi_tensor_apply_kernelINS1_18TensorListMetadataILi1EEENS1_21BinaryOpScalarFunctorIsLi1ELi1ELi0EEEJNS0_7maximumIsEEsEEEvT_T0_DpT1_,comdat
.Lfunc_end129:
	.size	_ZN2at6native12_GLOBAL__N_125multi_tensor_apply_kernelINS1_18TensorListMetadataILi1EEENS1_21BinaryOpScalarFunctorIsLi1ELi1ELi0EEEJNS0_7maximumIsEEsEEEvT_T0_DpT1_, .Lfunc_end129-_ZN2at6native12_GLOBAL__N_125multi_tensor_apply_kernelINS1_18TensorListMetadataILi1EEENS1_21BinaryOpScalarFunctorIsLi1ELi1ELi0EEEJNS0_7maximumIsEEsEEEvT_T0_DpT1_
                                        ; -- End function
	.section	.AMDGPU.csdata,"",@progbits
; Kernel info:
; codeLenInByte = 1028
; NumSgprs: 32
; NumVgprs: 22
; NumAgprs: 0
; TotalNumVgprs: 22
; ScratchSize: 0
; MemoryBound: 0
; FloatMode: 240
; IeeeMode: 1
; LDSByteSize: 0 bytes/workgroup (compile time only)
; SGPRBlocks: 3
; VGPRBlocks: 2
; NumSGPRsForWavesPerEU: 32
; NumVGPRsForWavesPerEU: 22
; AccumOffset: 24
; Occupancy: 8
; WaveLimiterHint : 0
; COMPUTE_PGM_RSRC2:SCRATCH_EN: 0
; COMPUTE_PGM_RSRC2:USER_SGPR: 6
; COMPUTE_PGM_RSRC2:TRAP_HANDLER: 0
; COMPUTE_PGM_RSRC2:TGID_X_EN: 1
; COMPUTE_PGM_RSRC2:TGID_Y_EN: 0
; COMPUTE_PGM_RSRC2:TGID_Z_EN: 0
; COMPUTE_PGM_RSRC2:TIDIG_COMP_CNT: 0
; COMPUTE_PGM_RSRC3_GFX90A:ACCUM_OFFSET: 5
; COMPUTE_PGM_RSRC3_GFX90A:TG_SPLIT: 0
	.section	.text._ZN2at6native12_GLOBAL__N_125multi_tensor_apply_kernelINS1_18TensorListMetadataILi1EEENS1_21BinaryOpScalarFunctorIdLi1ELi1ELi0EEEJNS0_7maximumIdEEdEEEvT_T0_DpT1_,"axG",@progbits,_ZN2at6native12_GLOBAL__N_125multi_tensor_apply_kernelINS1_18TensorListMetadataILi1EEENS1_21BinaryOpScalarFunctorIdLi1ELi1ELi0EEEJNS0_7maximumIdEEdEEEvT_T0_DpT1_,comdat
	.globl	_ZN2at6native12_GLOBAL__N_125multi_tensor_apply_kernelINS1_18TensorListMetadataILi1EEENS1_21BinaryOpScalarFunctorIdLi1ELi1ELi0EEEJNS0_7maximumIdEEdEEEvT_T0_DpT1_ ; -- Begin function _ZN2at6native12_GLOBAL__N_125multi_tensor_apply_kernelINS1_18TensorListMetadataILi1EEENS1_21BinaryOpScalarFunctorIdLi1ELi1ELi0EEEJNS0_7maximumIdEEdEEEvT_T0_DpT1_
	.p2align	8
	.type	_ZN2at6native12_GLOBAL__N_125multi_tensor_apply_kernelINS1_18TensorListMetadataILi1EEENS1_21BinaryOpScalarFunctorIdLi1ELi1ELi0EEEJNS0_7maximumIdEEdEEEvT_T0_DpT1_,@function
_ZN2at6native12_GLOBAL__N_125multi_tensor_apply_kernelINS1_18TensorListMetadataILi1EEENS1_21BinaryOpScalarFunctorIdLi1ELi1ELi0EEEJNS0_7maximumIdEEdEEEvT_T0_DpT1_: ; @_ZN2at6native12_GLOBAL__N_125multi_tensor_apply_kernelINS1_18TensorListMetadataILi1EEENS1_21BinaryOpScalarFunctorIdLi1ELi1ELi0EEEJNS0_7maximumIdEEdEEEvT_T0_DpT1_
; %bb.0:
	v_mov_b32_e32 v1, s6
	global_load_ubyte v1, v1, s[4:5] offset:1760
	s_add_u32 s0, s4, s6
	s_mul_hi_u32 s1, s6, 3
	s_mul_i32 s6, s6, 3
	s_addc_u32 s2, s5, 0
	s_add_u32 s0, s0, s6
	s_addc_u32 s1, s2, s1
	s_load_dword s0, s[0:1], 0x820
	s_mov_b32 s7, 0
	s_waitcnt vmcnt(0)
	v_readfirstlane_b32 s1, v1
	s_lshl_b32 s1, s1, 3
	s_load_dwordx2 s[14:15], s[4:5], 0xd30
	s_load_dwordx2 s[2:3], s[4:5], s1 offset:0x370
	s_load_dwordx2 s[10:11], s[4:5], s1 offset:0x0
	s_waitcnt lgkmcnt(0)
	s_ashr_i32 s1, s0, 31
	s_lshl_b64 s[12:13], s[0:1], 19
	s_lshl_b64 s[0:1], s[0:1], 16
	s_and_b32 s6, s10, 31
	s_sub_u32 s16, s2, s0
	s_subb_u32 s17, s3, s1
	s_and_b32 s0, s2, 3
	s_mov_b32 s1, s7
	s_or_b64 s[0:1], s[6:7], s[0:1]
	s_cmp_eq_u64 s[0:1], 0
	s_cbranch_scc1 .LBB130_21
; %bb.1:
	v_cmp_lt_i64_e64 s[0:1], s[16:17], 1
	s_and_b64 vcc, exec, s[0:1]
	s_cbranch_vccnz .LBB130_20
; %bb.2:
	s_load_dword s0, s[4:5], 0xd44
	v_mov_b32_e32 v2, 0x10000
	v_mov_b32_e32 v3, 0
	v_cmp_lt_u64_e32 vcc, s[16:17], v[2:3]
	v_lshlrev_b32_e32 v1, 3, v0
	s_waitcnt lgkmcnt(0)
	s_and_b32 s3, s0, 0xffff
	s_and_b64 s[0:1], vcc, exec
	s_cselect_b32 s19, s17, 0
	s_cselect_b32 s18, s16, 0x10000
	s_lshl_b32 s6, s3, 1
	s_lshl_b32 s24, s3, 2
	s_add_u32 s7, s10, s12
	s_addc_u32 s8, s11, s13
	v_mov_b32_e32 v3, s8
	v_add_co_u32_e32 v2, vcc, s7, v1
	s_mul_i32 s0, s3, 3
	v_addc_co_u32_e32 v3, vcc, 0, v3, vcc
	v_add_co_u32_e32 v1, vcc, s0, v0
	v_addc_co_u32_e64 v16, s[0:1], 0, 0, vcc
	v_add_co_u32_e32 v17, vcc, s6, v0
	v_addc_co_u32_e64 v18, s[0:1], 0, 0, vcc
	v_add_co_u32_e32 v19, vcc, s3, v0
	v_lshlrev_b32_e32 v4, 3, v19
	s_mov_b32 s2, 0
	v_addc_co_u32_e64 v20, s[0:1], 0, 0, vcc
	v_mov_b32_e32 v5, s8
	v_add_co_u32_e32 v4, vcc, s7, v4
	s_lshl_b32 s25, s3, 5
	s_mul_i32 s26, s3, 24
	s_mov_b32 s27, s2
	s_lshl_b32 s28, s3, 4
	s_mov_b32 s29, s2
	v_addc_co_u32_e32 v5, vcc, 0, v5, vcc
	s_mov_b64 s[20:21], 0
	v_pk_mov_b32 v[6:7], s[16:17], s[16:17] op_sel:[0,1]
	v_mov_b32_e32 v21, s2
	s_branch .LBB130_4
.LBB130_3:                              ;   in Loop: Header=BB130_4 Depth=1
	s_or_b64 exec, exec, s[2:3]
	s_add_u32 s20, s20, s24
	s_waitcnt vmcnt(0)
	v_mov_b32_e32 v8, 0x10000
	s_addc_u32 s21, s21, 0
	v_mov_b32_e32 v9, 0
	v_cmp_lt_i64_e32 vcc, s[20:21], v[6:7]
	v_cmp_lt_u64_e64 s[0:1], s[20:21], v[8:9]
	s_and_b64 s[0:1], vcc, s[0:1]
	v_add_co_u32_e32 v2, vcc, s25, v2
	v_addc_co_u32_e32 v3, vcc, v3, v21, vcc
	v_add_co_u32_e32 v4, vcc, s25, v4
	v_addc_co_u32_e32 v5, vcc, v5, v21, vcc
	s_and_b64 vcc, exec, s[0:1]
	s_cbranch_vccz .LBB130_20
.LBB130_4:                              ; =>This Inner Loop Header: Depth=1
	v_mov_b32_e32 v9, s21
	v_add_co_u32_e32 v8, vcc, s20, v0
	v_addc_co_u32_e32 v9, vcc, 0, v9, vcc
	v_cmp_gt_u64_e32 vcc, s[18:19], v[8:9]
	v_pk_mov_b32 v[8:9], 0, 0
	v_pk_mov_b32 v[12:13], v[8:9], v[8:9] op_sel:[0,1]
	s_and_saveexec_b64 s[0:1], vcc
	s_cbranch_execz .LBB130_6
; %bb.5:                                ;   in Loop: Header=BB130_4 Depth=1
	global_load_dwordx2 v[12:13], v[2:3], off
.LBB130_6:                              ;   in Loop: Header=BB130_4 Depth=1
	s_or_b64 exec, exec, s[0:1]
	v_mov_b32_e32 v11, s21
	v_add_co_u32_e64 v10, s[0:1], s20, v19
	v_addc_co_u32_e64 v11, s[0:1], v20, v11, s[0:1]
	v_cmp_gt_u64_e64 s[0:1], s[18:19], v[10:11]
	s_and_saveexec_b64 s[2:3], s[0:1]
	s_cbranch_execz .LBB130_8
; %bb.7:                                ;   in Loop: Header=BB130_4 Depth=1
	global_load_dwordx2 v[8:9], v[4:5], off
.LBB130_8:                              ;   in Loop: Header=BB130_4 Depth=1
	s_or_b64 exec, exec, s[2:3]
	v_mov_b32_e32 v11, s21
	v_add_co_u32_e64 v10, s[2:3], s20, v17
	v_addc_co_u32_e64 v11, s[2:3], v18, v11, s[2:3]
	v_cmp_gt_u64_e64 s[2:3], s[18:19], v[10:11]
	v_pk_mov_b32 v[10:11], 0, 0
	v_pk_mov_b32 v[14:15], v[10:11], v[10:11] op_sel:[0,1]
	s_and_saveexec_b64 s[8:9], s[2:3]
	s_cbranch_execz .LBB130_10
; %bb.9:                                ;   in Loop: Header=BB130_4 Depth=1
	v_mov_b32_e32 v15, s29
	v_add_co_u32_e64 v14, s[6:7], s28, v2
	v_addc_co_u32_e64 v15, s[6:7], v3, v15, s[6:7]
	global_load_dwordx2 v[14:15], v[14:15], off
.LBB130_10:                             ;   in Loop: Header=BB130_4 Depth=1
	s_or_b64 exec, exec, s[8:9]
	v_mov_b32_e32 v23, s21
	v_add_co_u32_e64 v22, s[6:7], s20, v1
	v_addc_co_u32_e64 v23, s[6:7], v16, v23, s[6:7]
	v_cmp_gt_u64_e64 s[6:7], s[18:19], v[22:23]
	s_and_saveexec_b64 s[22:23], s[6:7]
	s_cbranch_execnz .LBB130_15
; %bb.11:                               ;   in Loop: Header=BB130_4 Depth=1
	s_or_b64 exec, exec, s[22:23]
	s_and_saveexec_b64 s[22:23], vcc
	s_cbranch_execnz .LBB130_16
.LBB130_12:                             ;   in Loop: Header=BB130_4 Depth=1
	s_or_b64 exec, exec, s[22:23]
	s_and_saveexec_b64 s[8:9], s[0:1]
	s_cbranch_execnz .LBB130_17
.LBB130_13:                             ;   in Loop: Header=BB130_4 Depth=1
	s_or_b64 exec, exec, s[8:9]
	s_and_saveexec_b64 s[8:9], s[2:3]
	s_cbranch_execnz .LBB130_18
.LBB130_14:                             ;   in Loop: Header=BB130_4 Depth=1
	s_or_b64 exec, exec, s[8:9]
	s_and_saveexec_b64 s[2:3], s[6:7]
	s_cbranch_execz .LBB130_3
	s_branch .LBB130_19
.LBB130_15:                             ;   in Loop: Header=BB130_4 Depth=1
	v_mov_b32_e32 v11, s27
	v_add_co_u32_e64 v10, s[8:9], s26, v2
	v_addc_co_u32_e64 v11, s[8:9], v3, v11, s[8:9]
	global_load_dwordx2 v[10:11], v[10:11], off
	s_or_b64 exec, exec, s[22:23]
	s_and_saveexec_b64 s[22:23], vcc
	s_cbranch_execz .LBB130_12
.LBB130_16:                             ;   in Loop: Header=BB130_4 Depth=1
	s_waitcnt vmcnt(0)
	v_cmp_u_f64_e32 vcc, v[12:13], v[12:13]
	v_cmp_lt_f64_e64 s[8:9], s[14:15], v[12:13]
	v_mov_b32_e32 v22, s15
	s_or_b64 vcc, vcc, s[8:9]
	v_cndmask_b32_e32 v13, v22, v13, vcc
	v_mov_b32_e32 v22, s14
	v_cndmask_b32_e32 v12, v22, v12, vcc
	global_store_dwordx2 v[2:3], v[12:13], off
	s_or_b64 exec, exec, s[22:23]
	s_and_saveexec_b64 s[8:9], s[0:1]
	s_cbranch_execz .LBB130_13
.LBB130_17:                             ;   in Loop: Header=BB130_4 Depth=1
	s_waitcnt vmcnt(0)
	v_cmp_u_f64_e32 vcc, v[8:9], v[8:9]
	v_cmp_lt_f64_e64 s[0:1], s[14:15], v[8:9]
	v_mov_b32_e32 v12, s15
	s_or_b64 vcc, vcc, s[0:1]
	v_cndmask_b32_e32 v9, v12, v9, vcc
	v_mov_b32_e32 v12, s14
	v_cndmask_b32_e32 v8, v12, v8, vcc
	global_store_dwordx2 v[4:5], v[8:9], off
	s_or_b64 exec, exec, s[8:9]
	s_and_saveexec_b64 s[8:9], s[2:3]
	s_cbranch_execz .LBB130_14
.LBB130_18:                             ;   in Loop: Header=BB130_4 Depth=1
	s_waitcnt vmcnt(0)
	v_cmp_u_f64_e32 vcc, v[14:15], v[14:15]
	v_cmp_lt_f64_e64 s[0:1], s[14:15], v[14:15]
	v_mov_b32_e32 v8, s15
	s_or_b64 vcc, vcc, s[0:1]
	v_cndmask_b32_e32 v9, v8, v15, vcc
	v_mov_b32_e32 v8, s14
	v_cndmask_b32_e32 v8, v8, v14, vcc
	v_mov_b32_e32 v13, s29
	v_add_co_u32_e32 v12, vcc, s28, v2
	v_addc_co_u32_e32 v13, vcc, v3, v13, vcc
	global_store_dwordx2 v[12:13], v[8:9], off
	s_or_b64 exec, exec, s[8:9]
	s_and_saveexec_b64 s[2:3], s[6:7]
	s_cbranch_execz .LBB130_3
.LBB130_19:                             ;   in Loop: Header=BB130_4 Depth=1
	s_waitcnt vmcnt(0)
	v_cmp_u_f64_e32 vcc, v[10:11], v[10:11]
	v_cmp_lt_f64_e64 s[0:1], s[14:15], v[10:11]
	v_mov_b32_e32 v8, s15
	s_or_b64 vcc, vcc, s[0:1]
	v_cndmask_b32_e32 v9, v8, v11, vcc
	v_mov_b32_e32 v8, s14
	v_cndmask_b32_e32 v8, v8, v10, vcc
	v_mov_b32_e32 v11, s27
	v_add_co_u32_e32 v10, vcc, s26, v2
	v_addc_co_u32_e32 v11, vcc, v3, v11, vcc
	global_store_dwordx2 v[10:11], v[8:9], off
	s_branch .LBB130_3
.LBB130_20:
	s_cbranch_execz .LBB130_22
	s_branch .LBB130_25
.LBB130_21:
.LBB130_22:
	v_mov_b32_e32 v3, 0
	v_lshlrev_b32_e32 v2, 2, v0
	s_mov_b32 s0, 0
	v_cmp_gt_i64_e32 vcc, s[16:17], v[2:3]
	s_and_saveexec_b64 s[2:3], vcc
	s_cbranch_execz .LBB130_25
; %bb.23:
	s_load_dword s1, s[4:5], 0xd44
	v_lshlrev_b32_e32 v1, 5, v0
	s_mov_b64 s[18:19], 0
	v_mov_b32_e32 v5, s14
	s_mov_b64 s[20:21], 0xffff
	s_waitcnt lgkmcnt(0)
	s_and_b32 s1, s1, 0xffff
	s_lshl_b32 s22, s1, 2
	s_add_u32 s2, s10, s12
	s_addc_u32 s3, s11, s13
	v_add_lshl_u32 v2, v0, s1, 2
	v_mov_b32_e32 v0, s3
	v_add_co_u32_e32 v1, vcc, s2, v1
	v_addc_co_u32_e32 v4, vcc, 0, v0, vcc
	v_add_co_u32_e32 v0, vcc, 16, v1
	v_addc_co_u32_e32 v1, vcc, 0, v4, vcc
	s_lshl_b32 s23, s1, 5
	v_mov_b32_e32 v4, s15
	v_mov_b32_e32 v6, s0
	;; [unrolled: 1-line block ×3, first 2 shown]
.LBB130_24:                             ; =>This Inner Loop Header: Depth=1
	global_load_dwordx4 v[8:11], v[0:1], off offset:-16
	global_load_dwordx4 v[12:15], v[0:1], off
	v_cmp_le_i64_e32 vcc, s[16:17], v[2:3]
	v_cmp_lt_u64_e64 s[0:1], s[20:21], v[2:3]
	v_add_co_u32_e64 v2, s[2:3], s22, v2
	v_addc_co_u32_e64 v3, s[2:3], v3, v6, s[2:3]
	s_or_b64 s[24:25], vcc, s[0:1]
	s_waitcnt vmcnt(1)
	v_cmp_u_f64_e32 vcc, v[8:9], v[8:9]
	v_cmp_lt_f64_e64 s[0:1], s[14:15], v[8:9]
	v_cmp_u_f64_e64 s[2:3], v[10:11], v[10:11]
	v_cmp_lt_f64_e64 s[4:5], s[14:15], v[10:11]
	s_waitcnt vmcnt(0)
	v_cmp_u_f64_e64 s[6:7], v[12:13], v[12:13]
	v_cmp_lt_f64_e64 s[8:9], s[14:15], v[12:13]
	v_cmp_u_f64_e64 s[10:11], v[14:15], v[14:15]
	v_cmp_lt_f64_e64 s[12:13], s[14:15], v[14:15]
	s_or_b64 vcc, vcc, s[0:1]
	s_or_b64 s[0:1], s[2:3], s[4:5]
	v_cndmask_b32_e32 v9, v4, v9, vcc
	v_cndmask_b32_e64 v11, v4, v11, s[0:1]
	s_or_b64 s[2:3], s[6:7], s[8:9]
	s_or_b64 s[4:5], s[10:11], s[12:13]
	v_cndmask_b32_e32 v8, v5, v8, vcc
	v_cndmask_b32_e64 v10, v5, v10, s[0:1]
	v_cndmask_b32_e64 v13, v4, v13, s[2:3]
	v_cndmask_b32_e64 v15, v4, v15, s[4:5]
	v_cndmask_b32_e64 v12, v5, v12, s[2:3]
	v_cndmask_b32_e64 v14, v5, v14, s[4:5]
	s_and_b64 s[0:1], exec, s[24:25]
	global_store_dwordx4 v[0:1], v[8:11], off offset:-16
	global_store_dwordx4 v[0:1], v[12:15], off
	v_add_co_u32_e32 v0, vcc, s23, v0
	s_or_b64 s[18:19], s[0:1], s[18:19]
	v_addc_co_u32_e32 v1, vcc, v1, v7, vcc
	s_andn2_b64 exec, exec, s[18:19]
	s_cbranch_execnz .LBB130_24
.LBB130_25:
	s_endpgm
	.section	.rodata,"a",@progbits
	.p2align	6, 0x0
	.amdhsa_kernel _ZN2at6native12_GLOBAL__N_125multi_tensor_apply_kernelINS1_18TensorListMetadataILi1EEENS1_21BinaryOpScalarFunctorIdLi1ELi1ELi0EEEJNS0_7maximumIdEEdEEEvT_T0_DpT1_
		.amdhsa_group_segment_fixed_size 0
		.amdhsa_private_segment_fixed_size 0
		.amdhsa_kernarg_size 3640
		.amdhsa_user_sgpr_count 6
		.amdhsa_user_sgpr_private_segment_buffer 1
		.amdhsa_user_sgpr_dispatch_ptr 0
		.amdhsa_user_sgpr_queue_ptr 0
		.amdhsa_user_sgpr_kernarg_segment_ptr 1
		.amdhsa_user_sgpr_dispatch_id 0
		.amdhsa_user_sgpr_flat_scratch_init 0
		.amdhsa_user_sgpr_kernarg_preload_length 0
		.amdhsa_user_sgpr_kernarg_preload_offset 0
		.amdhsa_user_sgpr_private_segment_size 0
		.amdhsa_uses_dynamic_stack 0
		.amdhsa_system_sgpr_private_segment_wavefront_offset 0
		.amdhsa_system_sgpr_workgroup_id_x 1
		.amdhsa_system_sgpr_workgroup_id_y 0
		.amdhsa_system_sgpr_workgroup_id_z 0
		.amdhsa_system_sgpr_workgroup_info 0
		.amdhsa_system_vgpr_workitem_id 0
		.amdhsa_next_free_vgpr 24
		.amdhsa_next_free_sgpr 30
		.amdhsa_accum_offset 24
		.amdhsa_reserve_vcc 1
		.amdhsa_reserve_flat_scratch 0
		.amdhsa_float_round_mode_32 0
		.amdhsa_float_round_mode_16_64 0
		.amdhsa_float_denorm_mode_32 3
		.amdhsa_float_denorm_mode_16_64 3
		.amdhsa_dx10_clamp 1
		.amdhsa_ieee_mode 1
		.amdhsa_fp16_overflow 0
		.amdhsa_tg_split 0
		.amdhsa_exception_fp_ieee_invalid_op 0
		.amdhsa_exception_fp_denorm_src 0
		.amdhsa_exception_fp_ieee_div_zero 0
		.amdhsa_exception_fp_ieee_overflow 0
		.amdhsa_exception_fp_ieee_underflow 0
		.amdhsa_exception_fp_ieee_inexact 0
		.amdhsa_exception_int_div_zero 0
	.end_amdhsa_kernel
	.section	.text._ZN2at6native12_GLOBAL__N_125multi_tensor_apply_kernelINS1_18TensorListMetadataILi1EEENS1_21BinaryOpScalarFunctorIdLi1ELi1ELi0EEEJNS0_7maximumIdEEdEEEvT_T0_DpT1_,"axG",@progbits,_ZN2at6native12_GLOBAL__N_125multi_tensor_apply_kernelINS1_18TensorListMetadataILi1EEENS1_21BinaryOpScalarFunctorIdLi1ELi1ELi0EEEJNS0_7maximumIdEEdEEEvT_T0_DpT1_,comdat
.Lfunc_end130:
	.size	_ZN2at6native12_GLOBAL__N_125multi_tensor_apply_kernelINS1_18TensorListMetadataILi1EEENS1_21BinaryOpScalarFunctorIdLi1ELi1ELi0EEEJNS0_7maximumIdEEdEEEvT_T0_DpT1_, .Lfunc_end130-_ZN2at6native12_GLOBAL__N_125multi_tensor_apply_kernelINS1_18TensorListMetadataILi1EEENS1_21BinaryOpScalarFunctorIdLi1ELi1ELi0EEEJNS0_7maximumIdEEdEEEvT_T0_DpT1_
                                        ; -- End function
	.section	.AMDGPU.csdata,"",@progbits
; Kernel info:
; codeLenInByte = 1312
; NumSgprs: 34
; NumVgprs: 24
; NumAgprs: 0
; TotalNumVgprs: 24
; ScratchSize: 0
; MemoryBound: 0
; FloatMode: 240
; IeeeMode: 1
; LDSByteSize: 0 bytes/workgroup (compile time only)
; SGPRBlocks: 4
; VGPRBlocks: 2
; NumSGPRsForWavesPerEU: 34
; NumVGPRsForWavesPerEU: 24
; AccumOffset: 24
; Occupancy: 8
; WaveLimiterHint : 0
; COMPUTE_PGM_RSRC2:SCRATCH_EN: 0
; COMPUTE_PGM_RSRC2:USER_SGPR: 6
; COMPUTE_PGM_RSRC2:TRAP_HANDLER: 0
; COMPUTE_PGM_RSRC2:TGID_X_EN: 1
; COMPUTE_PGM_RSRC2:TGID_Y_EN: 0
; COMPUTE_PGM_RSRC2:TGID_Z_EN: 0
; COMPUTE_PGM_RSRC2:TIDIG_COMP_CNT: 0
; COMPUTE_PGM_RSRC3_GFX90A:ACCUM_OFFSET: 5
; COMPUTE_PGM_RSRC3_GFX90A:TG_SPLIT: 0
	.section	.text._ZN2at6native12_GLOBAL__N_125multi_tensor_apply_kernelINS1_18TensorListMetadataILi1EEENS1_21BinaryOpScalarFunctorIfLi1ELi1ELi0EEEJNS0_7maximumIfEEfEEEvT_T0_DpT1_,"axG",@progbits,_ZN2at6native12_GLOBAL__N_125multi_tensor_apply_kernelINS1_18TensorListMetadataILi1EEENS1_21BinaryOpScalarFunctorIfLi1ELi1ELi0EEEJNS0_7maximumIfEEfEEEvT_T0_DpT1_,comdat
	.globl	_ZN2at6native12_GLOBAL__N_125multi_tensor_apply_kernelINS1_18TensorListMetadataILi1EEENS1_21BinaryOpScalarFunctorIfLi1ELi1ELi0EEEJNS0_7maximumIfEEfEEEvT_T0_DpT1_ ; -- Begin function _ZN2at6native12_GLOBAL__N_125multi_tensor_apply_kernelINS1_18TensorListMetadataILi1EEENS1_21BinaryOpScalarFunctorIfLi1ELi1ELi0EEEJNS0_7maximumIfEEfEEEvT_T0_DpT1_
	.p2align	8
	.type	_ZN2at6native12_GLOBAL__N_125multi_tensor_apply_kernelINS1_18TensorListMetadataILi1EEENS1_21BinaryOpScalarFunctorIfLi1ELi1ELi0EEEJNS0_7maximumIfEEfEEEvT_T0_DpT1_,@function
_ZN2at6native12_GLOBAL__N_125multi_tensor_apply_kernelINS1_18TensorListMetadataILi1EEENS1_21BinaryOpScalarFunctorIfLi1ELi1ELi0EEEJNS0_7maximumIfEEfEEEvT_T0_DpT1_: ; @_ZN2at6native12_GLOBAL__N_125multi_tensor_apply_kernelINS1_18TensorListMetadataILi1EEENS1_21BinaryOpScalarFunctorIfLi1ELi1ELi0EEEJNS0_7maximumIfEEfEEEvT_T0_DpT1_
; %bb.0:
	v_mov_b32_e32 v1, s6
	global_load_ubyte v1, v1, s[4:5] offset:1760
	s_add_u32 s0, s4, s6
	s_mul_hi_u32 s1, s6, 3
	s_mul_i32 s6, s6, 3
	s_addc_u32 s2, s5, 0
	s_add_u32 s0, s0, s6
	s_addc_u32 s1, s2, s1
	s_load_dword s0, s[0:1], 0x820
	s_mov_b32 s7, 0
	s_waitcnt vmcnt(0)
	v_readfirstlane_b32 s1, v1
	s_lshl_b32 s1, s1, 3
	s_load_dword s22, s[4:5], 0xd2c
	s_load_dwordx2 s[2:3], s[4:5], s1 offset:0x370
	s_load_dwordx2 s[10:11], s[4:5], s1 offset:0x0
	s_waitcnt lgkmcnt(0)
	s_ashr_i32 s1, s0, 31
	s_lshl_b64 s[12:13], s[0:1], 18
	s_lshl_b64 s[0:1], s[0:1], 16
	s_and_b32 s6, s10, 15
	s_sub_u32 s14, s2, s0
	s_subb_u32 s15, s3, s1
	s_and_b32 s0, s2, 3
	s_mov_b32 s1, s7
	s_or_b64 s[0:1], s[6:7], s[0:1]
	s_cmp_eq_u64 s[0:1], 0
	s_cbranch_scc1 .LBB131_21
; %bb.1:
	v_cmp_lt_i64_e64 s[0:1], s[14:15], 1
	s_and_b64 vcc, exec, s[0:1]
	s_cbranch_vccnz .LBB131_20
; %bb.2:
	s_load_dword s0, s[4:5], 0xd3c
	v_mov_b32_e32 v2, 0x10000
	v_mov_b32_e32 v3, 0
	v_cmp_lt_u64_e32 vcc, s[14:15], v[2:3]
	v_lshlrev_b32_e32 v1, 2, v0
	s_waitcnt lgkmcnt(0)
	s_and_b32 s3, s0, 0xffff
	s_and_b64 s[0:1], vcc, exec
	s_cselect_b32 s17, s15, 0
	s_cselect_b32 s16, s14, 0x10000
	s_lshl_b32 s6, s3, 1
	s_lshl_b32 s23, s3, 2
	s_add_u32 s7, s10, s12
	s_addc_u32 s8, s11, s13
	v_mov_b32_e32 v5, s8
	v_add_co_u32_e32 v4, vcc, s7, v1
	s_mul_i32 s0, s3, 3
	v_addc_co_u32_e32 v5, vcc, 0, v5, vcc
	v_add_co_u32_e32 v1, vcc, s0, v0
	v_addc_co_u32_e64 v10, s[0:1], 0, 0, vcc
	v_add_co_u32_e32 v11, vcc, s6, v0
	v_addc_co_u32_e64 v12, s[0:1], 0, 0, vcc
	v_add_co_u32_e32 v13, vcc, s3, v0
	v_lshlrev_b32_e32 v6, 2, v13
	s_mov_b32 s2, 0
	v_addc_co_u32_e64 v14, s[0:1], 0, 0, vcc
	v_mov_b32_e32 v7, s8
	v_add_co_u32_e32 v6, vcc, s7, v6
	s_lshl_b32 s24, s3, 4
	s_mul_i32 s25, s3, 12
	s_mov_b32 s26, s2
	s_lshl_b32 s27, s3, 3
	s_mov_b32 s28, s2
	v_addc_co_u32_e32 v7, vcc, 0, v7, vcc
	s_mov_b64 s[18:19], 0
	v_pk_mov_b32 v[8:9], s[14:15], s[14:15] op_sel:[0,1]
	v_mov_b32_e32 v15, s2
	s_branch .LBB131_4
.LBB131_3:                              ;   in Loop: Header=BB131_4 Depth=1
	s_or_b64 exec, exec, s[2:3]
	s_add_u32 s18, s18, s23
	s_addc_u32 s19, s19, 0
	v_cmp_lt_i64_e32 vcc, s[18:19], v[8:9]
	v_cmp_lt_u64_e64 s[0:1], s[18:19], v[2:3]
	s_and_b64 s[0:1], vcc, s[0:1]
	v_add_co_u32_e32 v4, vcc, s24, v4
	v_addc_co_u32_e32 v5, vcc, v5, v15, vcc
	v_add_co_u32_e32 v6, vcc, s24, v6
	v_addc_co_u32_e32 v7, vcc, v7, v15, vcc
	s_and_b64 vcc, exec, s[0:1]
	s_cbranch_vccz .LBB131_20
.LBB131_4:                              ; =>This Inner Loop Header: Depth=1
	s_waitcnt vmcnt(0)
	v_mov_b32_e32 v17, s19
	v_add_co_u32_e32 v16, vcc, s18, v0
	v_addc_co_u32_e32 v17, vcc, 0, v17, vcc
	v_cmp_gt_u64_e32 vcc, s[16:17], v[16:17]
	v_mov_b32_e32 v17, 0
	s_and_saveexec_b64 s[0:1], vcc
	s_cbranch_execz .LBB131_6
; %bb.5:                                ;   in Loop: Header=BB131_4 Depth=1
	global_load_dword v17, v[4:5], off
.LBB131_6:                              ;   in Loop: Header=BB131_4 Depth=1
	s_or_b64 exec, exec, s[0:1]
	v_mov_b32_e32 v16, s19
	v_add_co_u32_e64 v18, s[0:1], s18, v13
	v_addc_co_u32_e64 v19, s[0:1], v14, v16, s[0:1]
	v_cmp_gt_u64_e64 s[0:1], s[16:17], v[18:19]
	v_mov_b32_e32 v18, 0
	s_and_saveexec_b64 s[2:3], s[0:1]
	s_cbranch_execz .LBB131_8
; %bb.7:                                ;   in Loop: Header=BB131_4 Depth=1
	global_load_dword v18, v[6:7], off
.LBB131_8:                              ;   in Loop: Header=BB131_4 Depth=1
	s_or_b64 exec, exec, s[2:3]
	v_mov_b32_e32 v16, s19
	v_add_co_u32_e64 v20, s[2:3], s18, v11
	v_addc_co_u32_e64 v21, s[2:3], v12, v16, s[2:3]
	v_cmp_gt_u64_e64 s[2:3], s[16:17], v[20:21]
	v_mov_b32_e32 v16, 0
	v_mov_b32_e32 v19, 0
	s_and_saveexec_b64 s[8:9], s[2:3]
	s_cbranch_execz .LBB131_10
; %bb.9:                                ;   in Loop: Header=BB131_4 Depth=1
	v_mov_b32_e32 v19, s28
	v_add_co_u32_e64 v20, s[6:7], s27, v4
	v_addc_co_u32_e64 v21, s[6:7], v5, v19, s[6:7]
	global_load_dword v19, v[20:21], off
.LBB131_10:                             ;   in Loop: Header=BB131_4 Depth=1
	s_or_b64 exec, exec, s[8:9]
	v_mov_b32_e32 v21, s19
	v_add_co_u32_e64 v20, s[6:7], s18, v1
	v_addc_co_u32_e64 v21, s[6:7], v10, v21, s[6:7]
	v_cmp_gt_u64_e64 s[6:7], s[16:17], v[20:21]
	s_and_saveexec_b64 s[20:21], s[6:7]
	s_cbranch_execnz .LBB131_15
; %bb.11:                               ;   in Loop: Header=BB131_4 Depth=1
	s_or_b64 exec, exec, s[20:21]
	s_and_saveexec_b64 s[20:21], vcc
	s_cbranch_execnz .LBB131_16
.LBB131_12:                             ;   in Loop: Header=BB131_4 Depth=1
	s_or_b64 exec, exec, s[20:21]
	s_and_saveexec_b64 s[8:9], s[0:1]
	s_cbranch_execnz .LBB131_17
.LBB131_13:                             ;   in Loop: Header=BB131_4 Depth=1
	s_or_b64 exec, exec, s[8:9]
	s_and_saveexec_b64 s[8:9], s[2:3]
	s_cbranch_execnz .LBB131_18
.LBB131_14:                             ;   in Loop: Header=BB131_4 Depth=1
	s_or_b64 exec, exec, s[8:9]
	s_and_saveexec_b64 s[2:3], s[6:7]
	s_cbranch_execz .LBB131_3
	s_branch .LBB131_19
.LBB131_15:                             ;   in Loop: Header=BB131_4 Depth=1
	v_mov_b32_e32 v16, s26
	v_add_co_u32_e64 v20, s[8:9], s25, v4
	v_addc_co_u32_e64 v21, s[8:9], v5, v16, s[8:9]
	global_load_dword v16, v[20:21], off
	s_or_b64 exec, exec, s[20:21]
	s_and_saveexec_b64 s[20:21], vcc
	s_cbranch_execz .LBB131_12
.LBB131_16:                             ;   in Loop: Header=BB131_4 Depth=1
	s_waitcnt vmcnt(0)
	v_cmp_u_f32_e32 vcc, v17, v17
	v_cmp_lt_f32_e64 s[8:9], s22, v17
	v_mov_b32_e32 v20, s22
	s_or_b64 vcc, vcc, s[8:9]
	v_cndmask_b32_e32 v17, v20, v17, vcc
	global_store_dword v[4:5], v17, off
	s_or_b64 exec, exec, s[20:21]
	s_and_saveexec_b64 s[8:9], s[0:1]
	s_cbranch_execz .LBB131_13
.LBB131_17:                             ;   in Loop: Header=BB131_4 Depth=1
	s_waitcnt vmcnt(0)
	v_cmp_u_f32_e32 vcc, v18, v18
	v_cmp_lt_f32_e64 s[0:1], s22, v18
	v_mov_b32_e32 v17, s22
	s_or_b64 vcc, vcc, s[0:1]
	v_cndmask_b32_e32 v17, v17, v18, vcc
	global_store_dword v[6:7], v17, off
	s_or_b64 exec, exec, s[8:9]
	s_and_saveexec_b64 s[8:9], s[2:3]
	s_cbranch_execz .LBB131_14
.LBB131_18:                             ;   in Loop: Header=BB131_4 Depth=1
	s_waitcnt vmcnt(0)
	v_cmp_u_f32_e32 vcc, v19, v19
	v_cmp_lt_f32_e64 s[0:1], s22, v19
	v_mov_b32_e32 v17, s22
	s_or_b64 vcc, vcc, s[0:1]
	v_cndmask_b32_e32 v17, v17, v19, vcc
	v_mov_b32_e32 v19, s28
	v_add_co_u32_e32 v18, vcc, s27, v4
	v_addc_co_u32_e32 v19, vcc, v5, v19, vcc
	global_store_dword v[18:19], v17, off
	s_or_b64 exec, exec, s[8:9]
	s_and_saveexec_b64 s[2:3], s[6:7]
	s_cbranch_execz .LBB131_3
.LBB131_19:                             ;   in Loop: Header=BB131_4 Depth=1
	s_waitcnt vmcnt(0)
	v_cmp_u_f32_e32 vcc, v16, v16
	v_cmp_lt_f32_e64 s[0:1], s22, v16
	v_mov_b32_e32 v17, s22
	s_or_b64 vcc, vcc, s[0:1]
	v_cndmask_b32_e32 v18, v17, v16, vcc
	v_mov_b32_e32 v17, s26
	v_add_co_u32_e32 v16, vcc, s25, v4
	v_addc_co_u32_e32 v17, vcc, v5, v17, vcc
	global_store_dword v[16:17], v18, off
	s_branch .LBB131_3
.LBB131_20:
	s_cbranch_execz .LBB131_22
	s_branch .LBB131_25
.LBB131_21:
.LBB131_22:
	v_mov_b32_e32 v3, 0
	v_lshlrev_b32_e32 v2, 2, v0
	s_mov_b32 s0, 0
	v_cmp_gt_i64_e32 vcc, s[14:15], v[2:3]
	s_and_saveexec_b64 s[2:3], vcc
	s_cbranch_execz .LBB131_25
; %bb.23:
	s_load_dword s1, s[4:5], 0xd3c
	v_lshlrev_b32_e32 v1, 4, v0
	s_mov_b32 s20, s22
	s_mov_b64 s[16:17], 0
	s_mov_b64 s[18:19], 0xffff
	s_waitcnt lgkmcnt(0)
	s_and_b32 s1, s1, 0xffff
	s_add_u32 s2, s10, s12
	s_addc_u32 s3, s11, s13
	v_mov_b32_e32 v2, s3
	v_add_co_u32_e32 v1, vcc, s2, v1
	v_addc_co_u32_e32 v2, vcc, 0, v2, vcc
	v_add_co_u32_e32 v4, vcc, 8, v1
	v_addc_co_u32_e32 v5, vcc, 0, v2, vcc
	s_lshl_b32 s21, s1, 4
	v_add_lshl_u32 v2, v0, s1, 2
	s_lshl_b32 s23, s1, 2
	v_mov_b32_e32 v0, s22
	v_mov_b32_e32 v1, s22
	;; [unrolled: 1-line block ×4, first 2 shown]
.LBB131_24:                             ; =>This Inner Loop Header: Depth=1
	global_load_dwordx4 v[8:11], v[4:5], off offset:-8
	v_cmp_le_i64_e32 vcc, s[14:15], v[2:3]
	v_cmp_lt_u64_e64 s[0:1], s[18:19], v[2:3]
	v_add_co_u32_e64 v2, s[2:3], s23, v2
	v_addc_co_u32_e64 v3, s[2:3], v3, v7, s[2:3]
	s_or_b64 s[24:25], vcc, s[0:1]
	s_waitcnt vmcnt(0)
	v_cmp_u_f32_e32 vcc, v9, v9
	v_cmp_lt_f32_e64 s[2:3], s20, v9
	v_cmp_u_f32_e64 s[0:1], v8, v8
	v_cmp_lt_f32_e64 s[4:5], s22, v8
	s_or_b64 vcc, vcc, s[2:3]
	v_cmp_u_f32_e64 s[6:7], v11, v11
	v_cmp_lt_f32_e64 s[10:11], s20, v11
	v_cndmask_b32_e32 v9, v0, v9, vcc
	s_or_b64 vcc, s[0:1], s[4:5]
	v_cmp_u_f32_e64 s[8:9], v10, v10
	v_cmp_lt_f32_e64 s[12:13], s22, v10
	v_cndmask_b32_e32 v8, v1, v8, vcc
	s_or_b64 vcc, s[6:7], s[10:11]
	v_cndmask_b32_e32 v11, v0, v11, vcc
	s_or_b64 vcc, s[8:9], s[12:13]
	v_cndmask_b32_e32 v10, v1, v10, vcc
	global_store_dwordx4 v[4:5], v[8:11], off offset:-8
	s_and_b64 s[0:1], exec, s[24:25]
	v_add_co_u32_e32 v4, vcc, s21, v4
	s_or_b64 s[16:17], s[0:1], s[16:17]
	v_addc_co_u32_e32 v5, vcc, v5, v6, vcc
	s_andn2_b64 exec, exec, s[16:17]
	s_cbranch_execnz .LBB131_24
.LBB131_25:
	s_endpgm
	.section	.rodata,"a",@progbits
	.p2align	6, 0x0
	.amdhsa_kernel _ZN2at6native12_GLOBAL__N_125multi_tensor_apply_kernelINS1_18TensorListMetadataILi1EEENS1_21BinaryOpScalarFunctorIfLi1ELi1ELi0EEEJNS0_7maximumIfEEfEEEvT_T0_DpT1_
		.amdhsa_group_segment_fixed_size 0
		.amdhsa_private_segment_fixed_size 0
		.amdhsa_kernarg_size 3632
		.amdhsa_user_sgpr_count 6
		.amdhsa_user_sgpr_private_segment_buffer 1
		.amdhsa_user_sgpr_dispatch_ptr 0
		.amdhsa_user_sgpr_queue_ptr 0
		.amdhsa_user_sgpr_kernarg_segment_ptr 1
		.amdhsa_user_sgpr_dispatch_id 0
		.amdhsa_user_sgpr_flat_scratch_init 0
		.amdhsa_user_sgpr_kernarg_preload_length 0
		.amdhsa_user_sgpr_kernarg_preload_offset 0
		.amdhsa_user_sgpr_private_segment_size 0
		.amdhsa_uses_dynamic_stack 0
		.amdhsa_system_sgpr_private_segment_wavefront_offset 0
		.amdhsa_system_sgpr_workgroup_id_x 1
		.amdhsa_system_sgpr_workgroup_id_y 0
		.amdhsa_system_sgpr_workgroup_id_z 0
		.amdhsa_system_sgpr_workgroup_info 0
		.amdhsa_system_vgpr_workitem_id 0
		.amdhsa_next_free_vgpr 22
		.amdhsa_next_free_sgpr 29
		.amdhsa_accum_offset 24
		.amdhsa_reserve_vcc 1
		.amdhsa_reserve_flat_scratch 0
		.amdhsa_float_round_mode_32 0
		.amdhsa_float_round_mode_16_64 0
		.amdhsa_float_denorm_mode_32 3
		.amdhsa_float_denorm_mode_16_64 3
		.amdhsa_dx10_clamp 1
		.amdhsa_ieee_mode 1
		.amdhsa_fp16_overflow 0
		.amdhsa_tg_split 0
		.amdhsa_exception_fp_ieee_invalid_op 0
		.amdhsa_exception_fp_denorm_src 0
		.amdhsa_exception_fp_ieee_div_zero 0
		.amdhsa_exception_fp_ieee_overflow 0
		.amdhsa_exception_fp_ieee_underflow 0
		.amdhsa_exception_fp_ieee_inexact 0
		.amdhsa_exception_int_div_zero 0
	.end_amdhsa_kernel
	.section	.text._ZN2at6native12_GLOBAL__N_125multi_tensor_apply_kernelINS1_18TensorListMetadataILi1EEENS1_21BinaryOpScalarFunctorIfLi1ELi1ELi0EEEJNS0_7maximumIfEEfEEEvT_T0_DpT1_,"axG",@progbits,_ZN2at6native12_GLOBAL__N_125multi_tensor_apply_kernelINS1_18TensorListMetadataILi1EEENS1_21BinaryOpScalarFunctorIfLi1ELi1ELi0EEEJNS0_7maximumIfEEfEEEvT_T0_DpT1_,comdat
.Lfunc_end131:
	.size	_ZN2at6native12_GLOBAL__N_125multi_tensor_apply_kernelINS1_18TensorListMetadataILi1EEENS1_21BinaryOpScalarFunctorIfLi1ELi1ELi0EEEJNS0_7maximumIfEEfEEEvT_T0_DpT1_, .Lfunc_end131-_ZN2at6native12_GLOBAL__N_125multi_tensor_apply_kernelINS1_18TensorListMetadataILi1EEENS1_21BinaryOpScalarFunctorIfLi1ELi1ELi0EEEJNS0_7maximumIfEEfEEEvT_T0_DpT1_
                                        ; -- End function
	.section	.AMDGPU.csdata,"",@progbits
; Kernel info:
; codeLenInByte = 1196
; NumSgprs: 33
; NumVgprs: 22
; NumAgprs: 0
; TotalNumVgprs: 22
; ScratchSize: 0
; MemoryBound: 0
; FloatMode: 240
; IeeeMode: 1
; LDSByteSize: 0 bytes/workgroup (compile time only)
; SGPRBlocks: 4
; VGPRBlocks: 2
; NumSGPRsForWavesPerEU: 33
; NumVGPRsForWavesPerEU: 22
; AccumOffset: 24
; Occupancy: 8
; WaveLimiterHint : 0
; COMPUTE_PGM_RSRC2:SCRATCH_EN: 0
; COMPUTE_PGM_RSRC2:USER_SGPR: 6
; COMPUTE_PGM_RSRC2:TRAP_HANDLER: 0
; COMPUTE_PGM_RSRC2:TGID_X_EN: 1
; COMPUTE_PGM_RSRC2:TGID_Y_EN: 0
; COMPUTE_PGM_RSRC2:TGID_Z_EN: 0
; COMPUTE_PGM_RSRC2:TIDIG_COMP_CNT: 0
; COMPUTE_PGM_RSRC3_GFX90A:ACCUM_OFFSET: 5
; COMPUTE_PGM_RSRC3_GFX90A:TG_SPLIT: 0
	.section	.text._ZN2at6native12_GLOBAL__N_125multi_tensor_apply_kernelINS1_18TensorListMetadataILi1EEENS1_21BinaryOpScalarFunctorIN3c104HalfELi1ELi1ELi0EEEJNS0_7maximumIfEEfEEEvT_T0_DpT1_,"axG",@progbits,_ZN2at6native12_GLOBAL__N_125multi_tensor_apply_kernelINS1_18TensorListMetadataILi1EEENS1_21BinaryOpScalarFunctorIN3c104HalfELi1ELi1ELi0EEEJNS0_7maximumIfEEfEEEvT_T0_DpT1_,comdat
	.globl	_ZN2at6native12_GLOBAL__N_125multi_tensor_apply_kernelINS1_18TensorListMetadataILi1EEENS1_21BinaryOpScalarFunctorIN3c104HalfELi1ELi1ELi0EEEJNS0_7maximumIfEEfEEEvT_T0_DpT1_ ; -- Begin function _ZN2at6native12_GLOBAL__N_125multi_tensor_apply_kernelINS1_18TensorListMetadataILi1EEENS1_21BinaryOpScalarFunctorIN3c104HalfELi1ELi1ELi0EEEJNS0_7maximumIfEEfEEEvT_T0_DpT1_
	.p2align	8
	.type	_ZN2at6native12_GLOBAL__N_125multi_tensor_apply_kernelINS1_18TensorListMetadataILi1EEENS1_21BinaryOpScalarFunctorIN3c104HalfELi1ELi1ELi0EEEJNS0_7maximumIfEEfEEEvT_T0_DpT1_,@function
_ZN2at6native12_GLOBAL__N_125multi_tensor_apply_kernelINS1_18TensorListMetadataILi1EEENS1_21BinaryOpScalarFunctorIN3c104HalfELi1ELi1ELi0EEEJNS0_7maximumIfEEfEEEvT_T0_DpT1_: ; @_ZN2at6native12_GLOBAL__N_125multi_tensor_apply_kernelINS1_18TensorListMetadataILi1EEENS1_21BinaryOpScalarFunctorIN3c104HalfELi1ELi1ELi0EEEJNS0_7maximumIfEEfEEEvT_T0_DpT1_
; %bb.0:
	v_mov_b32_e32 v1, s6
	global_load_ubyte v1, v1, s[4:5] offset:1760
	s_add_u32 s0, s4, s6
	s_mul_hi_u32 s1, s6, 3
	s_mul_i32 s6, s6, 3
	s_addc_u32 s2, s5, 0
	s_add_u32 s0, s0, s6
	s_addc_u32 s1, s2, s1
	s_load_dword s0, s[0:1], 0x820
	s_mov_b32 s7, 0
	s_waitcnt vmcnt(0)
	v_readfirstlane_b32 s1, v1
	s_lshl_b32 s1, s1, 3
	s_load_dword s22, s[4:5], 0xd2c
	s_load_dwordx2 s[2:3], s[4:5], s1 offset:0x370
	s_load_dwordx2 s[10:11], s[4:5], s1 offset:0x0
	s_waitcnt lgkmcnt(0)
	s_ashr_i32 s1, s0, 31
	s_lshl_b64 s[12:13], s[0:1], 17
	s_lshl_b64 s[0:1], s[0:1], 16
	s_and_b32 s6, s10, 7
	s_sub_u32 s14, s2, s0
	s_subb_u32 s15, s3, s1
	s_and_b32 s0, s2, 3
	s_mov_b32 s1, s7
	s_or_b64 s[0:1], s[6:7], s[0:1]
	s_cmp_eq_u64 s[0:1], 0
	s_cbranch_scc1 .LBB132_21
; %bb.1:
	v_cmp_lt_i64_e64 s[0:1], s[14:15], 1
	s_and_b64 vcc, exec, s[0:1]
	s_cbranch_vccnz .LBB132_20
; %bb.2:
	s_load_dword s0, s[4:5], 0xd3c
	v_mov_b32_e32 v2, 0x10000
	v_mov_b32_e32 v3, 0
	v_cmp_lt_u64_e32 vcc, s[14:15], v[2:3]
	v_lshlrev_b32_e32 v4, 1, v0
	s_waitcnt lgkmcnt(0)
	s_and_b32 s2, s0, 0xffff
	s_and_b64 s[0:1], vcc, exec
	s_cselect_b32 s17, s15, 0
	s_cselect_b32 s16, s14, 0x10000
	s_lshl_b32 s3, s2, 1
	s_lshl_b32 s24, s2, 2
	s_add_u32 s6, s10, s12
	s_addc_u32 s7, s11, s13
	v_mov_b32_e32 v5, s7
	v_add_co_u32_e32 v4, vcc, s6, v4
	s_mul_i32 s0, s2, 3
	v_addc_co_u32_e32 v5, vcc, 0, v5, vcc
	v_add_co_u32_e32 v10, vcc, s0, v0
	v_addc_co_u32_e64 v11, s[0:1], 0, 0, vcc
	v_add_co_u32_e32 v12, vcc, s3, v0
	v_cvt_f16_f32_e32 v1, s22
	v_addc_co_u32_e64 v13, s[0:1], 0, 0, vcc
	v_add_co_u32_e32 v14, vcc, s2, v0
	v_lshlrev_b32_e32 v6, 1, v14
	s_mov_b32 s23, 0
	v_addc_co_u32_e64 v15, s[0:1], 0, 0, vcc
	v_mov_b32_e32 v7, s7
	v_add_co_u32_e32 v6, vcc, s6, v6
	s_lshl_b32 s25, s2, 3
	s_mul_i32 s26, s2, 6
	s_mov_b32 s27, s23
	v_addc_co_u32_e32 v7, vcc, 0, v7, vcc
	s_mov_b64 s[18:19], 0
	v_pk_mov_b32 v[8:9], s[14:15], s[14:15] op_sel:[0,1]
	v_mov_b32_e32 v16, s23
	s_branch .LBB132_4
.LBB132_3:                              ;   in Loop: Header=BB132_4 Depth=1
	s_or_b64 exec, exec, s[2:3]
	s_add_u32 s18, s18, s24
	s_addc_u32 s19, s19, 0
	v_cmp_lt_i64_e32 vcc, s[18:19], v[8:9]
	v_cmp_lt_u64_e64 s[0:1], s[18:19], v[2:3]
	s_and_b64 s[0:1], vcc, s[0:1]
	v_add_co_u32_e32 v4, vcc, s25, v4
	v_addc_co_u32_e32 v5, vcc, v5, v16, vcc
	v_add_co_u32_e32 v6, vcc, s25, v6
	v_addc_co_u32_e32 v7, vcc, v7, v16, vcc
	s_and_b64 vcc, exec, s[0:1]
	s_cbranch_vccz .LBB132_20
.LBB132_4:                              ; =>This Inner Loop Header: Depth=1
	s_waitcnt vmcnt(0)
	v_mov_b32_e32 v17, s19
	v_add_co_u32_e32 v18, vcc, s18, v0
	v_addc_co_u32_e32 v19, vcc, 0, v17, vcc
	v_cmp_gt_u64_e32 vcc, s[16:17], v[18:19]
	v_mov_b32_e32 v18, 0
	s_and_saveexec_b64 s[0:1], vcc
	s_cbranch_execz .LBB132_6
; %bb.5:                                ;   in Loop: Header=BB132_4 Depth=1
	global_load_ushort v18, v[4:5], off
.LBB132_6:                              ;   in Loop: Header=BB132_4 Depth=1
	s_or_b64 exec, exec, s[0:1]
	v_mov_b32_e32 v17, s19
	v_add_co_u32_e64 v20, s[0:1], s18, v14
	v_addc_co_u32_e64 v21, s[0:1], v15, v17, s[0:1]
	v_cmp_gt_u64_e64 s[0:1], s[16:17], v[20:21]
	v_mov_b32_e32 v19, 0
	s_and_saveexec_b64 s[2:3], s[0:1]
	s_cbranch_execz .LBB132_8
; %bb.7:                                ;   in Loop: Header=BB132_4 Depth=1
	global_load_ushort v19, v[6:7], off
.LBB132_8:                              ;   in Loop: Header=BB132_4 Depth=1
	s_or_b64 exec, exec, s[2:3]
	v_mov_b32_e32 v17, s19
	v_add_co_u32_e64 v20, s[2:3], s18, v12
	v_addc_co_u32_e64 v21, s[2:3], v13, v17, s[2:3]
	v_cmp_gt_u64_e64 s[2:3], s[16:17], v[20:21]
	v_mov_b32_e32 v17, 0
	v_mov_b32_e32 v20, 0
	s_and_saveexec_b64 s[8:9], s[2:3]
	s_cbranch_execz .LBB132_10
; %bb.9:                                ;   in Loop: Header=BB132_4 Depth=1
	v_mov_b32_e32 v21, s23
	v_add_co_u32_e64 v20, s[6:7], s24, v4
	v_addc_co_u32_e64 v21, s[6:7], v5, v21, s[6:7]
	global_load_ushort v20, v[20:21], off
.LBB132_10:                             ;   in Loop: Header=BB132_4 Depth=1
	s_or_b64 exec, exec, s[8:9]
	v_mov_b32_e32 v21, s19
	v_add_co_u32_e64 v22, s[6:7], s18, v10
	v_addc_co_u32_e64 v23, s[6:7], v11, v21, s[6:7]
	v_cmp_gt_u64_e64 s[6:7], s[16:17], v[22:23]
	s_and_saveexec_b64 s[20:21], s[6:7]
	s_cbranch_execnz .LBB132_15
; %bb.11:                               ;   in Loop: Header=BB132_4 Depth=1
	s_or_b64 exec, exec, s[20:21]
	s_and_saveexec_b64 s[20:21], vcc
	s_cbranch_execnz .LBB132_16
.LBB132_12:                             ;   in Loop: Header=BB132_4 Depth=1
	s_or_b64 exec, exec, s[20:21]
	s_and_saveexec_b64 s[8:9], s[0:1]
	s_cbranch_execnz .LBB132_17
.LBB132_13:                             ;   in Loop: Header=BB132_4 Depth=1
	s_or_b64 exec, exec, s[8:9]
	s_and_saveexec_b64 s[8:9], s[2:3]
	s_cbranch_execnz .LBB132_18
.LBB132_14:                             ;   in Loop: Header=BB132_4 Depth=1
	s_or_b64 exec, exec, s[8:9]
	s_and_saveexec_b64 s[2:3], s[6:7]
	s_cbranch_execz .LBB132_3
	s_branch .LBB132_19
.LBB132_15:                             ;   in Loop: Header=BB132_4 Depth=1
	v_mov_b32_e32 v17, s27
	v_add_co_u32_e64 v22, s[8:9], s26, v4
	v_addc_co_u32_e64 v23, s[8:9], v5, v17, s[8:9]
	global_load_ushort v17, v[22:23], off
	s_or_b64 exec, exec, s[20:21]
	s_and_saveexec_b64 s[20:21], vcc
	s_cbranch_execz .LBB132_12
.LBB132_16:                             ;   in Loop: Header=BB132_4 Depth=1
	s_waitcnt vmcnt(0)
	v_cvt_f32_f16_e32 v21, v18
	v_cmp_u_f16_e32 vcc, v18, v18
	v_cmp_lt_f32_e64 s[8:9], s22, v21
	s_or_b64 vcc, vcc, s[8:9]
	v_cndmask_b32_e32 v18, v1, v18, vcc
	global_store_short v[4:5], v18, off
	s_or_b64 exec, exec, s[20:21]
	s_and_saveexec_b64 s[8:9], s[0:1]
	s_cbranch_execz .LBB132_13
.LBB132_17:                             ;   in Loop: Header=BB132_4 Depth=1
	s_waitcnt vmcnt(0)
	v_cvt_f32_f16_e32 v18, v19
	v_cmp_u_f16_e32 vcc, v19, v19
	v_cmp_lt_f32_e64 s[0:1], s22, v18
	s_or_b64 vcc, vcc, s[0:1]
	v_cndmask_b32_e32 v18, v1, v19, vcc
	global_store_short v[6:7], v18, off
	s_or_b64 exec, exec, s[8:9]
	s_and_saveexec_b64 s[8:9], s[2:3]
	s_cbranch_execz .LBB132_14
.LBB132_18:                             ;   in Loop: Header=BB132_4 Depth=1
	s_waitcnt vmcnt(0)
	v_cvt_f32_f16_e32 v18, v20
	v_cmp_u_f16_e32 vcc, v20, v20
	v_mov_b32_e32 v19, s23
	v_cmp_lt_f32_e64 s[0:1], s22, v18
	s_or_b64 vcc, vcc, s[0:1]
	v_cndmask_b32_e32 v20, v1, v20, vcc
	v_add_co_u32_e32 v18, vcc, s24, v4
	v_addc_co_u32_e32 v19, vcc, v5, v19, vcc
	global_store_short v[18:19], v20, off
	s_or_b64 exec, exec, s[8:9]
	s_and_saveexec_b64 s[2:3], s[6:7]
	s_cbranch_execz .LBB132_3
.LBB132_19:                             ;   in Loop: Header=BB132_4 Depth=1
	s_waitcnt vmcnt(0)
	v_cvt_f32_f16_e32 v18, v17
	v_cmp_u_f16_e32 vcc, v17, v17
	v_mov_b32_e32 v19, s27
	v_cmp_lt_f32_e64 s[0:1], s22, v18
	s_or_b64 vcc, vcc, s[0:1]
	v_cndmask_b32_e32 v17, v1, v17, vcc
	v_add_co_u32_e32 v18, vcc, s26, v4
	v_addc_co_u32_e32 v19, vcc, v5, v19, vcc
	global_store_short v[18:19], v17, off
	s_branch .LBB132_3
.LBB132_20:
	s_cbranch_execz .LBB132_22
	s_branch .LBB132_25
.LBB132_21:
.LBB132_22:
	v_mov_b32_e32 v3, 0
	v_lshlrev_b32_e32 v2, 2, v0
	s_mov_b32 s0, 0
	v_cmp_gt_i64_e32 vcc, s[14:15], v[2:3]
	s_and_saveexec_b64 s[2:3], vcc
	s_cbranch_execz .LBB132_25
; %bb.23:
	s_load_dword s1, s[4:5], 0xd3c
	v_cvt_f16_f32_e32 v1, s22
	v_lshlrev_b32_e32 v2, 3, v0
	s_mov_b32 s20, s22
	s_mov_b32 s21, s22
	s_waitcnt lgkmcnt(0)
	s_and_b32 s1, s1, 0xffff
	s_add_u32 s2, s10, s12
	s_addc_u32 s3, s11, s13
	v_pack_b32_f16 v1, v1, v1
	v_mov_b32_e32 v5, s3
	v_add_co_u32_e32 v4, vcc, s2, v2
	s_mov_b32 s23, s22
	v_addc_co_u32_e32 v5, vcc, 0, v5, vcc
	s_lshl_b32 s24, s1, 3
	v_add_lshl_u32 v2, v0, s1, 2
	s_lshl_b32 s25, s1, 2
	s_mov_b64 s[16:17], 0
	v_lshrrev_b32_e32 v0, 16, v1
	s_mov_b32 s26, 0x5040100
	s_mov_b64 s[18:19], 0xffff
	v_mov_b32_e32 v6, s0
	v_mov_b32_e32 v7, s0
.LBB132_24:                             ; =>This Inner Loop Header: Depth=1
	global_load_dwordx2 v[8:9], v[4:5], off
	v_cmp_le_i64_e32 vcc, s[14:15], v[2:3]
	v_cmp_lt_u64_e64 s[0:1], s[18:19], v[2:3]
	s_or_b64 s[28:29], vcc, s[0:1]
	s_waitcnt vmcnt(0)
	v_cvt_f32_f16_e32 v13, v9
	v_lshrrev_b32_e32 v11, 16, v9
	v_cvt_f32_f16_e32 v12, v8
	v_lshrrev_b32_e32 v10, 16, v8
	v_cvt_f32_f16_e32 v15, v11
	v_cvt_f32_f16_e32 v14, v10
	v_cmp_u_f16_e32 vcc, v9, v9
	v_cmp_lt_f32_e64 s[6:7], s21, v13
	v_cmp_u_f16_e64 s[0:1], v8, v8
	v_cmp_lt_f32_e64 s[8:9], s22, v12
	s_or_b64 vcc, vcc, s[6:7]
	v_cmp_u_f16_e64 s[2:3], v11, v11
	v_cmp_lt_f32_e64 s[10:11], s23, v15
	v_cndmask_b32_e32 v9, v1, v9, vcc
	s_or_b64 vcc, s[0:1], s[8:9]
	v_cmp_u_f16_e64 s[4:5], v10, v10
	v_cmp_lt_f32_e64 s[12:13], s20, v14
	v_cndmask_b32_e32 v8, v1, v8, vcc
	s_or_b64 vcc, s[2:3], s[10:11]
	v_cndmask_b32_e32 v11, v0, v11, vcc
	s_or_b64 vcc, s[4:5], s[12:13]
	v_cndmask_b32_e32 v10, v0, v10, vcc
	v_perm_b32 v9, v11, v9, s26
	v_perm_b32 v8, v10, v8, s26
	global_store_dwordx2 v[4:5], v[8:9], off
	v_add_co_u32_e32 v4, vcc, s24, v4
	v_addc_co_u32_e32 v5, vcc, v5, v6, vcc
	s_and_b64 s[0:1], exec, s[28:29]
	v_add_co_u32_e32 v2, vcc, s25, v2
	s_or_b64 s[16:17], s[0:1], s[16:17]
	v_addc_co_u32_e32 v3, vcc, v3, v7, vcc
	s_andn2_b64 exec, exec, s[16:17]
	s_cbranch_execnz .LBB132_24
.LBB132_25:
	s_endpgm
	.section	.rodata,"a",@progbits
	.p2align	6, 0x0
	.amdhsa_kernel _ZN2at6native12_GLOBAL__N_125multi_tensor_apply_kernelINS1_18TensorListMetadataILi1EEENS1_21BinaryOpScalarFunctorIN3c104HalfELi1ELi1ELi0EEEJNS0_7maximumIfEEfEEEvT_T0_DpT1_
		.amdhsa_group_segment_fixed_size 0
		.amdhsa_private_segment_fixed_size 0
		.amdhsa_kernarg_size 3632
		.amdhsa_user_sgpr_count 6
		.amdhsa_user_sgpr_private_segment_buffer 1
		.amdhsa_user_sgpr_dispatch_ptr 0
		.amdhsa_user_sgpr_queue_ptr 0
		.amdhsa_user_sgpr_kernarg_segment_ptr 1
		.amdhsa_user_sgpr_dispatch_id 0
		.amdhsa_user_sgpr_flat_scratch_init 0
		.amdhsa_user_sgpr_kernarg_preload_length 0
		.amdhsa_user_sgpr_kernarg_preload_offset 0
		.amdhsa_user_sgpr_private_segment_size 0
		.amdhsa_uses_dynamic_stack 0
		.amdhsa_system_sgpr_private_segment_wavefront_offset 0
		.amdhsa_system_sgpr_workgroup_id_x 1
		.amdhsa_system_sgpr_workgroup_id_y 0
		.amdhsa_system_sgpr_workgroup_id_z 0
		.amdhsa_system_sgpr_workgroup_info 0
		.amdhsa_system_vgpr_workitem_id 0
		.amdhsa_next_free_vgpr 24
		.amdhsa_next_free_sgpr 30
		.amdhsa_accum_offset 24
		.amdhsa_reserve_vcc 1
		.amdhsa_reserve_flat_scratch 0
		.amdhsa_float_round_mode_32 0
		.amdhsa_float_round_mode_16_64 0
		.amdhsa_float_denorm_mode_32 3
		.amdhsa_float_denorm_mode_16_64 3
		.amdhsa_dx10_clamp 1
		.amdhsa_ieee_mode 1
		.amdhsa_fp16_overflow 0
		.amdhsa_tg_split 0
		.amdhsa_exception_fp_ieee_invalid_op 0
		.amdhsa_exception_fp_denorm_src 0
		.amdhsa_exception_fp_ieee_div_zero 0
		.amdhsa_exception_fp_ieee_overflow 0
		.amdhsa_exception_fp_ieee_underflow 0
		.amdhsa_exception_fp_ieee_inexact 0
		.amdhsa_exception_int_div_zero 0
	.end_amdhsa_kernel
	.section	.text._ZN2at6native12_GLOBAL__N_125multi_tensor_apply_kernelINS1_18TensorListMetadataILi1EEENS1_21BinaryOpScalarFunctorIN3c104HalfELi1ELi1ELi0EEEJNS0_7maximumIfEEfEEEvT_T0_DpT1_,"axG",@progbits,_ZN2at6native12_GLOBAL__N_125multi_tensor_apply_kernelINS1_18TensorListMetadataILi1EEENS1_21BinaryOpScalarFunctorIN3c104HalfELi1ELi1ELi0EEEJNS0_7maximumIfEEfEEEvT_T0_DpT1_,comdat
.Lfunc_end132:
	.size	_ZN2at6native12_GLOBAL__N_125multi_tensor_apply_kernelINS1_18TensorListMetadataILi1EEENS1_21BinaryOpScalarFunctorIN3c104HalfELi1ELi1ELi0EEEJNS0_7maximumIfEEfEEEvT_T0_DpT1_, .Lfunc_end132-_ZN2at6native12_GLOBAL__N_125multi_tensor_apply_kernelINS1_18TensorListMetadataILi1EEENS1_21BinaryOpScalarFunctorIN3c104HalfELi1ELi1ELi0EEEJNS0_7maximumIfEEfEEEvT_T0_DpT1_
                                        ; -- End function
	.section	.AMDGPU.csdata,"",@progbits
; Kernel info:
; codeLenInByte = 1240
; NumSgprs: 34
; NumVgprs: 24
; NumAgprs: 0
; TotalNumVgprs: 24
; ScratchSize: 0
; MemoryBound: 0
; FloatMode: 240
; IeeeMode: 1
; LDSByteSize: 0 bytes/workgroup (compile time only)
; SGPRBlocks: 4
; VGPRBlocks: 2
; NumSGPRsForWavesPerEU: 34
; NumVGPRsForWavesPerEU: 24
; AccumOffset: 24
; Occupancy: 8
; WaveLimiterHint : 0
; COMPUTE_PGM_RSRC2:SCRATCH_EN: 0
; COMPUTE_PGM_RSRC2:USER_SGPR: 6
; COMPUTE_PGM_RSRC2:TRAP_HANDLER: 0
; COMPUTE_PGM_RSRC2:TGID_X_EN: 1
; COMPUTE_PGM_RSRC2:TGID_Y_EN: 0
; COMPUTE_PGM_RSRC2:TGID_Z_EN: 0
; COMPUTE_PGM_RSRC2:TIDIG_COMP_CNT: 0
; COMPUTE_PGM_RSRC3_GFX90A:ACCUM_OFFSET: 5
; COMPUTE_PGM_RSRC3_GFX90A:TG_SPLIT: 0
	.section	.text._ZN2at6native12_GLOBAL__N_125multi_tensor_apply_kernelINS1_18TensorListMetadataILi1EEENS1_21BinaryOpScalarFunctorIN3c108BFloat16ELi1ELi1ELi0EEEJNS0_7maximumIfEEfEEEvT_T0_DpT1_,"axG",@progbits,_ZN2at6native12_GLOBAL__N_125multi_tensor_apply_kernelINS1_18TensorListMetadataILi1EEENS1_21BinaryOpScalarFunctorIN3c108BFloat16ELi1ELi1ELi0EEEJNS0_7maximumIfEEfEEEvT_T0_DpT1_,comdat
	.globl	_ZN2at6native12_GLOBAL__N_125multi_tensor_apply_kernelINS1_18TensorListMetadataILi1EEENS1_21BinaryOpScalarFunctorIN3c108BFloat16ELi1ELi1ELi0EEEJNS0_7maximumIfEEfEEEvT_T0_DpT1_ ; -- Begin function _ZN2at6native12_GLOBAL__N_125multi_tensor_apply_kernelINS1_18TensorListMetadataILi1EEENS1_21BinaryOpScalarFunctorIN3c108BFloat16ELi1ELi1ELi0EEEJNS0_7maximumIfEEfEEEvT_T0_DpT1_
	.p2align	8
	.type	_ZN2at6native12_GLOBAL__N_125multi_tensor_apply_kernelINS1_18TensorListMetadataILi1EEENS1_21BinaryOpScalarFunctorIN3c108BFloat16ELi1ELi1ELi0EEEJNS0_7maximumIfEEfEEEvT_T0_DpT1_,@function
_ZN2at6native12_GLOBAL__N_125multi_tensor_apply_kernelINS1_18TensorListMetadataILi1EEENS1_21BinaryOpScalarFunctorIN3c108BFloat16ELi1ELi1ELi0EEEJNS0_7maximumIfEEfEEEvT_T0_DpT1_: ; @_ZN2at6native12_GLOBAL__N_125multi_tensor_apply_kernelINS1_18TensorListMetadataILi1EEENS1_21BinaryOpScalarFunctorIN3c108BFloat16ELi1ELi1ELi0EEEJNS0_7maximumIfEEfEEEvT_T0_DpT1_
; %bb.0:
	v_mov_b32_e32 v1, s6
	global_load_ubyte v1, v1, s[4:5] offset:1760
	s_add_u32 s0, s4, s6
	s_mul_hi_u32 s1, s6, 3
	s_mul_i32 s6, s6, 3
	s_addc_u32 s2, s5, 0
	s_add_u32 s0, s0, s6
	s_addc_u32 s1, s2, s1
	s_load_dword s0, s[0:1], 0x820
	s_mov_b32 s7, 0
	s_waitcnt vmcnt(0)
	v_readfirstlane_b32 s1, v1
	s_lshl_b32 s1, s1, 3
	s_load_dword s22, s[4:5], 0xd2c
	s_load_dwordx2 s[2:3], s[4:5], s1 offset:0x370
	s_load_dwordx2 s[12:13], s[4:5], s1 offset:0x0
	s_waitcnt lgkmcnt(0)
	s_ashr_i32 s1, s0, 31
	s_lshl_b64 s[14:15], s[0:1], 17
	s_lshl_b64 s[0:1], s[0:1], 16
	s_and_b32 s6, s12, 7
	s_sub_u32 s10, s2, s0
	s_subb_u32 s11, s3, s1
	s_and_b32 s0, s2, 3
	s_mov_b32 s1, s7
	s_or_b64 s[0:1], s[6:7], s[0:1]
	s_cmp_eq_u64 s[0:1], 0
	s_cbranch_scc1 .LBB133_21
; %bb.1:
	v_cmp_lt_i64_e64 s[0:1], s[10:11], 1
	s_and_b64 vcc, exec, s[0:1]
	s_cbranch_vccnz .LBB133_20
; %bb.2:
	s_load_dword s0, s[4:5], 0xd3c
	v_mov_b32_e32 v2, 0x10000
	v_mov_b32_e32 v3, 0
	v_cmp_lt_u64_e32 vcc, s[10:11], v[2:3]
	v_lshlrev_b32_e32 v1, 1, v0
	s_waitcnt lgkmcnt(0)
	s_and_b32 s2, s0, 0xffff
	s_and_b64 s[0:1], vcc, exec
	s_cselect_b32 s17, s11, 0
	s_cselect_b32 s16, s10, 0x10000
	s_lshl_b32 s3, s2, 1
	s_lshl_b32 s24, s2, 2
	s_add_u32 s6, s12, s14
	s_addc_u32 s7, s13, s15
	v_mov_b32_e32 v5, s7
	v_add_co_u32_e32 v4, vcc, s6, v1
	s_mul_i32 s0, s2, 3
	v_addc_co_u32_e32 v5, vcc, 0, v5, vcc
	v_add_co_u32_e32 v1, vcc, s0, v0
	v_addc_co_u32_e64 v10, s[0:1], 0, 0, vcc
	v_add_co_u32_e32 v11, vcc, s3, v0
	v_addc_co_u32_e64 v12, s[0:1], 0, 0, vcc
	v_add_co_u32_e32 v13, vcc, s2, v0
	v_lshlrev_b32_e32 v6, 1, v13
	s_mov_b32 s23, 0
	v_addc_co_u32_e64 v14, s[0:1], 0, 0, vcc
	v_mov_b32_e32 v7, s7
	v_add_co_u32_e32 v6, vcc, s6, v6
	s_lshl_b32 s25, s2, 3
	s_mul_i32 s26, s2, 6
	s_mov_b32 s27, s23
	v_addc_co_u32_e32 v7, vcc, 0, v7, vcc
	s_mov_b64 s[18:19], 0
	s_movk_i32 s28, 0x7fff
	v_pk_mov_b32 v[8:9], s[10:11], s[10:11] op_sel:[0,1]
	v_mov_b32_e32 v15, s23
	v_mov_b32_e32 v16, 0x7fc0
	s_branch .LBB133_4
.LBB133_3:                              ;   in Loop: Header=BB133_4 Depth=1
	s_or_b64 exec, exec, s[2:3]
	s_add_u32 s18, s18, s24
	s_addc_u32 s19, s19, 0
	v_cmp_lt_i64_e32 vcc, s[18:19], v[8:9]
	v_cmp_lt_u64_e64 s[0:1], s[18:19], v[2:3]
	s_and_b64 s[0:1], vcc, s[0:1]
	v_add_co_u32_e32 v4, vcc, s25, v4
	v_addc_co_u32_e32 v5, vcc, v5, v15, vcc
	v_add_co_u32_e32 v6, vcc, s25, v6
	v_addc_co_u32_e32 v7, vcc, v7, v15, vcc
	s_and_b64 vcc, exec, s[0:1]
	s_cbranch_vccz .LBB133_20
.LBB133_4:                              ; =>This Inner Loop Header: Depth=1
	s_waitcnt vmcnt(0)
	v_mov_b32_e32 v17, s19
	v_add_co_u32_e32 v18, vcc, s18, v0
	v_addc_co_u32_e32 v19, vcc, 0, v17, vcc
	v_cmp_gt_u64_e64 s[6:7], s[16:17], v[18:19]
	v_mov_b32_e32 v19, 0
	s_and_saveexec_b64 s[0:1], s[6:7]
	s_cbranch_execz .LBB133_6
; %bb.5:                                ;   in Loop: Header=BB133_4 Depth=1
	global_load_ushort v19, v[4:5], off
.LBB133_6:                              ;   in Loop: Header=BB133_4 Depth=1
	s_or_b64 exec, exec, s[0:1]
	v_mov_b32_e32 v17, s19
	v_add_co_u32_e32 v20, vcc, s18, v13
	v_addc_co_u32_e32 v21, vcc, v14, v17, vcc
	v_cmp_gt_u64_e64 s[2:3], s[16:17], v[20:21]
	v_mov_b32_e32 v18, 0
	s_and_saveexec_b64 s[0:1], s[2:3]
	s_cbranch_execz .LBB133_8
; %bb.7:                                ;   in Loop: Header=BB133_4 Depth=1
	global_load_ushort v18, v[6:7], off
.LBB133_8:                              ;   in Loop: Header=BB133_4 Depth=1
	s_or_b64 exec, exec, s[0:1]
	v_mov_b32_e32 v17, s19
	v_add_co_u32_e32 v20, vcc, s18, v11
	v_addc_co_u32_e32 v21, vcc, v12, v17, vcc
	v_cmp_gt_u64_e64 s[0:1], s[16:17], v[20:21]
	v_mov_b32_e32 v17, 0
	v_mov_b32_e32 v20, 0
	s_and_saveexec_b64 s[8:9], s[0:1]
	s_cbranch_execz .LBB133_10
; %bb.9:                                ;   in Loop: Header=BB133_4 Depth=1
	v_mov_b32_e32 v21, s23
	v_add_co_u32_e32 v20, vcc, s24, v4
	v_addc_co_u32_e32 v21, vcc, v5, v21, vcc
	global_load_ushort v20, v[20:21], off
.LBB133_10:                             ;   in Loop: Header=BB133_4 Depth=1
	s_or_b64 exec, exec, s[8:9]
	v_mov_b32_e32 v21, s19
	v_add_co_u32_e32 v22, vcc, s18, v1
	v_addc_co_u32_e32 v23, vcc, v10, v21, vcc
	v_cmp_gt_u64_e32 vcc, s[16:17], v[22:23]
	s_and_saveexec_b64 s[20:21], vcc
	s_cbranch_execnz .LBB133_15
; %bb.11:                               ;   in Loop: Header=BB133_4 Depth=1
	s_or_b64 exec, exec, s[20:21]
	s_and_saveexec_b64 s[20:21], s[6:7]
	s_cbranch_execnz .LBB133_16
.LBB133_12:                             ;   in Loop: Header=BB133_4 Depth=1
	s_or_b64 exec, exec, s[20:21]
	s_and_saveexec_b64 s[8:9], s[2:3]
	s_cbranch_execnz .LBB133_17
.LBB133_13:                             ;   in Loop: Header=BB133_4 Depth=1
	s_or_b64 exec, exec, s[8:9]
	s_and_saveexec_b64 s[6:7], s[0:1]
	s_cbranch_execnz .LBB133_18
.LBB133_14:                             ;   in Loop: Header=BB133_4 Depth=1
	s_or_b64 exec, exec, s[6:7]
	s_and_saveexec_b64 s[2:3], vcc
	s_cbranch_execz .LBB133_3
	s_branch .LBB133_19
.LBB133_15:                             ;   in Loop: Header=BB133_4 Depth=1
	v_mov_b32_e32 v17, s27
	v_add_co_u32_e64 v22, s[8:9], s26, v4
	v_addc_co_u32_e64 v23, s[8:9], v5, v17, s[8:9]
	global_load_ushort v17, v[22:23], off
	s_or_b64 exec, exec, s[20:21]
	s_and_saveexec_b64 s[20:21], s[6:7]
	s_cbranch_execz .LBB133_12
.LBB133_16:                             ;   in Loop: Header=BB133_4 Depth=1
	s_waitcnt vmcnt(0)
	v_lshlrev_b32_e32 v19, 16, v19
	v_cmp_u_f32_e64 s[6:7], v19, v19
	v_cmp_lt_f32_e64 s[8:9], s22, v19
	v_mov_b32_e32 v21, s22
	s_or_b64 s[6:7], s[6:7], s[8:9]
	v_cndmask_b32_e64 v19, v21, v19, s[6:7]
	v_bfe_u32 v21, v19, 16, 1
	v_add3_u32 v21, v19, v21, s28
	v_lshrrev_b32_e32 v21, 16, v21
	v_cmp_o_f32_e64 s[6:7], v19, v19
	v_cndmask_b32_e64 v19, v16, v21, s[6:7]
	global_store_short v[4:5], v19, off
	s_or_b64 exec, exec, s[20:21]
	s_and_saveexec_b64 s[8:9], s[2:3]
	s_cbranch_execz .LBB133_13
.LBB133_17:                             ;   in Loop: Header=BB133_4 Depth=1
	s_waitcnt vmcnt(0)
	v_lshlrev_b32_e32 v18, 16, v18
	v_cmp_u_f32_e64 s[2:3], v18, v18
	v_cmp_lt_f32_e64 s[6:7], s22, v18
	v_mov_b32_e32 v19, s22
	s_or_b64 s[2:3], s[2:3], s[6:7]
	v_cndmask_b32_e64 v18, v19, v18, s[2:3]
	v_bfe_u32 v19, v18, 16, 1
	v_add3_u32 v19, v18, v19, s28
	v_lshrrev_b32_e32 v19, 16, v19
	v_cmp_o_f32_e64 s[2:3], v18, v18
	v_cndmask_b32_e64 v18, v16, v19, s[2:3]
	global_store_short v[6:7], v18, off
	s_or_b64 exec, exec, s[8:9]
	s_and_saveexec_b64 s[6:7], s[0:1]
	s_cbranch_execz .LBB133_14
.LBB133_18:                             ;   in Loop: Header=BB133_4 Depth=1
	s_waitcnt vmcnt(0)
	v_lshlrev_b32_e32 v18, 16, v20
	v_cmp_u_f32_e64 s[0:1], v18, v18
	v_cmp_lt_f32_e64 s[2:3], s22, v18
	v_mov_b32_e32 v19, s22
	s_or_b64 s[0:1], s[0:1], s[2:3]
	v_cndmask_b32_e64 v18, v19, v18, s[0:1]
	v_bfe_u32 v19, v18, 16, 1
	v_add3_u32 v19, v18, v19, s28
	v_lshrrev_b32_e32 v19, 16, v19
	v_cmp_o_f32_e64 s[0:1], v18, v18
	v_cndmask_b32_e64 v20, v16, v19, s[0:1]
	v_mov_b32_e32 v19, s23
	v_add_co_u32_e64 v18, s[0:1], s24, v4
	v_addc_co_u32_e64 v19, s[0:1], v5, v19, s[0:1]
	global_store_short v[18:19], v20, off
	s_or_b64 exec, exec, s[6:7]
	s_and_saveexec_b64 s[2:3], vcc
	s_cbranch_execz .LBB133_3
.LBB133_19:                             ;   in Loop: Header=BB133_4 Depth=1
	s_waitcnt vmcnt(0)
	v_lshlrev_b32_e32 v17, 16, v17
	v_cmp_u_f32_e32 vcc, v17, v17
	v_cmp_lt_f32_e64 s[0:1], s22, v17
	v_mov_b32_e32 v18, s22
	s_or_b64 vcc, vcc, s[0:1]
	v_cndmask_b32_e32 v17, v18, v17, vcc
	v_bfe_u32 v18, v17, 16, 1
	v_add3_u32 v18, v17, v18, s28
	v_lshrrev_b32_e32 v18, 16, v18
	v_cmp_o_f32_e32 vcc, v17, v17
	v_cndmask_b32_e32 v17, v16, v18, vcc
	v_mov_b32_e32 v19, s27
	v_add_co_u32_e32 v18, vcc, s26, v4
	v_addc_co_u32_e32 v19, vcc, v5, v19, vcc
	global_store_short v[18:19], v17, off
	s_branch .LBB133_3
.LBB133_20:
	s_cbranch_execz .LBB133_22
	s_branch .LBB133_25
.LBB133_21:
.LBB133_22:
	v_mov_b32_e32 v3, 0
	v_lshlrev_b32_e32 v2, 2, v0
	s_mov_b32 s0, 0
	v_cmp_gt_i64_e32 vcc, s[10:11], v[2:3]
	s_and_saveexec_b64 s[2:3], vcc
	s_cbranch_execz .LBB133_25
; %bb.23:
	s_load_dword s1, s[4:5], 0xd3c
	v_lshlrev_b32_e32 v1, 3, v0
	s_movk_i32 s18, 0x7fff
	v_mov_b32_e32 v6, 0x7fc0
	v_mov_b32_e32 v7, s0
	s_waitcnt lgkmcnt(0)
	s_and_b32 s1, s1, 0xffff
	s_add_u32 s2, s12, s14
	s_addc_u32 s3, s13, s15
	v_mov_b32_e32 v2, s3
	v_add_co_u32_e32 v4, vcc, s2, v1
	v_addc_co_u32_e32 v5, vcc, 0, v2, vcc
	s_lshl_b32 s16, s1, 3
	v_add_lshl_u32 v2, v0, s1, 2
	s_lshl_b32 s17, s1, 2
	s_mov_b64 s[12:13], 0
	v_mov_b32_e32 v0, s22
	v_mov_b32_e32 v1, 0x7fc00000
	s_mov_b64 s[14:15], 0xffff
	v_mov_b32_e32 v8, s0
.LBB133_24:                             ; =>This Inner Loop Header: Depth=1
	global_load_dwordx2 v[10:11], v[4:5], off
	v_cmp_le_i64_e32 vcc, s[10:11], v[2:3]
	v_cmp_lt_u64_e64 s[0:1], s[14:15], v[2:3]
	s_or_b64 s[20:21], vcc, s[0:1]
	s_waitcnt vmcnt(0)
	v_lshlrev_b32_e32 v9, 16, v10
	v_and_b32_e32 v12, 0xffff0000, v10
	v_alignbit_b32 v10, v11, v10, 16
	v_and_b32_e32 v11, 0xffff0000, v11
	v_cmp_u_f32_e32 vcc, v9, v9
	v_cmp_lt_f32_e64 s[0:1], s22, v9
	v_cmp_u_f32_e64 s[2:3], v12, v12
	v_cmp_lt_f32_e64 s[4:5], s22, v12
	v_cmp_u_f32_e64 s[6:7], v11, v11
	v_cmp_lt_f32_e64 s[8:9], s22, v11
	s_or_b64 vcc, vcc, s[0:1]
	v_cndmask_b32_e32 v9, v0, v9, vcc
	s_or_b64 vcc, s[2:3], s[4:5]
	s_or_b64 s[2:3], s[6:7], s[8:9]
	v_and_b32_e32 v10, 0xffff0000, v10
	v_cndmask_b32_e64 v11, v0, v11, s[2:3]
	v_cndmask_b32_e32 v12, v0, v12, vcc
	v_cmp_u_f32_e32 vcc, v10, v10
	v_cmp_lt_f32_e64 s[0:1], s22, v10
	v_bfe_u32 v15, v11, 16, 1
	v_bfe_u32 v14, v12, 16, 1
	s_or_b64 vcc, vcc, s[0:1]
	v_add3_u32 v15, v11, v15, s18
	v_bfe_u32 v13, v9, 16, 1
	v_cndmask_b32_e32 v10, v0, v10, vcc
	v_add3_u32 v14, v12, v14, s18
	v_and_b32_e32 v15, 0xffff0000, v15
	v_cmp_o_f32_e32 vcc, v11, v11
	v_add3_u32 v13, v9, v13, s18
	v_bfe_u32 v16, v10, 16, 1
	v_and_b32_e32 v14, 0xffff0000, v14
	v_cndmask_b32_e32 v11, v1, v15, vcc
	v_cmp_o_f32_e32 vcc, v12, v12
	v_lshrrev_b32_e32 v13, 16, v13
	v_add3_u32 v16, v10, v16, s18
	v_cndmask_b32_e32 v12, v1, v14, vcc
	v_cmp_o_f32_e32 vcc, v9, v9
	v_lshrrev_b32_e32 v16, 16, v16
	v_cndmask_b32_e32 v9, v6, v13, vcc
	v_cmp_o_f32_e32 vcc, v10, v10
	v_cndmask_b32_e32 v10, v6, v16, vcc
	v_or_b32_e32 v9, v9, v12
	v_or3_b32 v11, 0, v10, v11
	v_or3_b32 v10, v9, 0, 0
	global_store_dwordx2 v[4:5], v[10:11], off
	v_add_co_u32_e32 v4, vcc, s16, v4
	v_addc_co_u32_e32 v5, vcc, v5, v7, vcc
	s_and_b64 s[0:1], exec, s[20:21]
	v_add_co_u32_e32 v2, vcc, s17, v2
	s_or_b64 s[12:13], s[0:1], s[12:13]
	v_addc_co_u32_e32 v3, vcc, v3, v8, vcc
	s_andn2_b64 exec, exec, s[12:13]
	s_cbranch_execnz .LBB133_24
.LBB133_25:
	s_endpgm
	.section	.rodata,"a",@progbits
	.p2align	6, 0x0
	.amdhsa_kernel _ZN2at6native12_GLOBAL__N_125multi_tensor_apply_kernelINS1_18TensorListMetadataILi1EEENS1_21BinaryOpScalarFunctorIN3c108BFloat16ELi1ELi1ELi0EEEJNS0_7maximumIfEEfEEEvT_T0_DpT1_
		.amdhsa_group_segment_fixed_size 0
		.amdhsa_private_segment_fixed_size 0
		.amdhsa_kernarg_size 3632
		.amdhsa_user_sgpr_count 6
		.amdhsa_user_sgpr_private_segment_buffer 1
		.amdhsa_user_sgpr_dispatch_ptr 0
		.amdhsa_user_sgpr_queue_ptr 0
		.amdhsa_user_sgpr_kernarg_segment_ptr 1
		.amdhsa_user_sgpr_dispatch_id 0
		.amdhsa_user_sgpr_flat_scratch_init 0
		.amdhsa_user_sgpr_kernarg_preload_length 0
		.amdhsa_user_sgpr_kernarg_preload_offset 0
		.amdhsa_user_sgpr_private_segment_size 0
		.amdhsa_uses_dynamic_stack 0
		.amdhsa_system_sgpr_private_segment_wavefront_offset 0
		.amdhsa_system_sgpr_workgroup_id_x 1
		.amdhsa_system_sgpr_workgroup_id_y 0
		.amdhsa_system_sgpr_workgroup_id_z 0
		.amdhsa_system_sgpr_workgroup_info 0
		.amdhsa_system_vgpr_workitem_id 0
		.amdhsa_next_free_vgpr 24
		.amdhsa_next_free_sgpr 29
		.amdhsa_accum_offset 24
		.amdhsa_reserve_vcc 1
		.amdhsa_reserve_flat_scratch 0
		.amdhsa_float_round_mode_32 0
		.amdhsa_float_round_mode_16_64 0
		.amdhsa_float_denorm_mode_32 3
		.amdhsa_float_denorm_mode_16_64 3
		.amdhsa_dx10_clamp 1
		.amdhsa_ieee_mode 1
		.amdhsa_fp16_overflow 0
		.amdhsa_tg_split 0
		.amdhsa_exception_fp_ieee_invalid_op 0
		.amdhsa_exception_fp_denorm_src 0
		.amdhsa_exception_fp_ieee_div_zero 0
		.amdhsa_exception_fp_ieee_overflow 0
		.amdhsa_exception_fp_ieee_underflow 0
		.amdhsa_exception_fp_ieee_inexact 0
		.amdhsa_exception_int_div_zero 0
	.end_amdhsa_kernel
	.section	.text._ZN2at6native12_GLOBAL__N_125multi_tensor_apply_kernelINS1_18TensorListMetadataILi1EEENS1_21BinaryOpScalarFunctorIN3c108BFloat16ELi1ELi1ELi0EEEJNS0_7maximumIfEEfEEEvT_T0_DpT1_,"axG",@progbits,_ZN2at6native12_GLOBAL__N_125multi_tensor_apply_kernelINS1_18TensorListMetadataILi1EEENS1_21BinaryOpScalarFunctorIN3c108BFloat16ELi1ELi1ELi0EEEJNS0_7maximumIfEEfEEEvT_T0_DpT1_,comdat
.Lfunc_end133:
	.size	_ZN2at6native12_GLOBAL__N_125multi_tensor_apply_kernelINS1_18TensorListMetadataILi1EEENS1_21BinaryOpScalarFunctorIN3c108BFloat16ELi1ELi1ELi0EEEJNS0_7maximumIfEEfEEEvT_T0_DpT1_, .Lfunc_end133-_ZN2at6native12_GLOBAL__N_125multi_tensor_apply_kernelINS1_18TensorListMetadataILi1EEENS1_21BinaryOpScalarFunctorIN3c108BFloat16ELi1ELi1ELi0EEEJNS0_7maximumIfEEfEEEvT_T0_DpT1_
                                        ; -- End function
	.section	.AMDGPU.csdata,"",@progbits
; Kernel info:
; codeLenInByte = 1524
; NumSgprs: 33
; NumVgprs: 24
; NumAgprs: 0
; TotalNumVgprs: 24
; ScratchSize: 0
; MemoryBound: 0
; FloatMode: 240
; IeeeMode: 1
; LDSByteSize: 0 bytes/workgroup (compile time only)
; SGPRBlocks: 4
; VGPRBlocks: 2
; NumSGPRsForWavesPerEU: 33
; NumVGPRsForWavesPerEU: 24
; AccumOffset: 24
; Occupancy: 8
; WaveLimiterHint : 0
; COMPUTE_PGM_RSRC2:SCRATCH_EN: 0
; COMPUTE_PGM_RSRC2:USER_SGPR: 6
; COMPUTE_PGM_RSRC2:TRAP_HANDLER: 0
; COMPUTE_PGM_RSRC2:TGID_X_EN: 1
; COMPUTE_PGM_RSRC2:TGID_Y_EN: 0
; COMPUTE_PGM_RSRC2:TGID_Z_EN: 0
; COMPUTE_PGM_RSRC2:TIDIG_COMP_CNT: 0
; COMPUTE_PGM_RSRC3_GFX90A:ACCUM_OFFSET: 5
; COMPUTE_PGM_RSRC3_GFX90A:TG_SPLIT: 0
	.section	.text._ZN2at6native12_GLOBAL__N_125multi_tensor_apply_kernelINS1_18TensorListMetadataILi2EEENS1_21BinaryOpScalarFunctorIhLi2ELi1ELi1EEEJNS0_7maximumIhEEhEEEvT_T0_DpT1_,"axG",@progbits,_ZN2at6native12_GLOBAL__N_125multi_tensor_apply_kernelINS1_18TensorListMetadataILi2EEENS1_21BinaryOpScalarFunctorIhLi2ELi1ELi1EEEJNS0_7maximumIhEEhEEEvT_T0_DpT1_,comdat
	.globl	_ZN2at6native12_GLOBAL__N_125multi_tensor_apply_kernelINS1_18TensorListMetadataILi2EEENS1_21BinaryOpScalarFunctorIhLi2ELi1ELi1EEEJNS0_7maximumIhEEhEEEvT_T0_DpT1_ ; -- Begin function _ZN2at6native12_GLOBAL__N_125multi_tensor_apply_kernelINS1_18TensorListMetadataILi2EEENS1_21BinaryOpScalarFunctorIhLi2ELi1ELi1EEEJNS0_7maximumIhEEhEEEvT_T0_DpT1_
	.p2align	8
	.type	_ZN2at6native12_GLOBAL__N_125multi_tensor_apply_kernelINS1_18TensorListMetadataILi2EEENS1_21BinaryOpScalarFunctorIhLi2ELi1ELi1EEEJNS0_7maximumIhEEhEEEvT_T0_DpT1_,@function
_ZN2at6native12_GLOBAL__N_125multi_tensor_apply_kernelINS1_18TensorListMetadataILi2EEENS1_21BinaryOpScalarFunctorIhLi2ELi1ELi1EEEJNS0_7maximumIhEEhEEEvT_T0_DpT1_: ; @_ZN2at6native12_GLOBAL__N_125multi_tensor_apply_kernelINS1_18TensorListMetadataILi2EEENS1_21BinaryOpScalarFunctorIhLi2ELi1ELi1EEEJNS0_7maximumIhEEhEEEvT_T0_DpT1_
; %bb.0:
	v_mov_b32_e32 v1, s6
	global_load_ubyte v1, v1, s[4:5] offset:1536
	s_load_dword s0, s[4:5], 0xc48
	s_mul_i32 s2, s6, 3
	s_mul_hi_u32 s1, s6, 3
	s_waitcnt lgkmcnt(0)
	s_lshr_b32 s20, s0, 16
	s_add_u32 s0, s4, s6
	s_addc_u32 s3, s5, 0
	s_add_u32 s0, s0, s2
	s_addc_u32 s1, s3, s1
	s_load_dword s6, s[0:1], 0x740
	s_waitcnt vmcnt(0)
	v_readfirstlane_b32 s2, v1
	s_lshl_b32 s7, s2, 3
	s_load_dwordx2 s[0:1], s[4:5], s7 offset:0x0
	s_load_dwordx2 s[8:9], s[4:5], s7 offset:0x400
	;; [unrolled: 1-line block ×3, first 2 shown]
	s_waitcnt lgkmcnt(0)
	s_ashr_i32 s7, s6, 31
	s_lshl_b64 s[6:7], s[6:7], 16
	s_add_u32 s10, s0, s6
	s_addc_u32 s11, s1, s7
	s_add_u32 s21, s2, s6
	s_addc_u32 s22, s3, s7
	s_or_b64 s[12:13], s[8:9], s[10:11]
	s_or_b32 s12, s21, s12
	s_and_b32 s14, s12, 3
	s_sub_u32 s12, s8, s6
	s_subb_u32 s13, s9, s7
	s_cmp_eq_u32 s14, 0
	s_mov_b64 s[8:9], -1
	s_cbranch_scc1 .LBB134_21
; %bb.1:
	v_cmp_lt_i64_e64 s[8:9], s[12:13], 1
	s_and_b64 vcc, exec, s[8:9]
	s_cbranch_vccnz .LBB134_20
; %bb.2:
	s_load_dword s8, s[4:5], 0xc5c
	v_mov_b32_e32 v2, 0x10000
	v_mov_b32_e32 v3, 0
	v_cmp_lt_u64_e32 vcc, s[12:13], v[2:3]
	v_mov_b32_e32 v1, s7
	s_waitcnt lgkmcnt(0)
	s_and_b32 s16, s8, 0xffff
	s_and_b64 s[8:9], vcc, exec
	v_add_co_u32_e32 v2, vcc, s6, v0
	v_addc_co_u32_e32 v3, vcc, 0, v1, vcc
	v_mov_b32_e32 v20, s1
	v_add_co_u32_e32 v1, vcc, s0, v2
	s_cselect_b32 s15, s13, 0
	s_cselect_b32 s14, s12, 0x10000
	s_lshl_b32 s17, s16, 1
	s_mul_i32 s8, s16, 3
	s_lshl_b32 s23, s16, 2
	v_addc_co_u32_e32 v4, vcc, v20, v3, vcc
	v_mov_b32_e32 v22, s3
	v_add_co_u32_e32 v5, vcc, s2, v2
	s_add_u32 s1, s6, s8
	v_addc_co_u32_e32 v6, vcc, v22, v3, vcc
	s_addc_u32 s3, s7, 0
	v_mov_b32_e32 v7, s3
	v_add_co_u32_e32 v9, vcc, s1, v0
	v_addc_co_u32_e32 v10, vcc, 0, v7, vcc
	v_add_co_u32_e32 v7, vcc, s0, v9
	v_addc_co_u32_e32 v8, vcc, v20, v10, vcc
	;; [unrolled: 2-line block ×3, first 2 shown]
	s_add_u32 s1, s6, s17
	v_add_co_u32_e32 v11, vcc, s8, v0
	s_addc_u32 s3, s7, 0
	v_addc_co_u32_e64 v12, s[8:9], 0, 0, vcc
	v_mov_b32_e32 v13, s3
	v_add_co_u32_e32 v15, vcc, s1, v0
	v_addc_co_u32_e32 v16, vcc, 0, v13, vcc
	v_add_co_u32_e32 v13, vcc, s0, v15
	v_addc_co_u32_e32 v14, vcc, v20, v16, vcc
	;; [unrolled: 2-line block ×3, first 2 shown]
	v_add_co_u32_e32 v17, vcc, s17, v0
	v_addc_co_u32_e64 v18, s[6:7], 0, 0, vcc
	v_add_co_u32_e32 v2, vcc, s16, v2
	v_addc_co_u32_e32 v3, vcc, 0, v3, vcc
	v_add_co_u32_e32 v19, vcc, s0, v2
	v_addc_co_u32_e32 v20, vcc, v20, v3, vcc
	;; [unrolled: 2-line block ×3, first 2 shown]
	v_add_co_u32_e32 v23, vcc, s16, v0
	v_addc_co_u32_e64 v24, s[0:1], 0, 0, vcc
	s_mov_b64 s[16:17], 0
	v_pk_mov_b32 v[2:3], s[12:13], s[12:13] op_sel:[0,1]
	s_branch .LBB134_4
.LBB134_3:                              ;   in Loop: Header=BB134_4 Depth=1
	s_or_b64 exec, exec, s[0:1]
	s_add_u32 s16, s16, s23
	s_waitcnt vmcnt(0)
	v_mov_b32_e32 v26, 0x10000
	s_addc_u32 s17, s17, 0
	v_mov_b32_e32 v27, 0
	v_cmp_lt_i64_e32 vcc, s[16:17], v[2:3]
	v_cmp_lt_u64_e64 s[0:1], s[16:17], v[26:27]
	s_and_b64 s[0:1], vcc, s[0:1]
	s_and_b64 vcc, exec, s[0:1]
	s_cbranch_vccz .LBB134_20
.LBB134_4:                              ; =>This Inner Loop Header: Depth=1
	v_mov_b32_e32 v25, s17
	v_add_co_u32_e32 v26, vcc, s16, v0
	v_addc_co_u32_e32 v27, vcc, 0, v25, vcc
	v_cmp_gt_u64_e32 vcc, s[14:15], v[26:27]
	v_mov_b32_e32 v25, 0
	s_and_saveexec_b64 s[2:3], vcc
	s_cbranch_execz .LBB134_6
; %bb.5:                                ;   in Loop: Header=BB134_4 Depth=1
	v_mov_b32_e32 v25, s17
	v_add_co_u32_e64 v26, s[0:1], s16, v1
	v_addc_co_u32_e64 v27, s[0:1], v4, v25, s[0:1]
	global_load_ubyte v25, v[26:27], off
.LBB134_6:                              ;   in Loop: Header=BB134_4 Depth=1
	s_or_b64 exec, exec, s[2:3]
	v_mov_b32_e32 v27, s17
	v_add_co_u32_e64 v26, s[0:1], s16, v23
	v_addc_co_u32_e64 v27, s[0:1], v24, v27, s[0:1]
	v_cmp_gt_u64_e64 s[0:1], s[14:15], v[26:27]
	v_mov_b32_e32 v27, 0
	s_and_saveexec_b64 s[6:7], s[0:1]
	s_cbranch_execz .LBB134_8
; %bb.7:                                ;   in Loop: Header=BB134_4 Depth=1
	v_mov_b32_e32 v27, s17
	v_add_co_u32_e64 v26, s[2:3], s16, v19
	v_addc_co_u32_e64 v27, s[2:3], v20, v27, s[2:3]
	global_load_ubyte v27, v[26:27], off
.LBB134_8:                              ;   in Loop: Header=BB134_4 Depth=1
	s_or_b64 exec, exec, s[6:7]
	v_mov_b32_e32 v26, s17
	v_add_co_u32_e64 v28, s[2:3], s16, v17
	v_addc_co_u32_e64 v29, s[2:3], v18, v26, s[2:3]
	v_cmp_gt_u64_e64 s[2:3], s[14:15], v[28:29]
	v_mov_b32_e32 v26, 0
	v_mov_b32_e32 v28, 0
	s_and_saveexec_b64 s[8:9], s[2:3]
	s_cbranch_execz .LBB134_10
; %bb.9:                                ;   in Loop: Header=BB134_4 Depth=1
	v_mov_b32_e32 v29, s17
	v_add_co_u32_e64 v28, s[6:7], s16, v13
	v_addc_co_u32_e64 v29, s[6:7], v14, v29, s[6:7]
	global_load_ubyte v28, v[28:29], off
.LBB134_10:                             ;   in Loop: Header=BB134_4 Depth=1
	s_or_b64 exec, exec, s[8:9]
	v_mov_b32_e32 v29, s17
	v_add_co_u32_e64 v30, s[6:7], s16, v11
	v_addc_co_u32_e64 v31, s[6:7], v12, v29, s[6:7]
	v_cmp_gt_u64_e64 s[6:7], s[14:15], v[30:31]
	s_and_saveexec_b64 s[18:19], s[6:7]
	s_cbranch_execnz .LBB134_15
; %bb.11:                               ;   in Loop: Header=BB134_4 Depth=1
	s_or_b64 exec, exec, s[18:19]
	s_and_saveexec_b64 s[8:9], vcc
	s_cbranch_execnz .LBB134_16
.LBB134_12:                             ;   in Loop: Header=BB134_4 Depth=1
	s_or_b64 exec, exec, s[8:9]
	s_and_saveexec_b64 s[8:9], s[0:1]
	s_cbranch_execnz .LBB134_17
.LBB134_13:                             ;   in Loop: Header=BB134_4 Depth=1
	s_or_b64 exec, exec, s[8:9]
	s_and_saveexec_b64 s[0:1], s[2:3]
	s_cbranch_execnz .LBB134_18
.LBB134_14:                             ;   in Loop: Header=BB134_4 Depth=1
	s_or_b64 exec, exec, s[0:1]
	s_and_saveexec_b64 s[0:1], s[6:7]
	s_cbranch_execz .LBB134_3
	s_branch .LBB134_19
.LBB134_15:                             ;   in Loop: Header=BB134_4 Depth=1
	v_mov_b32_e32 v26, s17
	v_add_co_u32_e64 v30, s[8:9], s16, v7
	v_addc_co_u32_e64 v31, s[8:9], v8, v26, s[8:9]
	global_load_ubyte v26, v[30:31], off
	s_or_b64 exec, exec, s[18:19]
	s_and_saveexec_b64 s[8:9], vcc
	s_cbranch_execz .LBB134_12
.LBB134_16:                             ;   in Loop: Header=BB134_4 Depth=1
	v_mov_b32_e32 v29, s17
	v_add_co_u32_e32 v30, vcc, s16, v5
	s_waitcnt vmcnt(0)
	v_max_u16_sdwa v25, v25, s20 dst_sel:DWORD dst_unused:UNUSED_PAD src0_sel:BYTE_0 src1_sel:BYTE_0
	v_addc_co_u32_e32 v31, vcc, v6, v29, vcc
	global_store_byte v[30:31], v25, off
	s_or_b64 exec, exec, s[8:9]
	s_and_saveexec_b64 s[8:9], s[0:1]
	s_cbranch_execz .LBB134_13
.LBB134_17:                             ;   in Loop: Header=BB134_4 Depth=1
	s_waitcnt vmcnt(0)
	v_max_u16_sdwa v25, v27, s20 dst_sel:DWORD dst_unused:UNUSED_PAD src0_sel:BYTE_0 src1_sel:BYTE_0
	v_mov_b32_e32 v27, s17
	v_add_co_u32_e32 v30, vcc, s16, v21
	v_addc_co_u32_e32 v31, vcc, v22, v27, vcc
	global_store_byte v[30:31], v25, off
	s_or_b64 exec, exec, s[8:9]
	s_and_saveexec_b64 s[0:1], s[2:3]
	s_cbranch_execz .LBB134_14
.LBB134_18:                             ;   in Loop: Header=BB134_4 Depth=1
	s_waitcnt vmcnt(0)
	v_max_u16_sdwa v25, v28, s20 dst_sel:DWORD dst_unused:UNUSED_PAD src0_sel:BYTE_0 src1_sel:BYTE_0
	v_mov_b32_e32 v27, s17
	v_add_co_u32_e32 v28, vcc, s16, v15
	v_addc_co_u32_e32 v29, vcc, v16, v27, vcc
	global_store_byte v[28:29], v25, off
	s_or_b64 exec, exec, s[0:1]
	s_and_saveexec_b64 s[0:1], s[6:7]
	s_cbranch_execz .LBB134_3
.LBB134_19:                             ;   in Loop: Header=BB134_4 Depth=1
	s_waitcnt vmcnt(0)
	v_max_u16_sdwa v25, v26, s20 dst_sel:DWORD dst_unused:UNUSED_PAD src0_sel:BYTE_0 src1_sel:BYTE_0
	v_mov_b32_e32 v27, s17
	v_add_co_u32_e32 v26, vcc, s16, v9
	v_addc_co_u32_e32 v27, vcc, v10, v27, vcc
	global_store_byte v[26:27], v25, off
	s_branch .LBB134_3
.LBB134_20:
	s_mov_b64 s[8:9], 0
.LBB134_21:
	s_andn2_b64 vcc, exec, s[8:9]
	s_cbranch_vccnz .LBB134_25
; %bb.22:
	v_lshlrev_b32_e32 v0, 2, v0
	v_mov_b32_e32 v1, 0
	v_cmp_gt_i64_e32 vcc, s[12:13], v[0:1]
	s_and_saveexec_b64 s[0:1], vcc
	s_cbranch_execz .LBB134_25
; %bb.23:
	s_load_dword s0, s[4:5], 0xc5c
	s_mov_b32 s1, 0
	s_mov_b64 s[2:3], 0
	v_mov_b32_e32 v2, s11
	s_movk_i32 s6, 0xff
	s_waitcnt lgkmcnt(0)
	s_and_b32 s0, s0, 0xffff
	s_lshl_b32 s7, s0, 2
	v_mov_b32_e32 v3, s22
	v_mov_b32_e32 v4, s1
	s_mov_b64 s[4:5], 0xffff
.LBB134_24:                             ; =>This Inner Loop Header: Depth=1
	v_add_co_u32_e32 v6, vcc, s10, v0
	v_addc_co_u32_e32 v7, vcc, v2, v1, vcc
	global_load_dword v5, v[6:7], off
	v_add_co_u32_e32 v6, vcc, s21, v0
	v_addc_co_u32_e32 v7, vcc, v3, v1, vcc
	v_add_co_u32_e32 v0, vcc, s7, v0
	v_addc_co_u32_e32 v1, vcc, v4, v1, vcc
	v_cmp_le_i64_e32 vcc, s[12:13], v[0:1]
	v_cmp_lt_u64_e64 s[0:1], s[4:5], v[0:1]
	s_or_b64 s[0:1], vcc, s[0:1]
	s_and_b64 s[0:1], exec, s[0:1]
	s_or_b64 s[2:3], s[0:1], s[2:3]
	s_waitcnt vmcnt(0)
	v_lshrrev_b32_e32 v9, 8, v5
	v_and_b32_sdwa v10, v5, s6 dst_sel:DWORD dst_unused:UNUSED_PAD src0_sel:WORD_1 src1_sel:DWORD
	v_and_b32_e32 v8, 0xff, v5
	v_lshrrev_b32_e32 v5, 24, v5
	v_and_b32_e32 v9, 0xff, v9
	v_max_u16_sdwa v10, v10, s20 dst_sel:DWORD dst_unused:UNUSED_PAD src0_sel:DWORD src1_sel:BYTE_0
	v_max_u16_sdwa v5, v5, s20 dst_sel:DWORD dst_unused:UNUSED_PAD src0_sel:DWORD src1_sel:BYTE_0
	v_lshlrev_b32_e32 v10, 16, v10
	v_max_u16_sdwa v9, v9, s20 dst_sel:DWORD dst_unused:UNUSED_PAD src0_sel:DWORD src1_sel:BYTE_0
	v_max_u16_sdwa v8, v8, s20 dst_sel:DWORD dst_unused:UNUSED_PAD src0_sel:DWORD src1_sel:BYTE_0
	v_lshl_or_b32 v5, v5, 24, v10
	v_lshlrev_b32_e32 v9, 8, v9
	v_or3_b32 v5, v5, v9, v8
	global_store_dword v[6:7], v5, off
	s_andn2_b64 exec, exec, s[2:3]
	s_cbranch_execnz .LBB134_24
.LBB134_25:
	s_endpgm
	.section	.rodata,"a",@progbits
	.p2align	6, 0x0
	.amdhsa_kernel _ZN2at6native12_GLOBAL__N_125multi_tensor_apply_kernelINS1_18TensorListMetadataILi2EEENS1_21BinaryOpScalarFunctorIhLi2ELi1ELi1EEEJNS0_7maximumIhEEhEEEvT_T0_DpT1_
		.amdhsa_group_segment_fixed_size 0
		.amdhsa_private_segment_fixed_size 0
		.amdhsa_kernarg_size 3408
		.amdhsa_user_sgpr_count 6
		.amdhsa_user_sgpr_private_segment_buffer 1
		.amdhsa_user_sgpr_dispatch_ptr 0
		.amdhsa_user_sgpr_queue_ptr 0
		.amdhsa_user_sgpr_kernarg_segment_ptr 1
		.amdhsa_user_sgpr_dispatch_id 0
		.amdhsa_user_sgpr_flat_scratch_init 0
		.amdhsa_user_sgpr_kernarg_preload_length 0
		.amdhsa_user_sgpr_kernarg_preload_offset 0
		.amdhsa_user_sgpr_private_segment_size 0
		.amdhsa_uses_dynamic_stack 0
		.amdhsa_system_sgpr_private_segment_wavefront_offset 0
		.amdhsa_system_sgpr_workgroup_id_x 1
		.amdhsa_system_sgpr_workgroup_id_y 0
		.amdhsa_system_sgpr_workgroup_id_z 0
		.amdhsa_system_sgpr_workgroup_info 0
		.amdhsa_system_vgpr_workitem_id 0
		.amdhsa_next_free_vgpr 32
		.amdhsa_next_free_sgpr 24
		.amdhsa_accum_offset 32
		.amdhsa_reserve_vcc 1
		.amdhsa_reserve_flat_scratch 0
		.amdhsa_float_round_mode_32 0
		.amdhsa_float_round_mode_16_64 0
		.amdhsa_float_denorm_mode_32 3
		.amdhsa_float_denorm_mode_16_64 3
		.amdhsa_dx10_clamp 1
		.amdhsa_ieee_mode 1
		.amdhsa_fp16_overflow 0
		.amdhsa_tg_split 0
		.amdhsa_exception_fp_ieee_invalid_op 0
		.amdhsa_exception_fp_denorm_src 0
		.amdhsa_exception_fp_ieee_div_zero 0
		.amdhsa_exception_fp_ieee_overflow 0
		.amdhsa_exception_fp_ieee_underflow 0
		.amdhsa_exception_fp_ieee_inexact 0
		.amdhsa_exception_int_div_zero 0
	.end_amdhsa_kernel
	.section	.text._ZN2at6native12_GLOBAL__N_125multi_tensor_apply_kernelINS1_18TensorListMetadataILi2EEENS1_21BinaryOpScalarFunctorIhLi2ELi1ELi1EEEJNS0_7maximumIhEEhEEEvT_T0_DpT1_,"axG",@progbits,_ZN2at6native12_GLOBAL__N_125multi_tensor_apply_kernelINS1_18TensorListMetadataILi2EEENS1_21BinaryOpScalarFunctorIhLi2ELi1ELi1EEEJNS0_7maximumIhEEhEEEvT_T0_DpT1_,comdat
.Lfunc_end134:
	.size	_ZN2at6native12_GLOBAL__N_125multi_tensor_apply_kernelINS1_18TensorListMetadataILi2EEENS1_21BinaryOpScalarFunctorIhLi2ELi1ELi1EEEJNS0_7maximumIhEEhEEEvT_T0_DpT1_, .Lfunc_end134-_ZN2at6native12_GLOBAL__N_125multi_tensor_apply_kernelINS1_18TensorListMetadataILi2EEENS1_21BinaryOpScalarFunctorIhLi2ELi1ELi1EEEJNS0_7maximumIhEEhEEEvT_T0_DpT1_
                                        ; -- End function
	.section	.AMDGPU.csdata,"",@progbits
; Kernel info:
; codeLenInByte = 1232
; NumSgprs: 28
; NumVgprs: 32
; NumAgprs: 0
; TotalNumVgprs: 32
; ScratchSize: 0
; MemoryBound: 0
; FloatMode: 240
; IeeeMode: 1
; LDSByteSize: 0 bytes/workgroup (compile time only)
; SGPRBlocks: 3
; VGPRBlocks: 3
; NumSGPRsForWavesPerEU: 28
; NumVGPRsForWavesPerEU: 32
; AccumOffset: 32
; Occupancy: 8
; WaveLimiterHint : 0
; COMPUTE_PGM_RSRC2:SCRATCH_EN: 0
; COMPUTE_PGM_RSRC2:USER_SGPR: 6
; COMPUTE_PGM_RSRC2:TRAP_HANDLER: 0
; COMPUTE_PGM_RSRC2:TGID_X_EN: 1
; COMPUTE_PGM_RSRC2:TGID_Y_EN: 0
; COMPUTE_PGM_RSRC2:TGID_Z_EN: 0
; COMPUTE_PGM_RSRC2:TIDIG_COMP_CNT: 0
; COMPUTE_PGM_RSRC3_GFX90A:ACCUM_OFFSET: 7
; COMPUTE_PGM_RSRC3_GFX90A:TG_SPLIT: 0
	.section	.text._ZN2at6native12_GLOBAL__N_125multi_tensor_apply_kernelINS1_18TensorListMetadataILi2EEENS1_21BinaryOpScalarFunctorIaLi2ELi1ELi1EEEJNS0_7maximumIaEEaEEEvT_T0_DpT1_,"axG",@progbits,_ZN2at6native12_GLOBAL__N_125multi_tensor_apply_kernelINS1_18TensorListMetadataILi2EEENS1_21BinaryOpScalarFunctorIaLi2ELi1ELi1EEEJNS0_7maximumIaEEaEEEvT_T0_DpT1_,comdat
	.globl	_ZN2at6native12_GLOBAL__N_125multi_tensor_apply_kernelINS1_18TensorListMetadataILi2EEENS1_21BinaryOpScalarFunctorIaLi2ELi1ELi1EEEJNS0_7maximumIaEEaEEEvT_T0_DpT1_ ; -- Begin function _ZN2at6native12_GLOBAL__N_125multi_tensor_apply_kernelINS1_18TensorListMetadataILi2EEENS1_21BinaryOpScalarFunctorIaLi2ELi1ELi1EEEJNS0_7maximumIaEEaEEEvT_T0_DpT1_
	.p2align	8
	.type	_ZN2at6native12_GLOBAL__N_125multi_tensor_apply_kernelINS1_18TensorListMetadataILi2EEENS1_21BinaryOpScalarFunctorIaLi2ELi1ELi1EEEJNS0_7maximumIaEEaEEEvT_T0_DpT1_,@function
_ZN2at6native12_GLOBAL__N_125multi_tensor_apply_kernelINS1_18TensorListMetadataILi2EEENS1_21BinaryOpScalarFunctorIaLi2ELi1ELi1EEEJNS0_7maximumIaEEaEEEvT_T0_DpT1_: ; @_ZN2at6native12_GLOBAL__N_125multi_tensor_apply_kernelINS1_18TensorListMetadataILi2EEENS1_21BinaryOpScalarFunctorIaLi2ELi1ELi1EEEJNS0_7maximumIaEEaEEEvT_T0_DpT1_
; %bb.0:
	v_mov_b32_e32 v1, s6
	global_load_ubyte v1, v1, s[4:5] offset:1536
	s_load_dword s0, s[4:5], 0xc48
	s_mul_i32 s2, s6, 3
	s_mul_hi_u32 s1, s6, 3
	s_waitcnt lgkmcnt(0)
	s_lshr_b32 s21, s0, 16
	s_add_u32 s0, s4, s6
	s_addc_u32 s3, s5, 0
	s_add_u32 s0, s0, s2
	s_addc_u32 s1, s3, s1
	s_load_dword s6, s[0:1], 0x740
	s_waitcnt vmcnt(0)
	v_readfirstlane_b32 s2, v1
	s_lshl_b32 s7, s2, 3
	s_load_dwordx2 s[0:1], s[4:5], s7 offset:0x0
	s_load_dwordx2 s[8:9], s[4:5], s7 offset:0x400
	s_load_dwordx2 s[2:3], s[4:5], s7 offset:0x200
	s_waitcnt lgkmcnt(0)
	s_ashr_i32 s7, s6, 31
	s_lshl_b64 s[6:7], s[6:7], 16
	s_add_u32 s10, s0, s6
	s_addc_u32 s11, s1, s7
	s_add_u32 s20, s2, s6
	s_addc_u32 s22, s3, s7
	s_or_b64 s[12:13], s[8:9], s[10:11]
	s_or_b32 s12, s20, s12
	s_and_b32 s14, s12, 3
	s_sub_u32 s12, s8, s6
	s_subb_u32 s13, s9, s7
	s_cmp_eq_u32 s14, 0
	s_mov_b64 s[8:9], -1
	s_cbranch_scc1 .LBB135_21
; %bb.1:
	v_cmp_lt_i64_e64 s[8:9], s[12:13], 1
	s_and_b64 vcc, exec, s[8:9]
	s_cbranch_vccnz .LBB135_20
; %bb.2:
	s_load_dword s8, s[4:5], 0xc5c
	v_mov_b32_e32 v2, 0x10000
	v_mov_b32_e32 v3, 0
	v_cmp_lt_u64_e32 vcc, s[12:13], v[2:3]
	v_mov_b32_e32 v1, s7
	s_waitcnt lgkmcnt(0)
	s_and_b32 s16, s8, 0xffff
	s_and_b64 s[8:9], vcc, exec
	v_add_co_u32_e32 v2, vcc, s6, v0
	v_addc_co_u32_e32 v3, vcc, 0, v1, vcc
	v_mov_b32_e32 v20, s1
	v_add_co_u32_e32 v1, vcc, s0, v2
	s_cselect_b32 s15, s13, 0
	s_cselect_b32 s14, s12, 0x10000
	s_lshl_b32 s17, s16, 1
	s_mul_i32 s8, s16, 3
	s_lshl_b32 s23, s16, 2
	v_addc_co_u32_e32 v4, vcc, v20, v3, vcc
	v_mov_b32_e32 v22, s3
	v_add_co_u32_e32 v5, vcc, s2, v2
	s_add_u32 s1, s6, s8
	v_addc_co_u32_e32 v6, vcc, v22, v3, vcc
	s_addc_u32 s3, s7, 0
	v_mov_b32_e32 v7, s3
	v_add_co_u32_e32 v9, vcc, s1, v0
	v_addc_co_u32_e32 v10, vcc, 0, v7, vcc
	v_add_co_u32_e32 v7, vcc, s0, v9
	v_addc_co_u32_e32 v8, vcc, v20, v10, vcc
	;; [unrolled: 2-line block ×3, first 2 shown]
	s_add_u32 s1, s6, s17
	v_add_co_u32_e32 v11, vcc, s8, v0
	s_addc_u32 s3, s7, 0
	v_addc_co_u32_e64 v12, s[8:9], 0, 0, vcc
	v_mov_b32_e32 v13, s3
	v_add_co_u32_e32 v15, vcc, s1, v0
	v_addc_co_u32_e32 v16, vcc, 0, v13, vcc
	v_add_co_u32_e32 v13, vcc, s0, v15
	v_addc_co_u32_e32 v14, vcc, v20, v16, vcc
	;; [unrolled: 2-line block ×3, first 2 shown]
	v_add_co_u32_e32 v17, vcc, s17, v0
	v_addc_co_u32_e64 v18, s[6:7], 0, 0, vcc
	v_add_co_u32_e32 v2, vcc, s16, v2
	v_addc_co_u32_e32 v3, vcc, 0, v3, vcc
	v_add_co_u32_e32 v19, vcc, s0, v2
	v_addc_co_u32_e32 v20, vcc, v20, v3, vcc
	;; [unrolled: 2-line block ×3, first 2 shown]
	v_add_co_u32_e32 v23, vcc, s16, v0
	v_addc_co_u32_e64 v24, s[0:1], 0, 0, vcc
	s_mov_b64 s[16:17], 0
	v_pk_mov_b32 v[2:3], s[12:13], s[12:13] op_sel:[0,1]
	s_branch .LBB135_4
.LBB135_3:                              ;   in Loop: Header=BB135_4 Depth=1
	s_or_b64 exec, exec, s[0:1]
	s_add_u32 s16, s16, s23
	s_waitcnt vmcnt(0)
	v_mov_b32_e32 v26, 0x10000
	s_addc_u32 s17, s17, 0
	v_mov_b32_e32 v27, 0
	v_cmp_lt_i64_e32 vcc, s[16:17], v[2:3]
	v_cmp_lt_u64_e64 s[0:1], s[16:17], v[26:27]
	s_and_b64 s[0:1], vcc, s[0:1]
	s_and_b64 vcc, exec, s[0:1]
	s_cbranch_vccz .LBB135_20
.LBB135_4:                              ; =>This Inner Loop Header: Depth=1
	v_mov_b32_e32 v25, s17
	v_add_co_u32_e32 v26, vcc, s16, v0
	v_addc_co_u32_e32 v27, vcc, 0, v25, vcc
	v_cmp_gt_u64_e32 vcc, s[14:15], v[26:27]
	v_mov_b32_e32 v26, 0
	s_and_saveexec_b64 s[2:3], vcc
	s_cbranch_execz .LBB135_6
; %bb.5:                                ;   in Loop: Header=BB135_4 Depth=1
	v_mov_b32_e32 v25, s17
	v_add_co_u32_e64 v26, s[0:1], s16, v1
	v_addc_co_u32_e64 v27, s[0:1], v4, v25, s[0:1]
	global_load_ubyte v26, v[26:27], off
.LBB135_6:                              ;   in Loop: Header=BB135_4 Depth=1
	s_or_b64 exec, exec, s[2:3]
	v_mov_b32_e32 v25, s17
	v_add_co_u32_e64 v28, s[0:1], s16, v23
	v_addc_co_u32_e64 v29, s[0:1], v24, v25, s[0:1]
	v_cmp_gt_u64_e64 s[0:1], s[14:15], v[28:29]
	v_mov_b32_e32 v27, 0
	s_and_saveexec_b64 s[6:7], s[0:1]
	s_cbranch_execz .LBB135_8
; %bb.7:                                ;   in Loop: Header=BB135_4 Depth=1
	v_mov_b32_e32 v25, s17
	v_add_co_u32_e64 v28, s[2:3], s16, v19
	v_addc_co_u32_e64 v29, s[2:3], v20, v25, s[2:3]
	global_load_ubyte v27, v[28:29], off
.LBB135_8:                              ;   in Loop: Header=BB135_4 Depth=1
	s_or_b64 exec, exec, s[6:7]
	v_mov_b32_e32 v25, s17
	v_add_co_u32_e64 v28, s[2:3], s16, v17
	v_addc_co_u32_e64 v29, s[2:3], v18, v25, s[2:3]
	v_cmp_gt_u64_e64 s[2:3], s[14:15], v[28:29]
	v_mov_b32_e32 v25, 0
	v_mov_b32_e32 v28, 0
	s_and_saveexec_b64 s[8:9], s[2:3]
	s_cbranch_execz .LBB135_10
; %bb.9:                                ;   in Loop: Header=BB135_4 Depth=1
	v_mov_b32_e32 v29, s17
	v_add_co_u32_e64 v28, s[6:7], s16, v13
	v_addc_co_u32_e64 v29, s[6:7], v14, v29, s[6:7]
	global_load_ubyte v28, v[28:29], off
.LBB135_10:                             ;   in Loop: Header=BB135_4 Depth=1
	s_or_b64 exec, exec, s[8:9]
	v_mov_b32_e32 v29, s17
	v_add_co_u32_e64 v30, s[6:7], s16, v11
	v_addc_co_u32_e64 v31, s[6:7], v12, v29, s[6:7]
	v_cmp_gt_u64_e64 s[6:7], s[14:15], v[30:31]
	s_and_saveexec_b64 s[18:19], s[6:7]
	s_cbranch_execnz .LBB135_15
; %bb.11:                               ;   in Loop: Header=BB135_4 Depth=1
	s_or_b64 exec, exec, s[18:19]
	s_and_saveexec_b64 s[8:9], vcc
	s_cbranch_execnz .LBB135_16
.LBB135_12:                             ;   in Loop: Header=BB135_4 Depth=1
	s_or_b64 exec, exec, s[8:9]
	s_and_saveexec_b64 s[8:9], s[0:1]
	s_cbranch_execnz .LBB135_17
.LBB135_13:                             ;   in Loop: Header=BB135_4 Depth=1
	s_or_b64 exec, exec, s[8:9]
	s_and_saveexec_b64 s[0:1], s[2:3]
	s_cbranch_execnz .LBB135_18
.LBB135_14:                             ;   in Loop: Header=BB135_4 Depth=1
	s_or_b64 exec, exec, s[0:1]
	s_and_saveexec_b64 s[0:1], s[6:7]
	s_cbranch_execz .LBB135_3
	s_branch .LBB135_19
.LBB135_15:                             ;   in Loop: Header=BB135_4 Depth=1
	v_mov_b32_e32 v25, s17
	v_add_co_u32_e64 v30, s[8:9], s16, v7
	v_addc_co_u32_e64 v31, s[8:9], v8, v25, s[8:9]
	global_load_ubyte v25, v[30:31], off
	s_or_b64 exec, exec, s[18:19]
	s_and_saveexec_b64 s[8:9], vcc
	s_cbranch_execz .LBB135_12
.LBB135_16:                             ;   in Loop: Header=BB135_4 Depth=1
	s_bfe_i32 s18, s21, 0x80000
	v_mov_b32_e32 v29, s17
	v_add_co_u32_e32 v30, vcc, s16, v5
	s_waitcnt vmcnt(0)
	v_max_i16_sdwa v26, sext(v26), s18 dst_sel:DWORD dst_unused:UNUSED_PAD src0_sel:BYTE_0 src1_sel:DWORD
	v_addc_co_u32_e32 v31, vcc, v6, v29, vcc
	global_store_byte v[30:31], v26, off
	s_or_b64 exec, exec, s[8:9]
	s_and_saveexec_b64 s[8:9], s[0:1]
	s_cbranch_execz .LBB135_13
.LBB135_17:                             ;   in Loop: Header=BB135_4 Depth=1
	s_bfe_i32 s0, s21, 0x80000
	s_waitcnt vmcnt(0)
	v_max_i16_sdwa v29, sext(v27), s0 dst_sel:DWORD dst_unused:UNUSED_PAD src0_sel:BYTE_0 src1_sel:DWORD
	v_mov_b32_e32 v27, s17
	v_add_co_u32_e32 v26, vcc, s16, v21
	v_addc_co_u32_e32 v27, vcc, v22, v27, vcc
	global_store_byte v[26:27], v29, off
	s_or_b64 exec, exec, s[8:9]
	s_and_saveexec_b64 s[0:1], s[2:3]
	s_cbranch_execz .LBB135_14
.LBB135_18:                             ;   in Loop: Header=BB135_4 Depth=1
	s_bfe_i32 s2, s21, 0x80000
	s_waitcnt vmcnt(0)
	v_mov_b32_e32 v27, s17
	v_add_co_u32_e32 v26, vcc, s16, v15
	v_max_i16_sdwa v28, sext(v28), s2 dst_sel:DWORD dst_unused:UNUSED_PAD src0_sel:BYTE_0 src1_sel:DWORD
	v_addc_co_u32_e32 v27, vcc, v16, v27, vcc
	global_store_byte v[26:27], v28, off
	s_or_b64 exec, exec, s[0:1]
	s_and_saveexec_b64 s[0:1], s[6:7]
	s_cbranch_execz .LBB135_3
.LBB135_19:                             ;   in Loop: Header=BB135_4 Depth=1
	s_bfe_i32 s2, s21, 0x80000
	s_waitcnt vmcnt(0)
	v_mov_b32_e32 v27, s17
	v_add_co_u32_e32 v26, vcc, s16, v9
	v_max_i16_sdwa v25, sext(v25), s2 dst_sel:DWORD dst_unused:UNUSED_PAD src0_sel:BYTE_0 src1_sel:DWORD
	v_addc_co_u32_e32 v27, vcc, v10, v27, vcc
	global_store_byte v[26:27], v25, off
	s_branch .LBB135_3
.LBB135_20:
	s_mov_b64 s[8:9], 0
.LBB135_21:
	s_andn2_b64 vcc, exec, s[8:9]
	s_cbranch_vccnz .LBB135_25
; %bb.22:
	v_lshlrev_b32_e32 v0, 2, v0
	v_mov_b32_e32 v1, 0
	v_cmp_gt_i64_e32 vcc, s[12:13], v[0:1]
	s_and_saveexec_b64 s[0:1], vcc
	s_cbranch_execz .LBB135_25
; %bb.23:
	s_load_dword s0, s[4:5], 0xc5c
	s_mov_b32 s1, 0
	s_mov_b64 s[2:3], 0
	v_mov_b32_e32 v2, s11
	s_bfe_i32 s6, s21, 0x80000
	s_waitcnt lgkmcnt(0)
	s_and_b32 s0, s0, 0xffff
	s_lshl_b32 s7, s0, 2
	v_mov_b32_e32 v3, s22
	v_mov_b32_e32 v4, s1
	s_mov_b64 s[4:5], 0xffff
	v_mov_b32_e32 v5, 8
.LBB135_24:                             ; =>This Inner Loop Header: Depth=1
	v_add_co_u32_e32 v6, vcc, s10, v0
	v_addc_co_u32_e32 v7, vcc, v2, v1, vcc
	global_load_dword v8, v[6:7], off
	v_add_co_u32_e32 v6, vcc, s20, v0
	v_addc_co_u32_e32 v7, vcc, v3, v1, vcc
	v_add_co_u32_e32 v0, vcc, s7, v0
	v_addc_co_u32_e32 v1, vcc, v4, v1, vcc
	v_cmp_le_i64_e32 vcc, s[12:13], v[0:1]
	v_cmp_lt_u64_e64 s[0:1], s[4:5], v[0:1]
	s_or_b64 s[0:1], vcc, s[0:1]
	s_and_b64 s[0:1], exec, s[0:1]
	s_or_b64 s[2:3], s[0:1], s[2:3]
	s_waitcnt vmcnt(0)
	v_lshrrev_b32_e32 v11, 16, v8
	v_max_i16_sdwa v11, sext(v11), s6 dst_sel:DWORD dst_unused:UNUSED_PAD src0_sel:BYTE_0 src1_sel:DWORD
	v_max_i16_sdwa v9, sext(v8), s6 dst_sel:DWORD dst_unused:UNUSED_PAD src0_sel:BYTE_0 src1_sel:DWORD
	v_lshrrev_b32_e32 v10, 8, v8
	v_lshrrev_b32_e32 v8, 24, v8
	v_and_b32_e32 v11, 0xff, v11
	v_max_i16_sdwa v10, sext(v10), s6 dst_sel:DWORD dst_unused:UNUSED_PAD src0_sel:BYTE_0 src1_sel:DWORD
	v_max_i16_sdwa v8, sext(v8), s6 dst_sel:DWORD dst_unused:UNUSED_PAD src0_sel:BYTE_0 src1_sel:DWORD
	v_lshlrev_b32_e32 v11, 16, v11
	v_and_b32_e32 v9, 0xff, v9
	v_lshlrev_b32_sdwa v10, v5, v10 dst_sel:DWORD dst_unused:UNUSED_PAD src0_sel:DWORD src1_sel:BYTE_0
	v_lshl_or_b32 v8, v8, 24, v11
	v_or3_b32 v8, v8, v10, v9
	global_store_dword v[6:7], v8, off
	s_andn2_b64 exec, exec, s[2:3]
	s_cbranch_execnz .LBB135_24
.LBB135_25:
	s_endpgm
	.section	.rodata,"a",@progbits
	.p2align	6, 0x0
	.amdhsa_kernel _ZN2at6native12_GLOBAL__N_125multi_tensor_apply_kernelINS1_18TensorListMetadataILi2EEENS1_21BinaryOpScalarFunctorIaLi2ELi1ELi1EEEJNS0_7maximumIaEEaEEEvT_T0_DpT1_
		.amdhsa_group_segment_fixed_size 0
		.amdhsa_private_segment_fixed_size 0
		.amdhsa_kernarg_size 3408
		.amdhsa_user_sgpr_count 6
		.amdhsa_user_sgpr_private_segment_buffer 1
		.amdhsa_user_sgpr_dispatch_ptr 0
		.amdhsa_user_sgpr_queue_ptr 0
		.amdhsa_user_sgpr_kernarg_segment_ptr 1
		.amdhsa_user_sgpr_dispatch_id 0
		.amdhsa_user_sgpr_flat_scratch_init 0
		.amdhsa_user_sgpr_kernarg_preload_length 0
		.amdhsa_user_sgpr_kernarg_preload_offset 0
		.amdhsa_user_sgpr_private_segment_size 0
		.amdhsa_uses_dynamic_stack 0
		.amdhsa_system_sgpr_private_segment_wavefront_offset 0
		.amdhsa_system_sgpr_workgroup_id_x 1
		.amdhsa_system_sgpr_workgroup_id_y 0
		.amdhsa_system_sgpr_workgroup_id_z 0
		.amdhsa_system_sgpr_workgroup_info 0
		.amdhsa_system_vgpr_workitem_id 0
		.amdhsa_next_free_vgpr 32
		.amdhsa_next_free_sgpr 24
		.amdhsa_accum_offset 32
		.amdhsa_reserve_vcc 1
		.amdhsa_reserve_flat_scratch 0
		.amdhsa_float_round_mode_32 0
		.amdhsa_float_round_mode_16_64 0
		.amdhsa_float_denorm_mode_32 3
		.amdhsa_float_denorm_mode_16_64 3
		.amdhsa_dx10_clamp 1
		.amdhsa_ieee_mode 1
		.amdhsa_fp16_overflow 0
		.amdhsa_tg_split 0
		.amdhsa_exception_fp_ieee_invalid_op 0
		.amdhsa_exception_fp_denorm_src 0
		.amdhsa_exception_fp_ieee_div_zero 0
		.amdhsa_exception_fp_ieee_overflow 0
		.amdhsa_exception_fp_ieee_underflow 0
		.amdhsa_exception_fp_ieee_inexact 0
		.amdhsa_exception_int_div_zero 0
	.end_amdhsa_kernel
	.section	.text._ZN2at6native12_GLOBAL__N_125multi_tensor_apply_kernelINS1_18TensorListMetadataILi2EEENS1_21BinaryOpScalarFunctorIaLi2ELi1ELi1EEEJNS0_7maximumIaEEaEEEvT_T0_DpT1_,"axG",@progbits,_ZN2at6native12_GLOBAL__N_125multi_tensor_apply_kernelINS1_18TensorListMetadataILi2EEENS1_21BinaryOpScalarFunctorIaLi2ELi1ELi1EEEJNS0_7maximumIaEEaEEEvT_T0_DpT1_,comdat
.Lfunc_end135:
	.size	_ZN2at6native12_GLOBAL__N_125multi_tensor_apply_kernelINS1_18TensorListMetadataILi2EEENS1_21BinaryOpScalarFunctorIaLi2ELi1ELi1EEEJNS0_7maximumIaEEaEEEvT_T0_DpT1_, .Lfunc_end135-_ZN2at6native12_GLOBAL__N_125multi_tensor_apply_kernelINS1_18TensorListMetadataILi2EEENS1_21BinaryOpScalarFunctorIaLi2ELi1ELi1EEEJNS0_7maximumIaEEaEEEvT_T0_DpT1_
                                        ; -- End function
	.section	.AMDGPU.csdata,"",@progbits
; Kernel info:
; codeLenInByte = 1272
; NumSgprs: 28
; NumVgprs: 32
; NumAgprs: 0
; TotalNumVgprs: 32
; ScratchSize: 0
; MemoryBound: 0
; FloatMode: 240
; IeeeMode: 1
; LDSByteSize: 0 bytes/workgroup (compile time only)
; SGPRBlocks: 3
; VGPRBlocks: 3
; NumSGPRsForWavesPerEU: 28
; NumVGPRsForWavesPerEU: 32
; AccumOffset: 32
; Occupancy: 8
; WaveLimiterHint : 0
; COMPUTE_PGM_RSRC2:SCRATCH_EN: 0
; COMPUTE_PGM_RSRC2:USER_SGPR: 6
; COMPUTE_PGM_RSRC2:TRAP_HANDLER: 0
; COMPUTE_PGM_RSRC2:TGID_X_EN: 1
; COMPUTE_PGM_RSRC2:TGID_Y_EN: 0
; COMPUTE_PGM_RSRC2:TGID_Z_EN: 0
; COMPUTE_PGM_RSRC2:TIDIG_COMP_CNT: 0
; COMPUTE_PGM_RSRC3_GFX90A:ACCUM_OFFSET: 7
; COMPUTE_PGM_RSRC3_GFX90A:TG_SPLIT: 0
	.section	.text._ZN2at6native12_GLOBAL__N_125multi_tensor_apply_kernelINS1_18TensorListMetadataILi2EEENS1_21BinaryOpScalarFunctorIiLi2ELi1ELi1EEEJNS0_7maximumIiEEiEEEvT_T0_DpT1_,"axG",@progbits,_ZN2at6native12_GLOBAL__N_125multi_tensor_apply_kernelINS1_18TensorListMetadataILi2EEENS1_21BinaryOpScalarFunctorIiLi2ELi1ELi1EEEJNS0_7maximumIiEEiEEEvT_T0_DpT1_,comdat
	.globl	_ZN2at6native12_GLOBAL__N_125multi_tensor_apply_kernelINS1_18TensorListMetadataILi2EEENS1_21BinaryOpScalarFunctorIiLi2ELi1ELi1EEEJNS0_7maximumIiEEiEEEvT_T0_DpT1_ ; -- Begin function _ZN2at6native12_GLOBAL__N_125multi_tensor_apply_kernelINS1_18TensorListMetadataILi2EEENS1_21BinaryOpScalarFunctorIiLi2ELi1ELi1EEEJNS0_7maximumIiEEiEEEvT_T0_DpT1_
	.p2align	8
	.type	_ZN2at6native12_GLOBAL__N_125multi_tensor_apply_kernelINS1_18TensorListMetadataILi2EEENS1_21BinaryOpScalarFunctorIiLi2ELi1ELi1EEEJNS0_7maximumIiEEiEEEvT_T0_DpT1_,@function
_ZN2at6native12_GLOBAL__N_125multi_tensor_apply_kernelINS1_18TensorListMetadataILi2EEENS1_21BinaryOpScalarFunctorIiLi2ELi1ELi1EEEJNS0_7maximumIiEEiEEEvT_T0_DpT1_: ; @_ZN2at6native12_GLOBAL__N_125multi_tensor_apply_kernelINS1_18TensorListMetadataILi2EEENS1_21BinaryOpScalarFunctorIiLi2ELi1ELi1EEEJNS0_7maximumIiEEiEEEvT_T0_DpT1_
; %bb.0:
	v_mov_b32_e32 v1, s6
	global_load_ubyte v1, v1, s[4:5] offset:1536
	s_add_u32 s0, s4, s6
	s_mul_hi_u32 s2, s6, 3
	s_mul_i32 s6, s6, 3
	s_addc_u32 s7, s5, 0
	s_add_u32 s6, s0, s6
	s_addc_u32 s7, s7, s2
	s_load_dword s6, s[6:7], 0x740
	s_mov_b32 s1, 0
	s_mov_b32 s15, s1
	;; [unrolled: 1-line block ×3, first 2 shown]
	s_waitcnt lgkmcnt(0)
	s_ashr_i32 s7, s6, 31
	s_lshl_b64 s[16:17], s[6:7], 18
	s_waitcnt vmcnt(0)
	v_readfirstlane_b32 s0, v1
	s_lshl_b32 s0, s0, 3
	s_load_dwordx2 s[10:11], s[4:5], s0 offset:0x0
	s_load_dword s24, s[4:5], 0xc4c
	s_load_dwordx2 s[8:9], s[4:5], s0 offset:0x400
	s_load_dwordx2 s[12:13], s[4:5], s0 offset:0x200
	s_waitcnt lgkmcnt(0)
	s_and_b32 s0, s10, 15
	s_and_b32 s14, s8, 3
	;; [unrolled: 1-line block ×3, first 2 shown]
	s_or_b64 s[0:1], s[0:1], s[14:15]
	s_or_b64 s[0:1], s[2:3], s[0:1]
	s_lshl_b64 s[2:3], s[6:7], 16
	s_sub_u32 s14, s8, s2
	s_subb_u32 s15, s9, s3
	s_cmp_eq_u64 s[0:1], 0
	s_mov_b64 s[0:1], -1
	s_cbranch_scc1 .LBB136_21
; %bb.1:
	v_cmp_lt_i64_e64 s[0:1], s[14:15], 1
	s_and_b64 vcc, exec, s[0:1]
	s_cbranch_vccnz .LBB136_20
; %bb.2:
	s_load_dword s0, s[4:5], 0xc5c
	v_mov_b32_e32 v2, 0x10000
	v_mov_b32_e32 v3, 0
	v_cmp_lt_u64_e32 vcc, s[14:15], v[2:3]
	v_lshlrev_b32_e32 v10, 2, v0
	s_waitcnt lgkmcnt(0)
	s_and_b32 s2, s0, 0xffff
	s_and_b64 s[0:1], vcc, exec
	v_mov_b32_e32 v13, s11
	v_add_co_u32_e32 v2, vcc, s10, v10
	v_addc_co_u32_e32 v1, vcc, 0, v13, vcc
	v_mov_b32_e32 v11, 0
	v_mov_b32_e32 v15, s13
	v_add_co_u32_e32 v4, vcc, s12, v10
	v_addc_co_u32_e32 v3, vcc, 0, v15, vcc
	v_mad_u64_u32 v[8:9], s[0:1], s2, 12, v[10:11]
	v_add_co_u32_e32 v6, vcc, s10, v8
	v_addc_co_u32_e32 v5, vcc, v13, v9, vcc
	v_add_co_u32_e32 v8, vcc, s12, v8
	s_mul_i32 s6, s2, 3
	v_addc_co_u32_e32 v7, vcc, v15, v9, vcc
	v_add_co_u32_e32 v17, vcc, s6, v0
	v_addc_co_u32_e64 v18, s[0:1], 0, 0, vcc
	s_cselect_b32 s19, s15, 0
	s_cselect_b32 s18, s14, 0x10000
	s_lshl_b32 s0, s2, 3
	v_add_co_u32_e32 v11, vcc, s0, v10
	v_addc_co_u32_e64 v14, s[0:1], 0, 0, vcc
	v_add_co_u32_e32 v10, vcc, s10, v11
	v_addc_co_u32_e32 v9, vcc, v13, v14, vcc
	v_add_co_u32_e32 v12, vcc, s12, v11
	s_lshl_b32 s3, s2, 1
	v_addc_co_u32_e32 v11, vcc, v15, v14, vcc
	v_add_co_u32_e32 v19, vcc, s3, v0
	v_addc_co_u32_e64 v20, s[0:1], 0, 0, vcc
	v_add_co_u32_e32 v21, vcc, s2, v0
	v_lshlrev_b32_e32 v16, 2, v21
	v_addc_co_u32_e64 v22, s[0:1], 0, 0, vcc
	v_add_co_u32_e32 v14, vcc, s10, v16
	v_addc_co_u32_e32 v13, vcc, 0, v13, vcc
	v_add_co_u32_e32 v16, vcc, s12, v16
	s_mov_b32 s25, 0
	s_lshl_b32 s26, s2, 2
	s_lshl_b32 s27, s2, 4
	v_addc_co_u32_e32 v15, vcc, 0, v15, vcc
	s_mov_b64 s[20:21], 0
	s_branch .LBB136_4
.LBB136_3:                              ;   in Loop: Header=BB136_4 Depth=1
	s_or_b64 exec, exec, s[0:1]
	s_add_u32 s20, s20, s26
	s_addc_u32 s21, s21, 0
	s_waitcnt vmcnt(0)
	v_pk_mov_b32 v[24:25], s[14:15], s[14:15] op_sel:[0,1]
	v_cmp_lt_i64_e32 vcc, s[20:21], v[24:25]
	v_mov_b32_e32 v24, 0x10000
	v_mov_b32_e32 v25, 0
	v_cmp_lt_u64_e64 s[0:1], s[20:21], v[24:25]
	s_and_b64 s[0:1], vcc, s[0:1]
	v_mov_b32_e32 v23, s25
	v_add_co_u32_e32 v2, vcc, s27, v2
	v_addc_co_u32_e32 v1, vcc, v1, v23, vcc
	v_add_co_u32_e32 v4, vcc, s27, v4
	v_addc_co_u32_e32 v3, vcc, v3, v23, vcc
	;; [unrolled: 2-line block ×8, first 2 shown]
	s_and_b64 vcc, exec, s[0:1]
	s_cbranch_vccz .LBB136_20
.LBB136_4:                              ; =>This Inner Loop Header: Depth=1
	v_mov_b32_e32 v23, s21
	v_add_co_u32_e32 v24, vcc, s20, v0
	v_addc_co_u32_e32 v25, vcc, 0, v23, vcc
	v_cmp_gt_u64_e32 vcc, s[18:19], v[24:25]
	v_mov_b32_e32 v23, 0
	s_and_saveexec_b64 s[2:3], vcc
	s_cbranch_execz .LBB136_6
; %bb.5:                                ;   in Loop: Header=BB136_4 Depth=1
	v_mov_b32_e32 v23, s17
	v_add_co_u32_e64 v24, s[0:1], s16, v2
	v_addc_co_u32_e64 v25, s[0:1], v1, v23, s[0:1]
	global_load_dword v23, v[24:25], off
.LBB136_6:                              ;   in Loop: Header=BB136_4 Depth=1
	s_or_b64 exec, exec, s[2:3]
	v_mov_b32_e32 v25, s21
	v_add_co_u32_e64 v24, s[0:1], s20, v21
	v_addc_co_u32_e64 v25, s[0:1], v22, v25, s[0:1]
	v_cmp_gt_u64_e64 s[0:1], s[18:19], v[24:25]
	v_mov_b32_e32 v25, 0
	s_and_saveexec_b64 s[6:7], s[0:1]
	s_cbranch_execz .LBB136_8
; %bb.7:                                ;   in Loop: Header=BB136_4 Depth=1
	v_mov_b32_e32 v25, s17
	v_add_co_u32_e64 v24, s[2:3], s16, v14
	v_addc_co_u32_e64 v25, s[2:3], v13, v25, s[2:3]
	global_load_dword v25, v[24:25], off
.LBB136_8:                              ;   in Loop: Header=BB136_4 Depth=1
	s_or_b64 exec, exec, s[6:7]
	v_mov_b32_e32 v24, s21
	v_add_co_u32_e64 v26, s[2:3], s20, v19
	v_addc_co_u32_e64 v27, s[2:3], v20, v24, s[2:3]
	v_cmp_gt_u64_e64 s[2:3], s[18:19], v[26:27]
	v_mov_b32_e32 v24, 0
	v_mov_b32_e32 v26, 0
	s_and_saveexec_b64 s[8:9], s[2:3]
	s_cbranch_execz .LBB136_10
; %bb.9:                                ;   in Loop: Header=BB136_4 Depth=1
	v_mov_b32_e32 v27, s17
	v_add_co_u32_e64 v26, s[6:7], s16, v10
	v_addc_co_u32_e64 v27, s[6:7], v9, v27, s[6:7]
	global_load_dword v26, v[26:27], off
.LBB136_10:                             ;   in Loop: Header=BB136_4 Depth=1
	s_or_b64 exec, exec, s[8:9]
	v_mov_b32_e32 v27, s21
	v_add_co_u32_e64 v28, s[6:7], s20, v17
	v_addc_co_u32_e64 v29, s[6:7], v18, v27, s[6:7]
	v_cmp_gt_u64_e64 s[6:7], s[18:19], v[28:29]
	s_and_saveexec_b64 s[22:23], s[6:7]
	s_cbranch_execnz .LBB136_15
; %bb.11:                               ;   in Loop: Header=BB136_4 Depth=1
	s_or_b64 exec, exec, s[22:23]
	s_and_saveexec_b64 s[8:9], vcc
	s_cbranch_execnz .LBB136_16
.LBB136_12:                             ;   in Loop: Header=BB136_4 Depth=1
	s_or_b64 exec, exec, s[8:9]
	s_and_saveexec_b64 s[8:9], s[0:1]
	s_cbranch_execnz .LBB136_17
.LBB136_13:                             ;   in Loop: Header=BB136_4 Depth=1
	s_or_b64 exec, exec, s[8:9]
	s_and_saveexec_b64 s[0:1], s[2:3]
	s_cbranch_execnz .LBB136_18
.LBB136_14:                             ;   in Loop: Header=BB136_4 Depth=1
	s_or_b64 exec, exec, s[0:1]
	s_and_saveexec_b64 s[0:1], s[6:7]
	s_cbranch_execz .LBB136_3
	s_branch .LBB136_19
.LBB136_15:                             ;   in Loop: Header=BB136_4 Depth=1
	v_mov_b32_e32 v24, s17
	v_add_co_u32_e64 v28, s[8:9], s16, v6
	v_addc_co_u32_e64 v29, s[8:9], v5, v24, s[8:9]
	global_load_dword v24, v[28:29], off
	s_or_b64 exec, exec, s[22:23]
	s_and_saveexec_b64 s[8:9], vcc
	s_cbranch_execz .LBB136_12
.LBB136_16:                             ;   in Loop: Header=BB136_4 Depth=1
	v_mov_b32_e32 v27, s17
	v_add_co_u32_e32 v28, vcc, s16, v4
	s_waitcnt vmcnt(0)
	v_max_i32_e32 v23, s24, v23
	v_addc_co_u32_e32 v29, vcc, v3, v27, vcc
	global_store_dword v[28:29], v23, off
	s_or_b64 exec, exec, s[8:9]
	s_and_saveexec_b64 s[8:9], s[0:1]
	s_cbranch_execz .LBB136_13
.LBB136_17:                             ;   in Loop: Header=BB136_4 Depth=1
	s_waitcnt vmcnt(0)
	v_max_i32_e32 v23, s24, v25
	v_mov_b32_e32 v25, s17
	v_add_co_u32_e32 v28, vcc, s16, v16
	v_addc_co_u32_e32 v29, vcc, v15, v25, vcc
	global_store_dword v[28:29], v23, off
	s_or_b64 exec, exec, s[8:9]
	s_and_saveexec_b64 s[0:1], s[2:3]
	s_cbranch_execz .LBB136_14
.LBB136_18:                             ;   in Loop: Header=BB136_4 Depth=1
	s_waitcnt vmcnt(0)
	v_max_i32_e32 v23, s24, v26
	v_mov_b32_e32 v25, s17
	v_add_co_u32_e32 v26, vcc, s16, v12
	v_addc_co_u32_e32 v27, vcc, v11, v25, vcc
	global_store_dword v[26:27], v23, off
	s_or_b64 exec, exec, s[0:1]
	s_and_saveexec_b64 s[0:1], s[6:7]
	s_cbranch_execz .LBB136_3
.LBB136_19:                             ;   in Loop: Header=BB136_4 Depth=1
	s_waitcnt vmcnt(0)
	v_max_i32_e32 v23, s24, v24
	v_mov_b32_e32 v25, s17
	v_add_co_u32_e32 v24, vcc, s16, v8
	v_addc_co_u32_e32 v25, vcc, v7, v25, vcc
	global_store_dword v[24:25], v23, off
	s_branch .LBB136_3
.LBB136_20:
	s_mov_b64 s[0:1], 0
.LBB136_21:
	s_andn2_b64 vcc, exec, s[0:1]
	s_cbranch_vccnz .LBB136_25
; %bb.22:
	v_mov_b32_e32 v3, 0
	v_lshlrev_b32_e32 v2, 2, v0
	s_mov_b32 s0, 0
	v_cmp_gt_i64_e32 vcc, s[14:15], v[2:3]
	s_and_saveexec_b64 s[2:3], vcc
	s_cbranch_execz .LBB136_25
; %bb.23:
	s_load_dword s1, s[4:5], 0xc5c
	v_lshlrev_b32_e32 v1, 4, v0
	v_mov_b32_e32 v4, s17
	s_mov_b32 s8, s24
	s_mov_b64 s[4:5], 0
	s_waitcnt lgkmcnt(0)
	s_and_b32 s1, s1, 0xffff
	v_add_lshl_u32 v2, v0, s1, 2
	v_add_co_u32_e32 v0, vcc, s16, v1
	v_addc_co_u32_e32 v1, vcc, 0, v4, vcc
	v_add_co_u32_e32 v0, vcc, 8, v0
	s_lshl_b32 s9, s1, 2
	v_addc_co_u32_e32 v1, vcc, 0, v1, vcc
	s_lshl_b32 s16, s1, 4
	v_mov_b32_e32 v4, s11
	v_mov_b32_e32 v5, s13
	s_mov_b64 s[6:7], 0xffff
	v_mov_b32_e32 v6, s0
	v_mov_b32_e32 v7, s0
.LBB136_24:                             ; =>This Inner Loop Header: Depth=1
	v_add_co_u32_e32 v8, vcc, s10, v0
	v_addc_co_u32_e32 v9, vcc, v4, v1, vcc
	global_load_dwordx4 v[8:11], v[8:9], off offset:-8
	v_add_co_u32_e32 v12, vcc, s12, v0
	v_addc_co_u32_e32 v13, vcc, v5, v1, vcc
	v_cmp_le_i64_e32 vcc, s[14:15], v[2:3]
	v_cmp_lt_u64_e64 s[0:1], s[6:7], v[2:3]
	v_add_co_u32_e64 v2, s[2:3], s9, v2
	v_addc_co_u32_e64 v3, s[2:3], v3, v6, s[2:3]
	s_or_b64 s[0:1], vcc, s[0:1]
	v_add_co_u32_e64 v0, s[2:3], s16, v0
	s_and_b64 s[0:1], exec, s[0:1]
	v_addc_co_u32_e64 v1, s[2:3], v1, v7, s[2:3]
	s_or_b64 s[4:5], s[0:1], s[4:5]
	s_waitcnt vmcnt(0)
	v_max_i32_e32 v9, s8, v9
	v_max_i32_e32 v8, s24, v8
	;; [unrolled: 1-line block ×4, first 2 shown]
	global_store_dwordx4 v[12:13], v[8:11], off offset:-8
	s_andn2_b64 exec, exec, s[4:5]
	s_cbranch_execnz .LBB136_24
.LBB136_25:
	s_endpgm
	.section	.rodata,"a",@progbits
	.p2align	6, 0x0
	.amdhsa_kernel _ZN2at6native12_GLOBAL__N_125multi_tensor_apply_kernelINS1_18TensorListMetadataILi2EEENS1_21BinaryOpScalarFunctorIiLi2ELi1ELi1EEEJNS0_7maximumIiEEiEEEvT_T0_DpT1_
		.amdhsa_group_segment_fixed_size 0
		.amdhsa_private_segment_fixed_size 0
		.amdhsa_kernarg_size 3408
		.amdhsa_user_sgpr_count 6
		.amdhsa_user_sgpr_private_segment_buffer 1
		.amdhsa_user_sgpr_dispatch_ptr 0
		.amdhsa_user_sgpr_queue_ptr 0
		.amdhsa_user_sgpr_kernarg_segment_ptr 1
		.amdhsa_user_sgpr_dispatch_id 0
		.amdhsa_user_sgpr_flat_scratch_init 0
		.amdhsa_user_sgpr_kernarg_preload_length 0
		.amdhsa_user_sgpr_kernarg_preload_offset 0
		.amdhsa_user_sgpr_private_segment_size 0
		.amdhsa_uses_dynamic_stack 0
		.amdhsa_system_sgpr_private_segment_wavefront_offset 0
		.amdhsa_system_sgpr_workgroup_id_x 1
		.amdhsa_system_sgpr_workgroup_id_y 0
		.amdhsa_system_sgpr_workgroup_id_z 0
		.amdhsa_system_sgpr_workgroup_info 0
		.amdhsa_system_vgpr_workitem_id 0
		.amdhsa_next_free_vgpr 30
		.amdhsa_next_free_sgpr 28
		.amdhsa_accum_offset 32
		.amdhsa_reserve_vcc 1
		.amdhsa_reserve_flat_scratch 0
		.amdhsa_float_round_mode_32 0
		.amdhsa_float_round_mode_16_64 0
		.amdhsa_float_denorm_mode_32 3
		.amdhsa_float_denorm_mode_16_64 3
		.amdhsa_dx10_clamp 1
		.amdhsa_ieee_mode 1
		.amdhsa_fp16_overflow 0
		.amdhsa_tg_split 0
		.amdhsa_exception_fp_ieee_invalid_op 0
		.amdhsa_exception_fp_denorm_src 0
		.amdhsa_exception_fp_ieee_div_zero 0
		.amdhsa_exception_fp_ieee_overflow 0
		.amdhsa_exception_fp_ieee_underflow 0
		.amdhsa_exception_fp_ieee_inexact 0
		.amdhsa_exception_int_div_zero 0
	.end_amdhsa_kernel
	.section	.text._ZN2at6native12_GLOBAL__N_125multi_tensor_apply_kernelINS1_18TensorListMetadataILi2EEENS1_21BinaryOpScalarFunctorIiLi2ELi1ELi1EEEJNS0_7maximumIiEEiEEEvT_T0_DpT1_,"axG",@progbits,_ZN2at6native12_GLOBAL__N_125multi_tensor_apply_kernelINS1_18TensorListMetadataILi2EEENS1_21BinaryOpScalarFunctorIiLi2ELi1ELi1EEEJNS0_7maximumIiEEiEEEvT_T0_DpT1_,comdat
.Lfunc_end136:
	.size	_ZN2at6native12_GLOBAL__N_125multi_tensor_apply_kernelINS1_18TensorListMetadataILi2EEENS1_21BinaryOpScalarFunctorIiLi2ELi1ELi1EEEJNS0_7maximumIiEEiEEEvT_T0_DpT1_, .Lfunc_end136-_ZN2at6native12_GLOBAL__N_125multi_tensor_apply_kernelINS1_18TensorListMetadataILi2EEENS1_21BinaryOpScalarFunctorIiLi2ELi1ELi1EEEJNS0_7maximumIiEEiEEEvT_T0_DpT1_
                                        ; -- End function
	.section	.AMDGPU.csdata,"",@progbits
; Kernel info:
; codeLenInByte = 1264
; NumSgprs: 32
; NumVgprs: 30
; NumAgprs: 0
; TotalNumVgprs: 30
; ScratchSize: 0
; MemoryBound: 0
; FloatMode: 240
; IeeeMode: 1
; LDSByteSize: 0 bytes/workgroup (compile time only)
; SGPRBlocks: 3
; VGPRBlocks: 3
; NumSGPRsForWavesPerEU: 32
; NumVGPRsForWavesPerEU: 30
; AccumOffset: 32
; Occupancy: 8
; WaveLimiterHint : 0
; COMPUTE_PGM_RSRC2:SCRATCH_EN: 0
; COMPUTE_PGM_RSRC2:USER_SGPR: 6
; COMPUTE_PGM_RSRC2:TRAP_HANDLER: 0
; COMPUTE_PGM_RSRC2:TGID_X_EN: 1
; COMPUTE_PGM_RSRC2:TGID_Y_EN: 0
; COMPUTE_PGM_RSRC2:TGID_Z_EN: 0
; COMPUTE_PGM_RSRC2:TIDIG_COMP_CNT: 0
; COMPUTE_PGM_RSRC3_GFX90A:ACCUM_OFFSET: 7
; COMPUTE_PGM_RSRC3_GFX90A:TG_SPLIT: 0
	.section	.text._ZN2at6native12_GLOBAL__N_125multi_tensor_apply_kernelINS1_18TensorListMetadataILi2EEENS1_21BinaryOpScalarFunctorIlLi2ELi1ELi1EEEJNS0_7maximumIlEElEEEvT_T0_DpT1_,"axG",@progbits,_ZN2at6native12_GLOBAL__N_125multi_tensor_apply_kernelINS1_18TensorListMetadataILi2EEENS1_21BinaryOpScalarFunctorIlLi2ELi1ELi1EEEJNS0_7maximumIlEElEEEvT_T0_DpT1_,comdat
	.globl	_ZN2at6native12_GLOBAL__N_125multi_tensor_apply_kernelINS1_18TensorListMetadataILi2EEENS1_21BinaryOpScalarFunctorIlLi2ELi1ELi1EEEJNS0_7maximumIlEElEEEvT_T0_DpT1_ ; -- Begin function _ZN2at6native12_GLOBAL__N_125multi_tensor_apply_kernelINS1_18TensorListMetadataILi2EEENS1_21BinaryOpScalarFunctorIlLi2ELi1ELi1EEEJNS0_7maximumIlEElEEEvT_T0_DpT1_
	.p2align	8
	.type	_ZN2at6native12_GLOBAL__N_125multi_tensor_apply_kernelINS1_18TensorListMetadataILi2EEENS1_21BinaryOpScalarFunctorIlLi2ELi1ELi1EEEJNS0_7maximumIlEElEEEvT_T0_DpT1_,@function
_ZN2at6native12_GLOBAL__N_125multi_tensor_apply_kernelINS1_18TensorListMetadataILi2EEENS1_21BinaryOpScalarFunctorIlLi2ELi1ELi1EEEJNS0_7maximumIlEElEEEvT_T0_DpT1_: ; @_ZN2at6native12_GLOBAL__N_125multi_tensor_apply_kernelINS1_18TensorListMetadataILi2EEENS1_21BinaryOpScalarFunctorIlLi2ELi1ELi1EEEJNS0_7maximumIlEElEEEvT_T0_DpT1_
; %bb.0:
	v_mov_b32_e32 v1, s6
	global_load_ubyte v1, v1, s[4:5] offset:1536
	s_add_u32 s0, s4, s6
	s_mul_hi_u32 s1, s6, 3
	s_mul_i32 s6, s6, 3
	s_addc_u32 s2, s5, 0
	s_add_u32 s0, s0, s6
	s_addc_u32 s1, s2, s1
	s_load_dword s6, s[0:1], 0x740
	s_mov_b32 s9, 0
	s_mov_b32 s17, s9
	s_mov_b32 s13, s9
	s_waitcnt lgkmcnt(0)
	s_ashr_i32 s7, s6, 31
	s_lshl_b64 s[14:15], s[6:7], 19
	s_waitcnt vmcnt(0)
	v_readfirstlane_b32 s0, v1
	s_lshl_b32 s8, s0, 3
	s_load_dwordx2 s[2:3], s[4:5], s8 offset:0x0
	s_load_dwordx2 s[10:11], s[4:5], 0xc50
	s_load_dwordx2 s[18:19], s[4:5], s8 offset:0x400
	s_load_dwordx2 s[0:1], s[4:5], s8 offset:0x200
	s_waitcnt lgkmcnt(0)
	s_add_u32 s22, s2, s14
	s_addc_u32 s23, s3, s15
	s_and_b32 s8, s22, 31
	s_add_u32 s24, s0, s14
	s_addc_u32 s25, s1, s15
	s_and_b32 s16, s18, 3
	s_and_b32 s12, s24, 31
	s_or_b64 s[8:9], s[8:9], s[16:17]
	s_or_b64 s[8:9], s[12:13], s[8:9]
	s_lshl_b64 s[6:7], s[6:7], 16
	s_sub_u32 s12, s18, s6
	s_subb_u32 s13, s19, s7
	s_cmp_eq_u64 s[8:9], 0
	s_mov_b64 s[6:7], -1
	s_cbranch_scc1 .LBB137_21
; %bb.1:
	v_cmp_lt_i64_e64 s[6:7], s[12:13], 1
	s_and_b64 vcc, exec, s[6:7]
	s_cbranch_vccnz .LBB137_20
; %bb.2:
	s_load_dword s6, s[4:5], 0xc64
	v_mov_b32_e32 v2, 0x10000
	v_mov_b32_e32 v3, 0
	v_cmp_lt_u64_e32 vcc, s[12:13], v[2:3]
	v_lshlrev_b32_e32 v10, 3, v0
	s_waitcnt lgkmcnt(0)
	s_and_b32 s8, s6, 0xffff
	s_and_b64 s[6:7], vcc, exec
	v_mov_b32_e32 v13, s3
	v_add_co_u32_e32 v2, vcc, s2, v10
	v_addc_co_u32_e32 v1, vcc, 0, v13, vcc
	v_mov_b32_e32 v11, 0
	v_mov_b32_e32 v15, s1
	v_add_co_u32_e32 v4, vcc, s0, v10
	v_addc_co_u32_e32 v3, vcc, 0, v15, vcc
	v_mad_u64_u32 v[8:9], s[6:7], s8, 24, v[10:11]
	v_add_co_u32_e32 v6, vcc, s2, v8
	v_addc_co_u32_e32 v5, vcc, v13, v9, vcc
	v_add_co_u32_e32 v8, vcc, s0, v8
	s_mul_i32 s18, s8, 3
	v_addc_co_u32_e32 v7, vcc, v15, v9, vcc
	s_cselect_b32 s17, s13, 0
	s_cselect_b32 s16, s12, 0x10000
	v_add_co_u32_e32 v17, vcc, s18, v0
	s_lshl_b32 s1, s8, 4
	v_addc_co_u32_e64 v26, s[6:7], 0, 0, vcc
	v_add_co_u32_e32 v11, vcc, s1, v10
	v_addc_co_u32_e64 v14, s[6:7], 0, 0, vcc
	v_add_co_u32_e32 v10, vcc, s2, v11
	v_addc_co_u32_e32 v9, vcc, v13, v14, vcc
	v_add_co_u32_e32 v12, vcc, s0, v11
	s_lshl_b32 s9, s8, 1
	v_addc_co_u32_e32 v11, vcc, v15, v14, vcc
	v_add_co_u32_e32 v27, vcc, s9, v0
	v_addc_co_u32_e64 v28, s[6:7], 0, 0, vcc
	v_add_co_u32_e32 v29, vcc, s8, v0
	v_lshlrev_b32_e32 v16, 3, v29
	v_addc_co_u32_e64 v30, s[6:7], 0, 0, vcc
	v_add_co_u32_e32 v14, vcc, s2, v16
	v_addc_co_u32_e32 v13, vcc, 0, v13, vcc
	v_add_co_u32_e32 v16, vcc, s0, v16
	s_mov_b32 s26, 0
	s_lshl_b32 s27, s8, 2
	s_lshl_b32 s28, s8, 5
	v_addc_co_u32_e32 v15, vcc, 0, v15, vcc
	s_mov_b64 s[18:19], 0
	s_branch .LBB137_4
.LBB137_3:                              ;   in Loop: Header=BB137_4 Depth=1
	s_or_b64 exec, exec, s[0:1]
	s_add_u32 s18, s18, s27
	s_addc_u32 s19, s19, 0
	s_waitcnt vmcnt(0)
	v_pk_mov_b32 v[18:19], s[12:13], s[12:13] op_sel:[0,1]
	v_cmp_lt_i64_e32 vcc, s[18:19], v[18:19]
	v_mov_b32_e32 v18, 0x10000
	v_mov_b32_e32 v19, 0
	v_cmp_lt_u64_e64 s[0:1], s[18:19], v[18:19]
	s_and_b64 s[0:1], vcc, s[0:1]
	v_mov_b32_e32 v18, s26
	v_add_co_u32_e32 v2, vcc, s28, v2
	v_addc_co_u32_e32 v1, vcc, v1, v18, vcc
	v_add_co_u32_e32 v4, vcc, s28, v4
	v_addc_co_u32_e32 v3, vcc, v3, v18, vcc
	;; [unrolled: 2-line block ×8, first 2 shown]
	s_and_b64 vcc, exec, s[0:1]
	s_cbranch_vccz .LBB137_20
.LBB137_4:                              ; =>This Inner Loop Header: Depth=1
	v_mov_b32_e32 v19, s19
	v_add_co_u32_e32 v18, vcc, s18, v0
	v_addc_co_u32_e32 v19, vcc, 0, v19, vcc
	v_cmp_gt_u64_e32 vcc, s[16:17], v[18:19]
	v_pk_mov_b32 v[18:19], 0, 0
	v_pk_mov_b32 v[22:23], v[18:19], v[18:19] op_sel:[0,1]
	s_and_saveexec_b64 s[2:3], vcc
	s_cbranch_execz .LBB137_6
; %bb.5:                                ;   in Loop: Header=BB137_4 Depth=1
	v_mov_b32_e32 v21, s15
	v_add_co_u32_e64 v20, s[0:1], s14, v2
	v_addc_co_u32_e64 v21, s[0:1], v1, v21, s[0:1]
	global_load_dwordx2 v[22:23], v[20:21], off
.LBB137_6:                              ;   in Loop: Header=BB137_4 Depth=1
	s_or_b64 exec, exec, s[2:3]
	v_mov_b32_e32 v21, s19
	v_add_co_u32_e64 v20, s[0:1], s18, v29
	v_addc_co_u32_e64 v21, s[0:1], v30, v21, s[0:1]
	v_cmp_gt_u64_e64 s[0:1], s[16:17], v[20:21]
	s_and_saveexec_b64 s[6:7], s[0:1]
	s_cbranch_execz .LBB137_8
; %bb.7:                                ;   in Loop: Header=BB137_4 Depth=1
	v_mov_b32_e32 v19, s15
	v_add_co_u32_e64 v18, s[2:3], s14, v14
	v_addc_co_u32_e64 v19, s[2:3], v13, v19, s[2:3]
	global_load_dwordx2 v[18:19], v[18:19], off
.LBB137_8:                              ;   in Loop: Header=BB137_4 Depth=1
	s_or_b64 exec, exec, s[6:7]
	v_mov_b32_e32 v21, s19
	v_add_co_u32_e64 v20, s[2:3], s18, v27
	v_addc_co_u32_e64 v21, s[2:3], v28, v21, s[2:3]
	v_cmp_gt_u64_e64 s[2:3], s[16:17], v[20:21]
	v_pk_mov_b32 v[20:21], 0, 0
	v_pk_mov_b32 v[24:25], v[20:21], v[20:21] op_sel:[0,1]
	s_and_saveexec_b64 s[8:9], s[2:3]
	s_cbranch_execz .LBB137_10
; %bb.9:                                ;   in Loop: Header=BB137_4 Depth=1
	v_mov_b32_e32 v25, s15
	v_add_co_u32_e64 v24, s[6:7], s14, v10
	v_addc_co_u32_e64 v25, s[6:7], v9, v25, s[6:7]
	global_load_dwordx2 v[24:25], v[24:25], off
.LBB137_10:                             ;   in Loop: Header=BB137_4 Depth=1
	s_or_b64 exec, exec, s[8:9]
	v_mov_b32_e32 v31, s19
	v_add_co_u32_e64 v32, s[6:7], s18, v17
	v_addc_co_u32_e64 v33, s[6:7], v26, v31, s[6:7]
	v_cmp_gt_u64_e64 s[6:7], s[16:17], v[32:33]
	s_and_saveexec_b64 s[20:21], s[6:7]
	s_cbranch_execnz .LBB137_15
; %bb.11:                               ;   in Loop: Header=BB137_4 Depth=1
	s_or_b64 exec, exec, s[20:21]
	s_and_saveexec_b64 s[8:9], vcc
	s_cbranch_execnz .LBB137_16
.LBB137_12:                             ;   in Loop: Header=BB137_4 Depth=1
	s_or_b64 exec, exec, s[8:9]
	s_and_saveexec_b64 s[8:9], s[0:1]
	s_cbranch_execnz .LBB137_17
.LBB137_13:                             ;   in Loop: Header=BB137_4 Depth=1
	s_or_b64 exec, exec, s[8:9]
	s_and_saveexec_b64 s[0:1], s[2:3]
	s_cbranch_execnz .LBB137_18
.LBB137_14:                             ;   in Loop: Header=BB137_4 Depth=1
	s_or_b64 exec, exec, s[0:1]
	s_and_saveexec_b64 s[0:1], s[6:7]
	s_cbranch_execz .LBB137_3
	s_branch .LBB137_19
.LBB137_15:                             ;   in Loop: Header=BB137_4 Depth=1
	v_mov_b32_e32 v21, s15
	v_add_co_u32_e64 v20, s[8:9], s14, v6
	v_addc_co_u32_e64 v21, s[8:9], v5, v21, s[8:9]
	global_load_dwordx2 v[20:21], v[20:21], off
	s_or_b64 exec, exec, s[20:21]
	s_and_saveexec_b64 s[8:9], vcc
	s_cbranch_execz .LBB137_12
.LBB137_16:                             ;   in Loop: Header=BB137_4 Depth=1
	v_mov_b32_e32 v31, s11
	s_waitcnt vmcnt(0)
	v_cmp_lt_i64_e32 vcc, s[10:11], v[22:23]
	v_cndmask_b32_e32 v23, v31, v23, vcc
	v_mov_b32_e32 v31, s10
	v_cndmask_b32_e32 v22, v31, v22, vcc
	v_mov_b32_e32 v31, s15
	v_add_co_u32_e32 v32, vcc, s14, v4
	v_addc_co_u32_e32 v33, vcc, v3, v31, vcc
	global_store_dwordx2 v[32:33], v[22:23], off
	s_or_b64 exec, exec, s[8:9]
	s_and_saveexec_b64 s[8:9], s[0:1]
	s_cbranch_execz .LBB137_13
.LBB137_17:                             ;   in Loop: Header=BB137_4 Depth=1
	s_waitcnt vmcnt(0)
	v_mov_b32_e32 v22, s11
	v_cmp_lt_i64_e32 vcc, s[10:11], v[18:19]
	v_cndmask_b32_e32 v19, v22, v19, vcc
	v_mov_b32_e32 v22, s10
	v_cndmask_b32_e32 v18, v22, v18, vcc
	v_mov_b32_e32 v23, s15
	v_add_co_u32_e32 v22, vcc, s14, v16
	v_addc_co_u32_e32 v23, vcc, v15, v23, vcc
	global_store_dwordx2 v[22:23], v[18:19], off
	s_or_b64 exec, exec, s[8:9]
	s_and_saveexec_b64 s[0:1], s[2:3]
	s_cbranch_execz .LBB137_14
.LBB137_18:                             ;   in Loop: Header=BB137_4 Depth=1
	s_waitcnt vmcnt(0)
	v_mov_b32_e32 v18, s11
	v_cmp_lt_i64_e32 vcc, s[10:11], v[24:25]
	v_cndmask_b32_e32 v19, v18, v25, vcc
	v_mov_b32_e32 v18, s10
	v_cndmask_b32_e32 v18, v18, v24, vcc
	v_mov_b32_e32 v23, s15
	v_add_co_u32_e32 v22, vcc, s14, v12
	v_addc_co_u32_e32 v23, vcc, v11, v23, vcc
	global_store_dwordx2 v[22:23], v[18:19], off
	s_or_b64 exec, exec, s[0:1]
	s_and_saveexec_b64 s[0:1], s[6:7]
	s_cbranch_execz .LBB137_3
.LBB137_19:                             ;   in Loop: Header=BB137_4 Depth=1
	s_waitcnt vmcnt(0)
	v_mov_b32_e32 v18, s11
	v_cmp_lt_i64_e32 vcc, s[10:11], v[20:21]
	v_cndmask_b32_e32 v19, v18, v21, vcc
	v_mov_b32_e32 v18, s10
	v_cndmask_b32_e32 v18, v18, v20, vcc
	v_mov_b32_e32 v21, s15
	v_add_co_u32_e32 v20, vcc, s14, v8
	v_addc_co_u32_e32 v21, vcc, v7, v21, vcc
	global_store_dwordx2 v[20:21], v[18:19], off
	s_branch .LBB137_3
.LBB137_20:
	s_mov_b64 s[6:7], 0
.LBB137_21:
	s_andn2_b64 vcc, exec, s[6:7]
	s_cbranch_vccnz .LBB137_25
; %bb.22:
	v_mov_b32_e32 v3, 0
	v_lshlrev_b32_e32 v2, 2, v0
	s_mov_b32 s0, 0
	v_cmp_gt_i64_e32 vcc, s[12:13], v[2:3]
	s_and_saveexec_b64 s[2:3], vcc
	s_cbranch_execz .LBB137_25
; %bb.23:
	s_load_dword s1, s[4:5], 0xc64
	v_lshlrev_b32_e32 v4, 5, v0
	s_mov_b64 s[6:7], 0
	v_mov_b32_e32 v1, s10
	s_mov_b64 s[8:9], 0xffff
	s_waitcnt lgkmcnt(0)
	s_and_b32 s1, s1, 0xffff
	v_add_lshl_u32 v2, v0, s1, 2
	s_lshl_b32 s14, s1, 2
	s_lshl_b32 s15, s1, 5
	v_mov_b32_e32 v0, s11
	v_mov_b32_e32 v5, s0
.LBB137_24:                             ; =>This Inner Loop Header: Depth=1
	v_mov_b32_e32 v6, s23
	v_add_co_u32_e32 v14, vcc, s22, v4
	v_addc_co_u32_e32 v15, vcc, 0, v6, vcc
	global_load_dwordx4 v[6:9], v[14:15], off
	global_load_dwordx4 v[10:13], v[14:15], off offset:16
	v_cmp_le_i64_e32 vcc, s[12:13], v[2:3]
	v_cmp_lt_u64_e64 s[0:1], s[8:9], v[2:3]
	s_or_b64 s[0:1], vcc, s[0:1]
	v_add_co_u32_e64 v2, s[2:3], s14, v2
	s_add_u32 s22, s22, s15
	v_addc_co_u32_e64 v3, s[2:3], v3, v5, s[2:3]
	s_addc_u32 s23, s23, 0
	v_add_co_u32_e64 v14, s[2:3], s24, v4
	s_add_u32 s24, s24, s15
	v_mov_b32_e32 v15, s25
	s_addc_u32 s25, s25, 0
	s_and_b64 s[0:1], exec, s[0:1]
	v_addc_co_u32_e64 v15, s[2:3], 0, v15, s[2:3]
	s_or_b64 s[6:7], s[0:1], s[6:7]
	s_waitcnt vmcnt(1)
	v_cmp_lt_i64_e32 vcc, s[10:11], v[6:7]
	v_cmp_lt_i64_e64 s[0:1], s[10:11], v[8:9]
	v_cndmask_b32_e32 v7, v0, v7, vcc
	v_cndmask_b32_e64 v9, v0, v9, s[0:1]
	s_waitcnt vmcnt(0)
	v_cmp_lt_i64_e64 s[2:3], s[10:11], v[10:11]
	v_cmp_lt_i64_e64 s[4:5], s[10:11], v[12:13]
	v_cndmask_b32_e32 v6, v1, v6, vcc
	v_cndmask_b32_e64 v8, v1, v8, s[0:1]
	v_cndmask_b32_e64 v11, v0, v11, s[2:3]
	;; [unrolled: 1-line block ×5, first 2 shown]
	global_store_dwordx4 v[14:15], v[6:9], off
	global_store_dwordx4 v[14:15], v[10:13], off offset:16
	s_andn2_b64 exec, exec, s[6:7]
	s_cbranch_execnz .LBB137_24
.LBB137_25:
	s_endpgm
	.section	.rodata,"a",@progbits
	.p2align	6, 0x0
	.amdhsa_kernel _ZN2at6native12_GLOBAL__N_125multi_tensor_apply_kernelINS1_18TensorListMetadataILi2EEENS1_21BinaryOpScalarFunctorIlLi2ELi1ELi1EEEJNS0_7maximumIlEElEEEvT_T0_DpT1_
		.amdhsa_group_segment_fixed_size 0
		.amdhsa_private_segment_fixed_size 0
		.amdhsa_kernarg_size 3416
		.amdhsa_user_sgpr_count 6
		.amdhsa_user_sgpr_private_segment_buffer 1
		.amdhsa_user_sgpr_dispatch_ptr 0
		.amdhsa_user_sgpr_queue_ptr 0
		.amdhsa_user_sgpr_kernarg_segment_ptr 1
		.amdhsa_user_sgpr_dispatch_id 0
		.amdhsa_user_sgpr_flat_scratch_init 0
		.amdhsa_user_sgpr_kernarg_preload_length 0
		.amdhsa_user_sgpr_kernarg_preload_offset 0
		.amdhsa_user_sgpr_private_segment_size 0
		.amdhsa_uses_dynamic_stack 0
		.amdhsa_system_sgpr_private_segment_wavefront_offset 0
		.amdhsa_system_sgpr_workgroup_id_x 1
		.amdhsa_system_sgpr_workgroup_id_y 0
		.amdhsa_system_sgpr_workgroup_id_z 0
		.amdhsa_system_sgpr_workgroup_info 0
		.amdhsa_system_vgpr_workitem_id 0
		.amdhsa_next_free_vgpr 34
		.amdhsa_next_free_sgpr 29
		.amdhsa_accum_offset 36
		.amdhsa_reserve_vcc 1
		.amdhsa_reserve_flat_scratch 0
		.amdhsa_float_round_mode_32 0
		.amdhsa_float_round_mode_16_64 0
		.amdhsa_float_denorm_mode_32 3
		.amdhsa_float_denorm_mode_16_64 3
		.amdhsa_dx10_clamp 1
		.amdhsa_ieee_mode 1
		.amdhsa_fp16_overflow 0
		.amdhsa_tg_split 0
		.amdhsa_exception_fp_ieee_invalid_op 0
		.amdhsa_exception_fp_denorm_src 0
		.amdhsa_exception_fp_ieee_div_zero 0
		.amdhsa_exception_fp_ieee_overflow 0
		.amdhsa_exception_fp_ieee_underflow 0
		.amdhsa_exception_fp_ieee_inexact 0
		.amdhsa_exception_int_div_zero 0
	.end_amdhsa_kernel
	.section	.text._ZN2at6native12_GLOBAL__N_125multi_tensor_apply_kernelINS1_18TensorListMetadataILi2EEENS1_21BinaryOpScalarFunctorIlLi2ELi1ELi1EEEJNS0_7maximumIlEElEEEvT_T0_DpT1_,"axG",@progbits,_ZN2at6native12_GLOBAL__N_125multi_tensor_apply_kernelINS1_18TensorListMetadataILi2EEENS1_21BinaryOpScalarFunctorIlLi2ELi1ELi1EEEJNS0_7maximumIlEElEEEvT_T0_DpT1_,comdat
.Lfunc_end137:
	.size	_ZN2at6native12_GLOBAL__N_125multi_tensor_apply_kernelINS1_18TensorListMetadataILi2EEENS1_21BinaryOpScalarFunctorIlLi2ELi1ELi1EEEJNS0_7maximumIlEElEEEvT_T0_DpT1_, .Lfunc_end137-_ZN2at6native12_GLOBAL__N_125multi_tensor_apply_kernelINS1_18TensorListMetadataILi2EEENS1_21BinaryOpScalarFunctorIlLi2ELi1ELi1EEEJNS0_7maximumIlEElEEEvT_T0_DpT1_
                                        ; -- End function
	.section	.AMDGPU.csdata,"",@progbits
; Kernel info:
; codeLenInByte = 1436
; NumSgprs: 33
; NumVgprs: 34
; NumAgprs: 0
; TotalNumVgprs: 34
; ScratchSize: 0
; MemoryBound: 0
; FloatMode: 240
; IeeeMode: 1
; LDSByteSize: 0 bytes/workgroup (compile time only)
; SGPRBlocks: 4
; VGPRBlocks: 4
; NumSGPRsForWavesPerEU: 33
; NumVGPRsForWavesPerEU: 34
; AccumOffset: 36
; Occupancy: 8
; WaveLimiterHint : 0
; COMPUTE_PGM_RSRC2:SCRATCH_EN: 0
; COMPUTE_PGM_RSRC2:USER_SGPR: 6
; COMPUTE_PGM_RSRC2:TRAP_HANDLER: 0
; COMPUTE_PGM_RSRC2:TGID_X_EN: 1
; COMPUTE_PGM_RSRC2:TGID_Y_EN: 0
; COMPUTE_PGM_RSRC2:TGID_Z_EN: 0
; COMPUTE_PGM_RSRC2:TIDIG_COMP_CNT: 0
; COMPUTE_PGM_RSRC3_GFX90A:ACCUM_OFFSET: 8
; COMPUTE_PGM_RSRC3_GFX90A:TG_SPLIT: 0
	.section	.text._ZN2at6native12_GLOBAL__N_125multi_tensor_apply_kernelINS1_18TensorListMetadataILi2EEENS1_21BinaryOpScalarFunctorIsLi2ELi1ELi1EEEJNS0_7maximumIsEEsEEEvT_T0_DpT1_,"axG",@progbits,_ZN2at6native12_GLOBAL__N_125multi_tensor_apply_kernelINS1_18TensorListMetadataILi2EEENS1_21BinaryOpScalarFunctorIsLi2ELi1ELi1EEEJNS0_7maximumIsEEsEEEvT_T0_DpT1_,comdat
	.globl	_ZN2at6native12_GLOBAL__N_125multi_tensor_apply_kernelINS1_18TensorListMetadataILi2EEENS1_21BinaryOpScalarFunctorIsLi2ELi1ELi1EEEJNS0_7maximumIsEEsEEEvT_T0_DpT1_ ; -- Begin function _ZN2at6native12_GLOBAL__N_125multi_tensor_apply_kernelINS1_18TensorListMetadataILi2EEENS1_21BinaryOpScalarFunctorIsLi2ELi1ELi1EEEJNS0_7maximumIsEEsEEEvT_T0_DpT1_
	.p2align	8
	.type	_ZN2at6native12_GLOBAL__N_125multi_tensor_apply_kernelINS1_18TensorListMetadataILi2EEENS1_21BinaryOpScalarFunctorIsLi2ELi1ELi1EEEJNS0_7maximumIsEEsEEEvT_T0_DpT1_,@function
_ZN2at6native12_GLOBAL__N_125multi_tensor_apply_kernelINS1_18TensorListMetadataILi2EEENS1_21BinaryOpScalarFunctorIsLi2ELi1ELi1EEEJNS0_7maximumIsEEsEEEvT_T0_DpT1_: ; @_ZN2at6native12_GLOBAL__N_125multi_tensor_apply_kernelINS1_18TensorListMetadataILi2EEENS1_21BinaryOpScalarFunctorIsLi2ELi1ELi1EEEJNS0_7maximumIsEEsEEEvT_T0_DpT1_
; %bb.0:
	v_mov_b32_e32 v1, s6
	global_load_ubyte v1, v1, s[4:5] offset:1536
	s_load_dword s0, s[4:5], 0xc48
	s_mul_i32 s7, s6, 3
	s_mul_hi_u32 s2, s6, 3
	s_mov_b32 s1, 0
	s_mov_b32 s3, s1
	s_waitcnt lgkmcnt(0)
	s_lshr_b32 s24, s0, 16
	s_add_u32 s0, s4, s6
	s_addc_u32 s8, s5, 0
	s_add_u32 s6, s0, s7
	s_addc_u32 s7, s8, s2
	s_waitcnt vmcnt(0)
	v_readfirstlane_b32 s0, v1
	s_lshl_b32 s0, s0, 3
	s_load_dword s8, s[6:7], 0x740
	s_load_dwordx2 s[10:11], s[4:5], s0 offset:0x0
	s_load_dwordx2 s[14:15], s[4:5], s0 offset:0x400
	;; [unrolled: 1-line block ×3, first 2 shown]
	s_mov_b32 s7, s1
	s_waitcnt lgkmcnt(0)
	s_ashr_i32 s9, s8, 31
	s_and_b32 s0, s10, 7
	s_and_b32 s6, s14, 3
	;; [unrolled: 1-line block ×3, first 2 shown]
	s_or_b64 s[0:1], s[0:1], s[6:7]
	s_lshl_b64 s[16:17], s[8:9], 17
	s_or_b64 s[0:1], s[2:3], s[0:1]
	s_lshl_b64 s[2:3], s[8:9], 16
	s_sub_u32 s14, s14, s2
	s_subb_u32 s15, s15, s3
	s_cmp_eq_u64 s[0:1], 0
	s_mov_b64 s[0:1], -1
	s_cbranch_scc1 .LBB138_21
; %bb.1:
	v_cmp_lt_i64_e64 s[0:1], s[14:15], 1
	s_and_b64 vcc, exec, s[0:1]
	s_cbranch_vccnz .LBB138_20
; %bb.2:
	s_load_dword s0, s[4:5], 0xc5c
	v_mov_b32_e32 v2, 0x10000
	v_mov_b32_e32 v3, 0
	v_cmp_lt_u64_e32 vcc, s[14:15], v[2:3]
	v_lshlrev_b32_e32 v10, 1, v0
	s_waitcnt lgkmcnt(0)
	s_and_b32 s2, s0, 0xffff
	s_and_b64 s[0:1], vcc, exec
	v_mov_b32_e32 v13, s11
	v_add_co_u32_e32 v2, vcc, s10, v10
	v_addc_co_u32_e32 v1, vcc, 0, v13, vcc
	v_mov_b32_e32 v11, 0
	v_mov_b32_e32 v15, s13
	v_add_co_u32_e32 v4, vcc, s12, v10
	v_addc_co_u32_e32 v3, vcc, 0, v15, vcc
	v_mad_u64_u32 v[8:9], s[0:1], s2, 6, v[10:11]
	v_add_co_u32_e32 v6, vcc, s10, v8
	v_addc_co_u32_e32 v5, vcc, v13, v9, vcc
	v_add_co_u32_e32 v8, vcc, s12, v8
	s_mul_i32 s6, s2, 3
	v_addc_co_u32_e32 v7, vcc, v15, v9, vcc
	s_cselect_b32 s19, s15, 0
	s_cselect_b32 s18, s14, 0x10000
	s_lshl_b32 s26, s2, 2
	v_add_co_u32_e32 v17, vcc, s6, v0
	v_addc_co_u32_e64 v18, s[0:1], 0, 0, vcc
	v_add_co_u32_e32 v11, vcc, s26, v10
	v_addc_co_u32_e64 v14, s[0:1], 0, 0, vcc
	v_add_co_u32_e32 v10, vcc, s10, v11
	v_addc_co_u32_e32 v9, vcc, v13, v14, vcc
	v_add_co_u32_e32 v12, vcc, s12, v11
	s_lshl_b32 s3, s2, 1
	v_addc_co_u32_e32 v11, vcc, v15, v14, vcc
	v_add_co_u32_e32 v19, vcc, s3, v0
	v_addc_co_u32_e64 v20, s[0:1], 0, 0, vcc
	v_add_co_u32_e32 v21, vcc, s2, v0
	v_lshlrev_b32_e32 v16, 1, v21
	v_addc_co_u32_e64 v22, s[0:1], 0, 0, vcc
	v_add_co_u32_e32 v14, vcc, s10, v16
	v_addc_co_u32_e32 v13, vcc, 0, v13, vcc
	v_add_co_u32_e32 v16, vcc, s12, v16
	s_mov_b32 s25, 0
	s_lshl_b32 s27, s2, 3
	v_addc_co_u32_e32 v15, vcc, 0, v15, vcc
	s_mov_b64 s[20:21], 0
	s_branch .LBB138_4
.LBB138_3:                              ;   in Loop: Header=BB138_4 Depth=1
	s_or_b64 exec, exec, s[0:1]
	s_add_u32 s20, s20, s26
	s_addc_u32 s21, s21, 0
	s_waitcnt vmcnt(0)
	v_pk_mov_b32 v[24:25], s[14:15], s[14:15] op_sel:[0,1]
	v_cmp_lt_i64_e32 vcc, s[20:21], v[24:25]
	v_mov_b32_e32 v24, 0x10000
	v_mov_b32_e32 v25, 0
	v_cmp_lt_u64_e64 s[0:1], s[20:21], v[24:25]
	s_and_b64 s[0:1], vcc, s[0:1]
	v_mov_b32_e32 v23, s25
	v_add_co_u32_e32 v2, vcc, s27, v2
	v_addc_co_u32_e32 v1, vcc, v1, v23, vcc
	v_add_co_u32_e32 v4, vcc, s27, v4
	v_addc_co_u32_e32 v3, vcc, v3, v23, vcc
	;; [unrolled: 2-line block ×8, first 2 shown]
	s_and_b64 vcc, exec, s[0:1]
	s_cbranch_vccz .LBB138_20
.LBB138_4:                              ; =>This Inner Loop Header: Depth=1
	v_mov_b32_e32 v23, s21
	v_add_co_u32_e32 v24, vcc, s20, v0
	v_addc_co_u32_e32 v25, vcc, 0, v23, vcc
	v_cmp_gt_u64_e32 vcc, s[18:19], v[24:25]
	v_mov_b32_e32 v23, 0
	s_and_saveexec_b64 s[2:3], vcc
	s_cbranch_execz .LBB138_6
; %bb.5:                                ;   in Loop: Header=BB138_4 Depth=1
	v_mov_b32_e32 v23, s17
	v_add_co_u32_e64 v24, s[0:1], s16, v2
	v_addc_co_u32_e64 v25, s[0:1], v1, v23, s[0:1]
	global_load_ushort v23, v[24:25], off
.LBB138_6:                              ;   in Loop: Header=BB138_4 Depth=1
	s_or_b64 exec, exec, s[2:3]
	v_mov_b32_e32 v25, s21
	v_add_co_u32_e64 v24, s[0:1], s20, v21
	v_addc_co_u32_e64 v25, s[0:1], v22, v25, s[0:1]
	v_cmp_gt_u64_e64 s[0:1], s[18:19], v[24:25]
	v_mov_b32_e32 v25, 0
	s_and_saveexec_b64 s[6:7], s[0:1]
	s_cbranch_execz .LBB138_8
; %bb.7:                                ;   in Loop: Header=BB138_4 Depth=1
	v_mov_b32_e32 v25, s17
	v_add_co_u32_e64 v24, s[2:3], s16, v14
	v_addc_co_u32_e64 v25, s[2:3], v13, v25, s[2:3]
	global_load_ushort v25, v[24:25], off
.LBB138_8:                              ;   in Loop: Header=BB138_4 Depth=1
	s_or_b64 exec, exec, s[6:7]
	v_mov_b32_e32 v24, s21
	v_add_co_u32_e64 v26, s[2:3], s20, v19
	v_addc_co_u32_e64 v27, s[2:3], v20, v24, s[2:3]
	v_cmp_gt_u64_e64 s[2:3], s[18:19], v[26:27]
	v_mov_b32_e32 v24, 0
	v_mov_b32_e32 v26, 0
	s_and_saveexec_b64 s[8:9], s[2:3]
	s_cbranch_execz .LBB138_10
; %bb.9:                                ;   in Loop: Header=BB138_4 Depth=1
	v_mov_b32_e32 v27, s17
	v_add_co_u32_e64 v26, s[6:7], s16, v10
	v_addc_co_u32_e64 v27, s[6:7], v9, v27, s[6:7]
	global_load_ushort v26, v[26:27], off
.LBB138_10:                             ;   in Loop: Header=BB138_4 Depth=1
	s_or_b64 exec, exec, s[8:9]
	v_mov_b32_e32 v27, s21
	v_add_co_u32_e64 v28, s[6:7], s20, v17
	v_addc_co_u32_e64 v29, s[6:7], v18, v27, s[6:7]
	v_cmp_gt_u64_e64 s[6:7], s[18:19], v[28:29]
	s_and_saveexec_b64 s[22:23], s[6:7]
	s_cbranch_execnz .LBB138_15
; %bb.11:                               ;   in Loop: Header=BB138_4 Depth=1
	s_or_b64 exec, exec, s[22:23]
	s_and_saveexec_b64 s[8:9], vcc
	s_cbranch_execnz .LBB138_16
.LBB138_12:                             ;   in Loop: Header=BB138_4 Depth=1
	s_or_b64 exec, exec, s[8:9]
	s_and_saveexec_b64 s[8:9], s[0:1]
	s_cbranch_execnz .LBB138_17
.LBB138_13:                             ;   in Loop: Header=BB138_4 Depth=1
	s_or_b64 exec, exec, s[8:9]
	s_and_saveexec_b64 s[0:1], s[2:3]
	s_cbranch_execnz .LBB138_18
.LBB138_14:                             ;   in Loop: Header=BB138_4 Depth=1
	s_or_b64 exec, exec, s[0:1]
	s_and_saveexec_b64 s[0:1], s[6:7]
	s_cbranch_execz .LBB138_3
	s_branch .LBB138_19
.LBB138_15:                             ;   in Loop: Header=BB138_4 Depth=1
	v_mov_b32_e32 v24, s17
	v_add_co_u32_e64 v28, s[8:9], s16, v6
	v_addc_co_u32_e64 v29, s[8:9], v5, v24, s[8:9]
	global_load_ushort v24, v[28:29], off
	s_or_b64 exec, exec, s[22:23]
	s_and_saveexec_b64 s[8:9], vcc
	s_cbranch_execz .LBB138_12
.LBB138_16:                             ;   in Loop: Header=BB138_4 Depth=1
	v_mov_b32_e32 v27, s17
	v_add_co_u32_e32 v28, vcc, s16, v4
	s_waitcnt vmcnt(0)
	v_max_i16_e32 v23, s24, v23
	v_addc_co_u32_e32 v29, vcc, v3, v27, vcc
	global_store_short v[28:29], v23, off
	s_or_b64 exec, exec, s[8:9]
	s_and_saveexec_b64 s[8:9], s[0:1]
	s_cbranch_execz .LBB138_13
.LBB138_17:                             ;   in Loop: Header=BB138_4 Depth=1
	s_waitcnt vmcnt(0)
	v_max_i16_e32 v23, s24, v25
	v_mov_b32_e32 v25, s17
	v_add_co_u32_e32 v28, vcc, s16, v16
	v_addc_co_u32_e32 v29, vcc, v15, v25, vcc
	global_store_short v[28:29], v23, off
	s_or_b64 exec, exec, s[8:9]
	s_and_saveexec_b64 s[0:1], s[2:3]
	s_cbranch_execz .LBB138_14
.LBB138_18:                             ;   in Loop: Header=BB138_4 Depth=1
	s_waitcnt vmcnt(0)
	v_max_i16_e32 v23, s24, v26
	v_mov_b32_e32 v25, s17
	v_add_co_u32_e32 v26, vcc, s16, v12
	v_addc_co_u32_e32 v27, vcc, v11, v25, vcc
	global_store_short v[26:27], v23, off
	s_or_b64 exec, exec, s[0:1]
	s_and_saveexec_b64 s[0:1], s[6:7]
	s_cbranch_execz .LBB138_3
.LBB138_19:                             ;   in Loop: Header=BB138_4 Depth=1
	s_waitcnt vmcnt(0)
	v_max_i16_e32 v23, s24, v24
	v_mov_b32_e32 v25, s17
	v_add_co_u32_e32 v24, vcc, s16, v8
	v_addc_co_u32_e32 v25, vcc, v7, v25, vcc
	global_store_short v[24:25], v23, off
	s_branch .LBB138_3
.LBB138_20:
	s_mov_b64 s[0:1], 0
.LBB138_21:
	s_andn2_b64 vcc, exec, s[0:1]
	s_cbranch_vccnz .LBB138_25
; %bb.22:
	v_mov_b32_e32 v3, 0
	v_lshlrev_b32_e32 v2, 2, v0
	s_mov_b32 s0, 0
	v_cmp_gt_i64_e32 vcc, s[14:15], v[2:3]
	s_and_saveexec_b64 s[2:3], vcc
	s_cbranch_execz .LBB138_25
; %bb.23:
	s_load_dword s1, s[4:5], 0xc5c
	v_lshlrev_b32_e32 v1, 3, v0
	v_mov_b32_e32 v2, s17
	v_add_co_u32_e32 v4, vcc, s16, v1
	s_waitcnt lgkmcnt(0)
	s_and_b32 s1, s1, 0xffff
	v_addc_co_u32_e32 v1, vcc, 0, v2, vcc
	s_lshl_b32 s8, s1, 3
	v_add_lshl_u32 v2, v0, s1, 2
	s_lshl_b32 s9, s1, 2
	s_mov_b64 s[4:5], 0
	v_mov_b32_e32 v0, s11
	v_mov_b32_e32 v5, s13
	s_mov_b64 s[6:7], 0xffff
	v_mov_b32_e32 v6, s0
	v_mov_b32_e32 v7, s0
.LBB138_24:                             ; =>This Inner Loop Header: Depth=1
	v_add_co_u32_e32 v8, vcc, s10, v4
	v_addc_co_u32_e32 v9, vcc, v0, v1, vcc
	global_load_dwordx2 v[8:9], v[8:9], off
	v_add_co_u32_e32 v10, vcc, s12, v4
	v_addc_co_u32_e32 v11, vcc, v5, v1, vcc
	v_cmp_le_i64_e32 vcc, s[14:15], v[2:3]
	v_cmp_lt_u64_e64 s[0:1], s[6:7], v[2:3]
	v_add_co_u32_e64 v4, s[2:3], s8, v4
	v_addc_co_u32_e64 v1, s[2:3], v1, v6, s[2:3]
	s_or_b64 s[0:1], vcc, s[0:1]
	v_add_co_u32_e64 v2, s[2:3], s9, v2
	s_and_b64 s[0:1], exec, s[0:1]
	v_addc_co_u32_e64 v3, s[2:3], v3, v7, s[2:3]
	s_or_b64 s[4:5], s[0:1], s[4:5]
	s_waitcnt vmcnt(0)
	v_max_i16_sdwa v12, v8, s24 dst_sel:WORD_1 dst_unused:UNUSED_PAD src0_sel:WORD_1 src1_sel:DWORD
	v_max_i16_sdwa v13, v9, s24 dst_sel:WORD_1 dst_unused:UNUSED_PAD src0_sel:WORD_1 src1_sel:DWORD
	v_max_i16_e32 v9, s24, v9
	v_max_i16_e32 v8, s24, v8
	v_or_b32_e32 v9, v13, v9
	v_or_b32_e32 v8, v12, v8
	global_store_dwordx2 v[10:11], v[8:9], off
	s_andn2_b64 exec, exec, s[4:5]
	s_cbranch_execnz .LBB138_24
.LBB138_25:
	s_endpgm
	.section	.rodata,"a",@progbits
	.p2align	6, 0x0
	.amdhsa_kernel _ZN2at6native12_GLOBAL__N_125multi_tensor_apply_kernelINS1_18TensorListMetadataILi2EEENS1_21BinaryOpScalarFunctorIsLi2ELi1ELi1EEEJNS0_7maximumIsEEsEEEvT_T0_DpT1_
		.amdhsa_group_segment_fixed_size 0
		.amdhsa_private_segment_fixed_size 0
		.amdhsa_kernarg_size 3408
		.amdhsa_user_sgpr_count 6
		.amdhsa_user_sgpr_private_segment_buffer 1
		.amdhsa_user_sgpr_dispatch_ptr 0
		.amdhsa_user_sgpr_queue_ptr 0
		.amdhsa_user_sgpr_kernarg_segment_ptr 1
		.amdhsa_user_sgpr_dispatch_id 0
		.amdhsa_user_sgpr_flat_scratch_init 0
		.amdhsa_user_sgpr_kernarg_preload_length 0
		.amdhsa_user_sgpr_kernarg_preload_offset 0
		.amdhsa_user_sgpr_private_segment_size 0
		.amdhsa_uses_dynamic_stack 0
		.amdhsa_system_sgpr_private_segment_wavefront_offset 0
		.amdhsa_system_sgpr_workgroup_id_x 1
		.amdhsa_system_sgpr_workgroup_id_y 0
		.amdhsa_system_sgpr_workgroup_id_z 0
		.amdhsa_system_sgpr_workgroup_info 0
		.amdhsa_system_vgpr_workitem_id 0
		.amdhsa_next_free_vgpr 30
		.amdhsa_next_free_sgpr 28
		.amdhsa_accum_offset 32
		.amdhsa_reserve_vcc 1
		.amdhsa_reserve_flat_scratch 0
		.amdhsa_float_round_mode_32 0
		.amdhsa_float_round_mode_16_64 0
		.amdhsa_float_denorm_mode_32 3
		.amdhsa_float_denorm_mode_16_64 3
		.amdhsa_dx10_clamp 1
		.amdhsa_ieee_mode 1
		.amdhsa_fp16_overflow 0
		.amdhsa_tg_split 0
		.amdhsa_exception_fp_ieee_invalid_op 0
		.amdhsa_exception_fp_denorm_src 0
		.amdhsa_exception_fp_ieee_div_zero 0
		.amdhsa_exception_fp_ieee_overflow 0
		.amdhsa_exception_fp_ieee_underflow 0
		.amdhsa_exception_fp_ieee_inexact 0
		.amdhsa_exception_int_div_zero 0
	.end_amdhsa_kernel
	.section	.text._ZN2at6native12_GLOBAL__N_125multi_tensor_apply_kernelINS1_18TensorListMetadataILi2EEENS1_21BinaryOpScalarFunctorIsLi2ELi1ELi1EEEJNS0_7maximumIsEEsEEEvT_T0_DpT1_,"axG",@progbits,_ZN2at6native12_GLOBAL__N_125multi_tensor_apply_kernelINS1_18TensorListMetadataILi2EEENS1_21BinaryOpScalarFunctorIsLi2ELi1ELi1EEEJNS0_7maximumIsEEsEEEvT_T0_DpT1_,comdat
.Lfunc_end138:
	.size	_ZN2at6native12_GLOBAL__N_125multi_tensor_apply_kernelINS1_18TensorListMetadataILi2EEENS1_21BinaryOpScalarFunctorIsLi2ELi1ELi1EEEJNS0_7maximumIsEEsEEEvT_T0_DpT1_, .Lfunc_end138-_ZN2at6native12_GLOBAL__N_125multi_tensor_apply_kernelINS1_18TensorListMetadataILi2EEENS1_21BinaryOpScalarFunctorIsLi2ELi1ELi1EEEJNS0_7maximumIsEEsEEEvT_T0_DpT1_
                                        ; -- End function
	.section	.AMDGPU.csdata,"",@progbits
; Kernel info:
; codeLenInByte = 1268
; NumSgprs: 32
; NumVgprs: 30
; NumAgprs: 0
; TotalNumVgprs: 30
; ScratchSize: 0
; MemoryBound: 0
; FloatMode: 240
; IeeeMode: 1
; LDSByteSize: 0 bytes/workgroup (compile time only)
; SGPRBlocks: 3
; VGPRBlocks: 3
; NumSGPRsForWavesPerEU: 32
; NumVGPRsForWavesPerEU: 30
; AccumOffset: 32
; Occupancy: 8
; WaveLimiterHint : 0
; COMPUTE_PGM_RSRC2:SCRATCH_EN: 0
; COMPUTE_PGM_RSRC2:USER_SGPR: 6
; COMPUTE_PGM_RSRC2:TRAP_HANDLER: 0
; COMPUTE_PGM_RSRC2:TGID_X_EN: 1
; COMPUTE_PGM_RSRC2:TGID_Y_EN: 0
; COMPUTE_PGM_RSRC2:TGID_Z_EN: 0
; COMPUTE_PGM_RSRC2:TIDIG_COMP_CNT: 0
; COMPUTE_PGM_RSRC3_GFX90A:ACCUM_OFFSET: 7
; COMPUTE_PGM_RSRC3_GFX90A:TG_SPLIT: 0
	.section	.text._ZN2at6native12_GLOBAL__N_125multi_tensor_apply_kernelINS1_18TensorListMetadataILi2EEENS1_21BinaryOpScalarFunctorIdLi2ELi1ELi1EEEJNS0_7maximumIdEEdEEEvT_T0_DpT1_,"axG",@progbits,_ZN2at6native12_GLOBAL__N_125multi_tensor_apply_kernelINS1_18TensorListMetadataILi2EEENS1_21BinaryOpScalarFunctorIdLi2ELi1ELi1EEEJNS0_7maximumIdEEdEEEvT_T0_DpT1_,comdat
	.globl	_ZN2at6native12_GLOBAL__N_125multi_tensor_apply_kernelINS1_18TensorListMetadataILi2EEENS1_21BinaryOpScalarFunctorIdLi2ELi1ELi1EEEJNS0_7maximumIdEEdEEEvT_T0_DpT1_ ; -- Begin function _ZN2at6native12_GLOBAL__N_125multi_tensor_apply_kernelINS1_18TensorListMetadataILi2EEENS1_21BinaryOpScalarFunctorIdLi2ELi1ELi1EEEJNS0_7maximumIdEEdEEEvT_T0_DpT1_
	.p2align	8
	.type	_ZN2at6native12_GLOBAL__N_125multi_tensor_apply_kernelINS1_18TensorListMetadataILi2EEENS1_21BinaryOpScalarFunctorIdLi2ELi1ELi1EEEJNS0_7maximumIdEEdEEEvT_T0_DpT1_,@function
_ZN2at6native12_GLOBAL__N_125multi_tensor_apply_kernelINS1_18TensorListMetadataILi2EEENS1_21BinaryOpScalarFunctorIdLi2ELi1ELi1EEEJNS0_7maximumIdEEdEEEvT_T0_DpT1_: ; @_ZN2at6native12_GLOBAL__N_125multi_tensor_apply_kernelINS1_18TensorListMetadataILi2EEENS1_21BinaryOpScalarFunctorIdLi2ELi1ELi1EEEJNS0_7maximumIdEEdEEEvT_T0_DpT1_
; %bb.0:
	v_mov_b32_e32 v1, s6
	global_load_ubyte v1, v1, s[4:5] offset:1536
	s_add_u32 s0, s4, s6
	s_mul_hi_u32 s1, s6, 3
	s_mul_i32 s6, s6, 3
	s_addc_u32 s2, s5, 0
	s_add_u32 s0, s0, s6
	s_addc_u32 s1, s2, s1
	s_load_dword s6, s[0:1], 0x740
	s_mov_b32 s9, 0
	s_mov_b32 s17, s9
	s_mov_b32 s13, s9
	s_waitcnt lgkmcnt(0)
	s_ashr_i32 s7, s6, 31
	s_lshl_b64 s[10:11], s[6:7], 19
	s_waitcnt vmcnt(0)
	v_readfirstlane_b32 s0, v1
	s_lshl_b32 s8, s0, 3
	s_load_dwordx2 s[2:3], s[4:5], s8 offset:0x0
	s_load_dwordx2 s[14:15], s[4:5], 0xc50
	s_load_dwordx2 s[18:19], s[4:5], s8 offset:0x400
	s_load_dwordx2 s[0:1], s[4:5], s8 offset:0x200
	s_waitcnt lgkmcnt(0)
	s_add_u32 s22, s2, s10
	s_addc_u32 s23, s3, s11
	s_and_b32 s8, s22, 31
	s_add_u32 s24, s0, s10
	s_addc_u32 s25, s1, s11
	s_and_b32 s16, s18, 3
	s_and_b32 s12, s24, 31
	s_or_b64 s[8:9], s[8:9], s[16:17]
	s_or_b64 s[8:9], s[12:13], s[8:9]
	s_lshl_b64 s[6:7], s[6:7], 16
	s_sub_u32 s16, s18, s6
	s_subb_u32 s17, s19, s7
	s_cmp_eq_u64 s[8:9], 0
	s_mov_b64 s[6:7], -1
	s_cbranch_scc1 .LBB139_21
; %bb.1:
	v_cmp_lt_i64_e64 s[6:7], s[16:17], 1
	s_and_b64 vcc, exec, s[6:7]
	s_cbranch_vccnz .LBB139_20
; %bb.2:
	s_load_dword s6, s[4:5], 0xc64
	v_mov_b32_e32 v2, 0x10000
	v_mov_b32_e32 v3, 0
	v_cmp_lt_u64_e32 vcc, s[16:17], v[2:3]
	v_lshlrev_b32_e32 v10, 3, v0
	s_waitcnt lgkmcnt(0)
	s_and_b32 s8, s6, 0xffff
	s_and_b64 s[6:7], vcc, exec
	v_mov_b32_e32 v13, s3
	v_add_co_u32_e32 v2, vcc, s2, v10
	v_addc_co_u32_e32 v1, vcc, 0, v13, vcc
	v_mov_b32_e32 v11, 0
	v_mov_b32_e32 v15, s1
	v_add_co_u32_e32 v4, vcc, s0, v10
	v_addc_co_u32_e32 v3, vcc, 0, v15, vcc
	v_mad_u64_u32 v[8:9], s[6:7], s8, 24, v[10:11]
	v_add_co_u32_e32 v6, vcc, s2, v8
	v_addc_co_u32_e32 v5, vcc, v13, v9, vcc
	v_add_co_u32_e32 v8, vcc, s0, v8
	s_mul_i32 s18, s8, 3
	v_addc_co_u32_e32 v7, vcc, v15, v9, vcc
	s_cselect_b32 s13, s17, 0
	s_cselect_b32 s12, s16, 0x10000
	v_add_co_u32_e32 v17, vcc, s18, v0
	s_lshl_b32 s1, s8, 4
	v_addc_co_u32_e64 v26, s[6:7], 0, 0, vcc
	v_add_co_u32_e32 v11, vcc, s1, v10
	v_addc_co_u32_e64 v14, s[6:7], 0, 0, vcc
	v_add_co_u32_e32 v10, vcc, s2, v11
	v_addc_co_u32_e32 v9, vcc, v13, v14, vcc
	v_add_co_u32_e32 v12, vcc, s0, v11
	s_lshl_b32 s9, s8, 1
	v_addc_co_u32_e32 v11, vcc, v15, v14, vcc
	v_add_co_u32_e32 v27, vcc, s9, v0
	v_addc_co_u32_e64 v28, s[6:7], 0, 0, vcc
	v_add_co_u32_e32 v29, vcc, s8, v0
	v_lshlrev_b32_e32 v16, 3, v29
	v_addc_co_u32_e64 v30, s[6:7], 0, 0, vcc
	v_add_co_u32_e32 v14, vcc, s2, v16
	v_addc_co_u32_e32 v13, vcc, 0, v13, vcc
	v_add_co_u32_e32 v16, vcc, s0, v16
	s_mov_b32 s26, 0
	s_lshl_b32 s27, s8, 2
	s_lshl_b32 s28, s8, 5
	v_addc_co_u32_e32 v15, vcc, 0, v15, vcc
	s_mov_b64 s[18:19], 0
	s_branch .LBB139_4
.LBB139_3:                              ;   in Loop: Header=BB139_4 Depth=1
	s_or_b64 exec, exec, s[2:3]
	s_add_u32 s18, s18, s27
	s_addc_u32 s19, s19, 0
	s_waitcnt vmcnt(0)
	v_pk_mov_b32 v[18:19], s[16:17], s[16:17] op_sel:[0,1]
	v_cmp_lt_i64_e32 vcc, s[18:19], v[18:19]
	v_mov_b32_e32 v18, 0x10000
	v_mov_b32_e32 v19, 0
	v_cmp_lt_u64_e64 s[0:1], s[18:19], v[18:19]
	s_and_b64 s[0:1], vcc, s[0:1]
	v_mov_b32_e32 v18, s26
	v_add_co_u32_e32 v2, vcc, s28, v2
	v_addc_co_u32_e32 v1, vcc, v1, v18, vcc
	v_add_co_u32_e32 v4, vcc, s28, v4
	v_addc_co_u32_e32 v3, vcc, v3, v18, vcc
	;; [unrolled: 2-line block ×8, first 2 shown]
	s_and_b64 vcc, exec, s[0:1]
	s_cbranch_vccz .LBB139_20
.LBB139_4:                              ; =>This Inner Loop Header: Depth=1
	v_mov_b32_e32 v19, s19
	v_add_co_u32_e32 v18, vcc, s18, v0
	v_addc_co_u32_e32 v19, vcc, 0, v19, vcc
	v_cmp_gt_u64_e32 vcc, s[12:13], v[18:19]
	v_pk_mov_b32 v[18:19], 0, 0
	v_pk_mov_b32 v[22:23], v[18:19], v[18:19] op_sel:[0,1]
	s_and_saveexec_b64 s[2:3], vcc
	s_cbranch_execz .LBB139_6
; %bb.5:                                ;   in Loop: Header=BB139_4 Depth=1
	v_mov_b32_e32 v21, s11
	v_add_co_u32_e64 v20, s[0:1], s10, v2
	v_addc_co_u32_e64 v21, s[0:1], v1, v21, s[0:1]
	global_load_dwordx2 v[22:23], v[20:21], off
.LBB139_6:                              ;   in Loop: Header=BB139_4 Depth=1
	s_or_b64 exec, exec, s[2:3]
	v_mov_b32_e32 v21, s19
	v_add_co_u32_e64 v20, s[0:1], s18, v29
	v_addc_co_u32_e64 v21, s[0:1], v30, v21, s[0:1]
	v_cmp_gt_u64_e64 s[0:1], s[12:13], v[20:21]
	s_and_saveexec_b64 s[6:7], s[0:1]
	s_cbranch_execz .LBB139_8
; %bb.7:                                ;   in Loop: Header=BB139_4 Depth=1
	v_mov_b32_e32 v19, s11
	v_add_co_u32_e64 v18, s[2:3], s10, v14
	v_addc_co_u32_e64 v19, s[2:3], v13, v19, s[2:3]
	global_load_dwordx2 v[18:19], v[18:19], off
.LBB139_8:                              ;   in Loop: Header=BB139_4 Depth=1
	s_or_b64 exec, exec, s[6:7]
	v_mov_b32_e32 v21, s19
	v_add_co_u32_e64 v20, s[2:3], s18, v27
	v_addc_co_u32_e64 v21, s[2:3], v28, v21, s[2:3]
	v_cmp_gt_u64_e64 s[2:3], s[12:13], v[20:21]
	v_pk_mov_b32 v[20:21], 0, 0
	v_pk_mov_b32 v[24:25], v[20:21], v[20:21] op_sel:[0,1]
	s_and_saveexec_b64 s[8:9], s[2:3]
	s_cbranch_execz .LBB139_10
; %bb.9:                                ;   in Loop: Header=BB139_4 Depth=1
	v_mov_b32_e32 v25, s11
	v_add_co_u32_e64 v24, s[6:7], s10, v10
	v_addc_co_u32_e64 v25, s[6:7], v9, v25, s[6:7]
	global_load_dwordx2 v[24:25], v[24:25], off
.LBB139_10:                             ;   in Loop: Header=BB139_4 Depth=1
	s_or_b64 exec, exec, s[8:9]
	v_mov_b32_e32 v31, s19
	v_add_co_u32_e64 v32, s[6:7], s18, v17
	v_addc_co_u32_e64 v33, s[6:7], v26, v31, s[6:7]
	v_cmp_gt_u64_e64 s[6:7], s[12:13], v[32:33]
	s_and_saveexec_b64 s[20:21], s[6:7]
	s_cbranch_execnz .LBB139_15
; %bb.11:                               ;   in Loop: Header=BB139_4 Depth=1
	s_or_b64 exec, exec, s[20:21]
	s_and_saveexec_b64 s[20:21], vcc
	s_cbranch_execnz .LBB139_16
.LBB139_12:                             ;   in Loop: Header=BB139_4 Depth=1
	s_or_b64 exec, exec, s[20:21]
	s_and_saveexec_b64 s[8:9], s[0:1]
	s_cbranch_execnz .LBB139_17
.LBB139_13:                             ;   in Loop: Header=BB139_4 Depth=1
	s_or_b64 exec, exec, s[8:9]
	s_and_saveexec_b64 s[8:9], s[2:3]
	s_cbranch_execnz .LBB139_18
.LBB139_14:                             ;   in Loop: Header=BB139_4 Depth=1
	s_or_b64 exec, exec, s[8:9]
	s_and_saveexec_b64 s[2:3], s[6:7]
	s_cbranch_execz .LBB139_3
	s_branch .LBB139_19
.LBB139_15:                             ;   in Loop: Header=BB139_4 Depth=1
	v_mov_b32_e32 v21, s11
	v_add_co_u32_e64 v20, s[8:9], s10, v6
	v_addc_co_u32_e64 v21, s[8:9], v5, v21, s[8:9]
	global_load_dwordx2 v[20:21], v[20:21], off
	s_or_b64 exec, exec, s[20:21]
	s_and_saveexec_b64 s[20:21], vcc
	s_cbranch_execz .LBB139_12
.LBB139_16:                             ;   in Loop: Header=BB139_4 Depth=1
	s_waitcnt vmcnt(0)
	v_cmp_u_f64_e32 vcc, v[22:23], v[22:23]
	v_cmp_lt_f64_e64 s[8:9], s[14:15], v[22:23]
	v_mov_b32_e32 v31, s15
	s_or_b64 vcc, vcc, s[8:9]
	v_cndmask_b32_e32 v23, v31, v23, vcc
	v_mov_b32_e32 v31, s14
	v_cndmask_b32_e32 v22, v31, v22, vcc
	v_mov_b32_e32 v31, s11
	v_add_co_u32_e32 v32, vcc, s10, v4
	v_addc_co_u32_e32 v33, vcc, v3, v31, vcc
	global_store_dwordx2 v[32:33], v[22:23], off
	s_or_b64 exec, exec, s[20:21]
	s_and_saveexec_b64 s[8:9], s[0:1]
	s_cbranch_execz .LBB139_13
.LBB139_17:                             ;   in Loop: Header=BB139_4 Depth=1
	s_waitcnt vmcnt(0)
	v_cmp_u_f64_e32 vcc, v[18:19], v[18:19]
	v_cmp_lt_f64_e64 s[0:1], s[14:15], v[18:19]
	v_mov_b32_e32 v22, s15
	s_or_b64 vcc, vcc, s[0:1]
	v_cndmask_b32_e32 v19, v22, v19, vcc
	v_mov_b32_e32 v22, s14
	v_cndmask_b32_e32 v18, v22, v18, vcc
	v_mov_b32_e32 v23, s11
	v_add_co_u32_e32 v22, vcc, s10, v16
	v_addc_co_u32_e32 v23, vcc, v15, v23, vcc
	global_store_dwordx2 v[22:23], v[18:19], off
	s_or_b64 exec, exec, s[8:9]
	s_and_saveexec_b64 s[8:9], s[2:3]
	s_cbranch_execz .LBB139_14
.LBB139_18:                             ;   in Loop: Header=BB139_4 Depth=1
	s_waitcnt vmcnt(0)
	v_cmp_u_f64_e32 vcc, v[24:25], v[24:25]
	v_cmp_lt_f64_e64 s[0:1], s[14:15], v[24:25]
	v_mov_b32_e32 v18, s15
	s_or_b64 vcc, vcc, s[0:1]
	v_cndmask_b32_e32 v19, v18, v25, vcc
	v_mov_b32_e32 v18, s14
	v_cndmask_b32_e32 v18, v18, v24, vcc
	v_mov_b32_e32 v23, s11
	v_add_co_u32_e32 v22, vcc, s10, v12
	v_addc_co_u32_e32 v23, vcc, v11, v23, vcc
	global_store_dwordx2 v[22:23], v[18:19], off
	s_or_b64 exec, exec, s[8:9]
	s_and_saveexec_b64 s[2:3], s[6:7]
	s_cbranch_execz .LBB139_3
.LBB139_19:                             ;   in Loop: Header=BB139_4 Depth=1
	s_waitcnt vmcnt(0)
	v_cmp_u_f64_e32 vcc, v[20:21], v[20:21]
	v_cmp_lt_f64_e64 s[0:1], s[14:15], v[20:21]
	v_mov_b32_e32 v18, s15
	s_or_b64 vcc, vcc, s[0:1]
	v_cndmask_b32_e32 v19, v18, v21, vcc
	v_mov_b32_e32 v18, s14
	v_cndmask_b32_e32 v18, v18, v20, vcc
	v_mov_b32_e32 v21, s11
	v_add_co_u32_e32 v20, vcc, s10, v8
	v_addc_co_u32_e32 v21, vcc, v7, v21, vcc
	global_store_dwordx2 v[20:21], v[18:19], off
	s_branch .LBB139_3
.LBB139_20:
	s_mov_b64 s[6:7], 0
.LBB139_21:
	s_andn2_b64 vcc, exec, s[6:7]
	s_cbranch_vccnz .LBB139_25
; %bb.22:
	v_mov_b32_e32 v3, 0
	v_lshlrev_b32_e32 v2, 2, v0
	s_mov_b32 s0, 0
	v_cmp_gt_i64_e32 vcc, s[16:17], v[2:3]
	s_and_saveexec_b64 s[2:3], vcc
	s_cbranch_execz .LBB139_25
; %bb.23:
	s_load_dword s1, s[4:5], 0xc64
	v_lshlrev_b32_e32 v4, 5, v0
	s_mov_b64 s[18:19], 0
	v_mov_b32_e32 v1, s14
	s_mov_b64 s[20:21], 0xffff
	s_waitcnt lgkmcnt(0)
	s_and_b32 s1, s1, 0xffff
	v_add_lshl_u32 v2, v0, s1, 2
	s_lshl_b32 s26, s1, 2
	s_lshl_b32 s27, s1, 5
	v_mov_b32_e32 v0, s15
	v_mov_b32_e32 v5, s0
.LBB139_24:                             ; =>This Inner Loop Header: Depth=1
	v_mov_b32_e32 v6, s23
	v_add_co_u32_e32 v14, vcc, s22, v4
	v_addc_co_u32_e32 v15, vcc, 0, v6, vcc
	global_load_dwordx4 v[6:9], v[14:15], off
	global_load_dwordx4 v[10:13], v[14:15], off offset:16
	v_cmp_le_i64_e32 vcc, s[16:17], v[2:3]
	v_cmp_lt_u64_e64 s[0:1], s[20:21], v[2:3]
	v_add_co_u32_e64 v2, s[2:3], s26, v2
	v_addc_co_u32_e64 v3, s[2:3], v3, v5, s[2:3]
	v_mov_b32_e32 v15, s25
	v_add_co_u32_e64 v14, s[2:3], s24, v4
	v_addc_co_u32_e64 v15, s[2:3], 0, v15, s[2:3]
	s_or_b64 s[28:29], vcc, s[0:1]
	s_waitcnt vmcnt(1)
	v_cmp_u_f64_e32 vcc, v[6:7], v[6:7]
	v_cmp_lt_f64_e64 s[0:1], s[14:15], v[6:7]
	v_cmp_u_f64_e64 s[2:3], v[8:9], v[8:9]
	v_cmp_lt_f64_e64 s[4:5], s[14:15], v[8:9]
	s_waitcnt vmcnt(0)
	v_cmp_u_f64_e64 s[6:7], v[10:11], v[10:11]
	v_cmp_lt_f64_e64 s[8:9], s[14:15], v[10:11]
	v_cmp_u_f64_e64 s[10:11], v[12:13], v[12:13]
	v_cmp_lt_f64_e64 s[12:13], s[14:15], v[12:13]
	s_or_b64 vcc, vcc, s[0:1]
	s_or_b64 s[0:1], s[2:3], s[4:5]
	s_or_b64 s[2:3], s[6:7], s[8:9]
	s_or_b64 s[4:5], s[10:11], s[12:13]
	s_add_u32 s22, s22, s27
	s_addc_u32 s23, s23, 0
	s_add_u32 s24, s24, s27
	s_addc_u32 s25, s25, 0
	v_cndmask_b32_e64 v9, v0, v9, s[0:1]
	v_cndmask_b32_e64 v8, v1, v8, s[0:1]
	s_and_b64 s[0:1], exec, s[28:29]
	v_cndmask_b32_e32 v7, v0, v7, vcc
	v_cndmask_b32_e64 v11, v0, v11, s[2:3]
	v_cndmask_b32_e64 v13, v0, v13, s[4:5]
	v_cndmask_b32_e32 v6, v1, v6, vcc
	v_cndmask_b32_e64 v10, v1, v10, s[2:3]
	v_cndmask_b32_e64 v12, v1, v12, s[4:5]
	s_or_b64 s[18:19], s[0:1], s[18:19]
	global_store_dwordx4 v[14:15], v[6:9], off
	global_store_dwordx4 v[14:15], v[10:13], off offset:16
	s_andn2_b64 exec, exec, s[18:19]
	s_cbranch_execnz .LBB139_24
.LBB139_25:
	s_endpgm
	.section	.rodata,"a",@progbits
	.p2align	6, 0x0
	.amdhsa_kernel _ZN2at6native12_GLOBAL__N_125multi_tensor_apply_kernelINS1_18TensorListMetadataILi2EEENS1_21BinaryOpScalarFunctorIdLi2ELi1ELi1EEEJNS0_7maximumIdEEdEEEvT_T0_DpT1_
		.amdhsa_group_segment_fixed_size 0
		.amdhsa_private_segment_fixed_size 0
		.amdhsa_kernarg_size 3416
		.amdhsa_user_sgpr_count 6
		.amdhsa_user_sgpr_private_segment_buffer 1
		.amdhsa_user_sgpr_dispatch_ptr 0
		.amdhsa_user_sgpr_queue_ptr 0
		.amdhsa_user_sgpr_kernarg_segment_ptr 1
		.amdhsa_user_sgpr_dispatch_id 0
		.amdhsa_user_sgpr_flat_scratch_init 0
		.amdhsa_user_sgpr_kernarg_preload_length 0
		.amdhsa_user_sgpr_kernarg_preload_offset 0
		.amdhsa_user_sgpr_private_segment_size 0
		.amdhsa_uses_dynamic_stack 0
		.amdhsa_system_sgpr_private_segment_wavefront_offset 0
		.amdhsa_system_sgpr_workgroup_id_x 1
		.amdhsa_system_sgpr_workgroup_id_y 0
		.amdhsa_system_sgpr_workgroup_id_z 0
		.amdhsa_system_sgpr_workgroup_info 0
		.amdhsa_system_vgpr_workitem_id 0
		.amdhsa_next_free_vgpr 34
		.amdhsa_next_free_sgpr 30
		.amdhsa_accum_offset 36
		.amdhsa_reserve_vcc 1
		.amdhsa_reserve_flat_scratch 0
		.amdhsa_float_round_mode_32 0
		.amdhsa_float_round_mode_16_64 0
		.amdhsa_float_denorm_mode_32 3
		.amdhsa_float_denorm_mode_16_64 3
		.amdhsa_dx10_clamp 1
		.amdhsa_ieee_mode 1
		.amdhsa_fp16_overflow 0
		.amdhsa_tg_split 0
		.amdhsa_exception_fp_ieee_invalid_op 0
		.amdhsa_exception_fp_denorm_src 0
		.amdhsa_exception_fp_ieee_div_zero 0
		.amdhsa_exception_fp_ieee_overflow 0
		.amdhsa_exception_fp_ieee_underflow 0
		.amdhsa_exception_fp_ieee_inexact 0
		.amdhsa_exception_int_div_zero 0
	.end_amdhsa_kernel
	.section	.text._ZN2at6native12_GLOBAL__N_125multi_tensor_apply_kernelINS1_18TensorListMetadataILi2EEENS1_21BinaryOpScalarFunctorIdLi2ELi1ELi1EEEJNS0_7maximumIdEEdEEEvT_T0_DpT1_,"axG",@progbits,_ZN2at6native12_GLOBAL__N_125multi_tensor_apply_kernelINS1_18TensorListMetadataILi2EEENS1_21BinaryOpScalarFunctorIdLi2ELi1ELi1EEEJNS0_7maximumIdEEdEEEvT_T0_DpT1_,comdat
.Lfunc_end139:
	.size	_ZN2at6native12_GLOBAL__N_125multi_tensor_apply_kernelINS1_18TensorListMetadataILi2EEENS1_21BinaryOpScalarFunctorIdLi2ELi1ELi1EEEJNS0_7maximumIdEEdEEEvT_T0_DpT1_, .Lfunc_end139-_ZN2at6native12_GLOBAL__N_125multi_tensor_apply_kernelINS1_18TensorListMetadataILi2EEENS1_21BinaryOpScalarFunctorIdLi2ELi1ELi1EEEJNS0_7maximumIdEEdEEEvT_T0_DpT1_
                                        ; -- End function
	.section	.AMDGPU.csdata,"",@progbits
; Kernel info:
; codeLenInByte = 1532
; NumSgprs: 34
; NumVgprs: 34
; NumAgprs: 0
; TotalNumVgprs: 34
; ScratchSize: 0
; MemoryBound: 0
; FloatMode: 240
; IeeeMode: 1
; LDSByteSize: 0 bytes/workgroup (compile time only)
; SGPRBlocks: 4
; VGPRBlocks: 4
; NumSGPRsForWavesPerEU: 34
; NumVGPRsForWavesPerEU: 34
; AccumOffset: 36
; Occupancy: 8
; WaveLimiterHint : 0
; COMPUTE_PGM_RSRC2:SCRATCH_EN: 0
; COMPUTE_PGM_RSRC2:USER_SGPR: 6
; COMPUTE_PGM_RSRC2:TRAP_HANDLER: 0
; COMPUTE_PGM_RSRC2:TGID_X_EN: 1
; COMPUTE_PGM_RSRC2:TGID_Y_EN: 0
; COMPUTE_PGM_RSRC2:TGID_Z_EN: 0
; COMPUTE_PGM_RSRC2:TIDIG_COMP_CNT: 0
; COMPUTE_PGM_RSRC3_GFX90A:ACCUM_OFFSET: 8
; COMPUTE_PGM_RSRC3_GFX90A:TG_SPLIT: 0
	.section	.text._ZN2at6native12_GLOBAL__N_125multi_tensor_apply_kernelINS1_18TensorListMetadataILi2EEENS1_21BinaryOpScalarFunctorIfLi2ELi1ELi1EEEJNS0_7maximumIfEEfEEEvT_T0_DpT1_,"axG",@progbits,_ZN2at6native12_GLOBAL__N_125multi_tensor_apply_kernelINS1_18TensorListMetadataILi2EEENS1_21BinaryOpScalarFunctorIfLi2ELi1ELi1EEEJNS0_7maximumIfEEfEEEvT_T0_DpT1_,comdat
	.globl	_ZN2at6native12_GLOBAL__N_125multi_tensor_apply_kernelINS1_18TensorListMetadataILi2EEENS1_21BinaryOpScalarFunctorIfLi2ELi1ELi1EEEJNS0_7maximumIfEEfEEEvT_T0_DpT1_ ; -- Begin function _ZN2at6native12_GLOBAL__N_125multi_tensor_apply_kernelINS1_18TensorListMetadataILi2EEENS1_21BinaryOpScalarFunctorIfLi2ELi1ELi1EEEJNS0_7maximumIfEEfEEEvT_T0_DpT1_
	.p2align	8
	.type	_ZN2at6native12_GLOBAL__N_125multi_tensor_apply_kernelINS1_18TensorListMetadataILi2EEENS1_21BinaryOpScalarFunctorIfLi2ELi1ELi1EEEJNS0_7maximumIfEEfEEEvT_T0_DpT1_,@function
_ZN2at6native12_GLOBAL__N_125multi_tensor_apply_kernelINS1_18TensorListMetadataILi2EEENS1_21BinaryOpScalarFunctorIfLi2ELi1ELi1EEEJNS0_7maximumIfEEfEEEvT_T0_DpT1_: ; @_ZN2at6native12_GLOBAL__N_125multi_tensor_apply_kernelINS1_18TensorListMetadataILi2EEENS1_21BinaryOpScalarFunctorIfLi2ELi1ELi1EEEJNS0_7maximumIfEEfEEEvT_T0_DpT1_
; %bb.0:
	v_mov_b32_e32 v1, s6
	global_load_ubyte v1, v1, s[4:5] offset:1536
	s_add_u32 s0, s4, s6
	s_mul_hi_u32 s2, s6, 3
	s_mul_i32 s6, s6, 3
	s_addc_u32 s7, s5, 0
	s_add_u32 s6, s0, s6
	s_addc_u32 s7, s7, s2
	s_load_dword s6, s[6:7], 0x740
	s_mov_b32 s1, 0
	s_mov_b32 s13, s1
	;; [unrolled: 1-line block ×3, first 2 shown]
	s_waitcnt lgkmcnt(0)
	s_ashr_i32 s7, s6, 31
	s_lshl_b64 s[10:11], s[6:7], 18
	s_waitcnt vmcnt(0)
	v_readfirstlane_b32 s0, v1
	s_lshl_b32 s0, s0, 3
	s_load_dwordx2 s[14:15], s[4:5], s0 offset:0x0
	s_load_dword s24, s[4:5], 0xc4c
	s_load_dwordx2 s[8:9], s[4:5], s0 offset:0x400
	s_load_dwordx2 s[16:17], s[4:5], s0 offset:0x200
	s_waitcnt lgkmcnt(0)
	s_and_b32 s0, s14, 15
	s_and_b32 s12, s8, 3
	;; [unrolled: 1-line block ×3, first 2 shown]
	s_or_b64 s[0:1], s[0:1], s[12:13]
	s_or_b64 s[0:1], s[2:3], s[0:1]
	s_lshl_b64 s[2:3], s[6:7], 16
	s_sub_u32 s18, s8, s2
	s_subb_u32 s19, s9, s3
	s_cmp_eq_u64 s[0:1], 0
	s_mov_b64 s[0:1], -1
	s_cbranch_scc1 .LBB140_21
; %bb.1:
	v_cmp_lt_i64_e64 s[0:1], s[18:19], 1
	s_and_b64 vcc, exec, s[0:1]
	s_cbranch_vccnz .LBB140_20
; %bb.2:
	s_load_dword s0, s[4:5], 0xc5c
	v_mov_b32_e32 v2, 0x10000
	v_mov_b32_e32 v3, 0
	v_cmp_lt_u64_e32 vcc, s[18:19], v[2:3]
	v_lshlrev_b32_e32 v10, 2, v0
	s_waitcnt lgkmcnt(0)
	s_and_b32 s2, s0, 0xffff
	s_and_b64 s[0:1], vcc, exec
	v_mov_b32_e32 v13, s15
	v_add_co_u32_e32 v2, vcc, s14, v10
	v_addc_co_u32_e32 v1, vcc, 0, v13, vcc
	v_mov_b32_e32 v11, 0
	v_mov_b32_e32 v15, s17
	v_add_co_u32_e32 v4, vcc, s16, v10
	v_addc_co_u32_e32 v3, vcc, 0, v15, vcc
	v_mad_u64_u32 v[8:9], s[0:1], s2, 12, v[10:11]
	v_add_co_u32_e32 v6, vcc, s14, v8
	v_addc_co_u32_e32 v5, vcc, v13, v9, vcc
	v_add_co_u32_e32 v8, vcc, s16, v8
	s_mul_i32 s6, s2, 3
	v_addc_co_u32_e32 v7, vcc, v15, v9, vcc
	v_add_co_u32_e32 v17, vcc, s6, v0
	v_addc_co_u32_e64 v18, s[0:1], 0, 0, vcc
	s_cselect_b32 s13, s19, 0
	s_cselect_b32 s12, s18, 0x10000
	s_lshl_b32 s0, s2, 3
	v_add_co_u32_e32 v11, vcc, s0, v10
	v_addc_co_u32_e64 v14, s[0:1], 0, 0, vcc
	v_add_co_u32_e32 v10, vcc, s14, v11
	v_addc_co_u32_e32 v9, vcc, v13, v14, vcc
	v_add_co_u32_e32 v12, vcc, s16, v11
	s_lshl_b32 s3, s2, 1
	v_addc_co_u32_e32 v11, vcc, v15, v14, vcc
	v_add_co_u32_e32 v19, vcc, s3, v0
	v_addc_co_u32_e64 v20, s[0:1], 0, 0, vcc
	v_add_co_u32_e32 v21, vcc, s2, v0
	v_lshlrev_b32_e32 v16, 2, v21
	v_addc_co_u32_e64 v22, s[0:1], 0, 0, vcc
	v_add_co_u32_e32 v14, vcc, s14, v16
	v_addc_co_u32_e32 v13, vcc, 0, v13, vcc
	v_add_co_u32_e32 v16, vcc, s16, v16
	s_mov_b32 s25, 0
	s_lshl_b32 s26, s2, 2
	s_lshl_b32 s27, s2, 4
	v_addc_co_u32_e32 v15, vcc, 0, v15, vcc
	s_mov_b64 s[20:21], 0
	s_branch .LBB140_4
.LBB140_3:                              ;   in Loop: Header=BB140_4 Depth=1
	s_or_b64 exec, exec, s[2:3]
	s_add_u32 s20, s20, s26
	s_addc_u32 s21, s21, 0
	s_waitcnt vmcnt(0)
	v_pk_mov_b32 v[24:25], s[18:19], s[18:19] op_sel:[0,1]
	v_cmp_lt_i64_e32 vcc, s[20:21], v[24:25]
	v_mov_b32_e32 v24, 0x10000
	v_mov_b32_e32 v25, 0
	v_cmp_lt_u64_e64 s[0:1], s[20:21], v[24:25]
	s_and_b64 s[0:1], vcc, s[0:1]
	v_mov_b32_e32 v23, s25
	v_add_co_u32_e32 v2, vcc, s27, v2
	v_addc_co_u32_e32 v1, vcc, v1, v23, vcc
	v_add_co_u32_e32 v4, vcc, s27, v4
	v_addc_co_u32_e32 v3, vcc, v3, v23, vcc
	;; [unrolled: 2-line block ×8, first 2 shown]
	s_and_b64 vcc, exec, s[0:1]
	s_cbranch_vccz .LBB140_20
.LBB140_4:                              ; =>This Inner Loop Header: Depth=1
	v_mov_b32_e32 v23, s21
	v_add_co_u32_e32 v24, vcc, s20, v0
	v_addc_co_u32_e32 v25, vcc, 0, v23, vcc
	v_cmp_gt_u64_e32 vcc, s[12:13], v[24:25]
	v_mov_b32_e32 v24, 0
	s_and_saveexec_b64 s[2:3], vcc
	s_cbranch_execz .LBB140_6
; %bb.5:                                ;   in Loop: Header=BB140_4 Depth=1
	v_mov_b32_e32 v23, s11
	v_add_co_u32_e64 v24, s[0:1], s10, v2
	v_addc_co_u32_e64 v25, s[0:1], v1, v23, s[0:1]
	global_load_dword v24, v[24:25], off
.LBB140_6:                              ;   in Loop: Header=BB140_4 Depth=1
	s_or_b64 exec, exec, s[2:3]
	v_mov_b32_e32 v23, s21
	v_add_co_u32_e64 v26, s[0:1], s20, v21
	v_addc_co_u32_e64 v27, s[0:1], v22, v23, s[0:1]
	v_cmp_gt_u64_e64 s[0:1], s[12:13], v[26:27]
	v_mov_b32_e32 v25, 0
	s_and_saveexec_b64 s[6:7], s[0:1]
	s_cbranch_execz .LBB140_8
; %bb.7:                                ;   in Loop: Header=BB140_4 Depth=1
	v_mov_b32_e32 v23, s11
	v_add_co_u32_e64 v26, s[2:3], s10, v14
	v_addc_co_u32_e64 v27, s[2:3], v13, v23, s[2:3]
	global_load_dword v25, v[26:27], off
.LBB140_8:                              ;   in Loop: Header=BB140_4 Depth=1
	s_or_b64 exec, exec, s[6:7]
	v_mov_b32_e32 v23, s21
	v_add_co_u32_e64 v26, s[2:3], s20, v19
	v_addc_co_u32_e64 v27, s[2:3], v20, v23, s[2:3]
	v_cmp_gt_u64_e64 s[2:3], s[12:13], v[26:27]
	v_mov_b32_e32 v23, 0
	v_mov_b32_e32 v26, 0
	s_and_saveexec_b64 s[8:9], s[2:3]
	s_cbranch_execz .LBB140_10
; %bb.9:                                ;   in Loop: Header=BB140_4 Depth=1
	v_mov_b32_e32 v27, s11
	v_add_co_u32_e64 v26, s[6:7], s10, v10
	v_addc_co_u32_e64 v27, s[6:7], v9, v27, s[6:7]
	global_load_dword v26, v[26:27], off
.LBB140_10:                             ;   in Loop: Header=BB140_4 Depth=1
	s_or_b64 exec, exec, s[8:9]
	v_mov_b32_e32 v27, s21
	v_add_co_u32_e64 v28, s[6:7], s20, v17
	v_addc_co_u32_e64 v29, s[6:7], v18, v27, s[6:7]
	v_cmp_gt_u64_e64 s[6:7], s[12:13], v[28:29]
	s_and_saveexec_b64 s[22:23], s[6:7]
	s_cbranch_execnz .LBB140_15
; %bb.11:                               ;   in Loop: Header=BB140_4 Depth=1
	s_or_b64 exec, exec, s[22:23]
	s_and_saveexec_b64 s[22:23], vcc
	s_cbranch_execnz .LBB140_16
.LBB140_12:                             ;   in Loop: Header=BB140_4 Depth=1
	s_or_b64 exec, exec, s[22:23]
	s_and_saveexec_b64 s[8:9], s[0:1]
	s_cbranch_execnz .LBB140_17
.LBB140_13:                             ;   in Loop: Header=BB140_4 Depth=1
	s_or_b64 exec, exec, s[8:9]
	s_and_saveexec_b64 s[8:9], s[2:3]
	s_cbranch_execnz .LBB140_18
.LBB140_14:                             ;   in Loop: Header=BB140_4 Depth=1
	s_or_b64 exec, exec, s[8:9]
	s_and_saveexec_b64 s[2:3], s[6:7]
	s_cbranch_execz .LBB140_3
	s_branch .LBB140_19
.LBB140_15:                             ;   in Loop: Header=BB140_4 Depth=1
	v_mov_b32_e32 v23, s11
	v_add_co_u32_e64 v28, s[8:9], s10, v6
	v_addc_co_u32_e64 v29, s[8:9], v5, v23, s[8:9]
	global_load_dword v23, v[28:29], off
	s_or_b64 exec, exec, s[22:23]
	s_and_saveexec_b64 s[22:23], vcc
	s_cbranch_execz .LBB140_12
.LBB140_16:                             ;   in Loop: Header=BB140_4 Depth=1
	s_waitcnt vmcnt(0)
	v_cmp_u_f32_e32 vcc, v24, v24
	v_cmp_lt_f32_e64 s[8:9], s24, v24
	v_mov_b32_e32 v27, s24
	s_or_b64 vcc, vcc, s[8:9]
	v_cndmask_b32_e32 v24, v27, v24, vcc
	v_mov_b32_e32 v27, s11
	v_add_co_u32_e32 v28, vcc, s10, v4
	v_addc_co_u32_e32 v29, vcc, v3, v27, vcc
	global_store_dword v[28:29], v24, off
	s_or_b64 exec, exec, s[22:23]
	s_and_saveexec_b64 s[8:9], s[0:1]
	s_cbranch_execz .LBB140_13
.LBB140_17:                             ;   in Loop: Header=BB140_4 Depth=1
	s_waitcnt vmcnt(0)
	v_cmp_u_f32_e32 vcc, v25, v25
	v_cmp_lt_f32_e64 s[0:1], s24, v25
	v_mov_b32_e32 v24, s24
	s_or_b64 vcc, vcc, s[0:1]
	v_cndmask_b32_e32 v27, v24, v25, vcc
	v_mov_b32_e32 v25, s11
	v_add_co_u32_e32 v24, vcc, s10, v16
	v_addc_co_u32_e32 v25, vcc, v15, v25, vcc
	global_store_dword v[24:25], v27, off
	s_or_b64 exec, exec, s[8:9]
	s_and_saveexec_b64 s[8:9], s[2:3]
	s_cbranch_execz .LBB140_14
.LBB140_18:                             ;   in Loop: Header=BB140_4 Depth=1
	s_waitcnt vmcnt(0)
	v_cmp_u_f32_e32 vcc, v26, v26
	v_cmp_lt_f32_e64 s[0:1], s24, v26
	v_mov_b32_e32 v24, s24
	s_or_b64 vcc, vcc, s[0:1]
	v_cndmask_b32_e32 v26, v24, v26, vcc
	v_mov_b32_e32 v25, s11
	v_add_co_u32_e32 v24, vcc, s10, v12
	v_addc_co_u32_e32 v25, vcc, v11, v25, vcc
	global_store_dword v[24:25], v26, off
	s_or_b64 exec, exec, s[8:9]
	s_and_saveexec_b64 s[2:3], s[6:7]
	s_cbranch_execz .LBB140_3
.LBB140_19:                             ;   in Loop: Header=BB140_4 Depth=1
	s_waitcnt vmcnt(0)
	v_cmp_u_f32_e32 vcc, v23, v23
	v_cmp_lt_f32_e64 s[0:1], s24, v23
	v_mov_b32_e32 v24, s24
	s_or_b64 vcc, vcc, s[0:1]
	v_cndmask_b32_e32 v23, v24, v23, vcc
	v_mov_b32_e32 v25, s11
	v_add_co_u32_e32 v24, vcc, s10, v8
	v_addc_co_u32_e32 v25, vcc, v7, v25, vcc
	global_store_dword v[24:25], v23, off
	s_branch .LBB140_3
.LBB140_20:
	s_mov_b64 s[0:1], 0
.LBB140_21:
	s_andn2_b64 vcc, exec, s[0:1]
	s_cbranch_vccnz .LBB140_25
; %bb.22:
	v_mov_b32_e32 v3, 0
	v_lshlrev_b32_e32 v2, 2, v0
	s_mov_b32 s0, 0
	v_cmp_gt_i64_e32 vcc, s[18:19], v[2:3]
	s_and_saveexec_b64 s[2:3], vcc
	s_cbranch_execz .LBB140_25
; %bb.23:
	s_load_dword s1, s[4:5], 0xc5c
	v_lshlrev_b32_e32 v1, 4, v0
	v_mov_b32_e32 v4, s11
	s_mov_b32 s25, s24
	s_mov_b64 s[20:21], 0
	s_waitcnt lgkmcnt(0)
	s_and_b32 s1, s1, 0xffff
	v_add_lshl_u32 v2, v0, s1, 2
	v_add_co_u32_e32 v0, vcc, s10, v1
	v_addc_co_u32_e32 v1, vcc, 0, v4, vcc
	v_add_co_u32_e32 v0, vcc, 8, v0
	s_lshl_b32 s26, s1, 2
	v_addc_co_u32_e32 v1, vcc, 0, v1, vcc
	s_lshl_b32 s27, s1, 4
	v_mov_b32_e32 v4, s15
	v_mov_b32_e32 v5, s17
	v_mov_b32_e32 v6, s24
	v_mov_b32_e32 v7, s24
	s_mov_b64 s[22:23], 0xffff
	v_mov_b32_e32 v8, s0
	v_mov_b32_e32 v9, s0
.LBB140_24:                             ; =>This Inner Loop Header: Depth=1
	v_add_co_u32_e32 v10, vcc, s14, v0
	v_addc_co_u32_e32 v11, vcc, v4, v1, vcc
	global_load_dwordx4 v[10:13], v[10:11], off offset:-8
	v_add_co_u32_e32 v14, vcc, s16, v0
	v_addc_co_u32_e32 v15, vcc, v5, v1, vcc
	v_cmp_le_i64_e32 vcc, s[18:19], v[2:3]
	v_cmp_lt_u64_e64 s[0:1], s[22:23], v[2:3]
	v_add_co_u32_e64 v2, s[2:3], s26, v2
	v_addc_co_u32_e64 v3, s[2:3], v3, v8, s[2:3]
	v_add_co_u32_e64 v0, s[2:3], s27, v0
	v_addc_co_u32_e64 v1, s[2:3], v1, v9, s[2:3]
	s_or_b64 s[28:29], vcc, s[0:1]
	s_waitcnt vmcnt(0)
	v_cmp_u_f32_e32 vcc, v11, v11
	v_cmp_lt_f32_e64 s[2:3], s25, v11
	v_cmp_u_f32_e64 s[0:1], v10, v10
	v_cmp_lt_f32_e64 s[4:5], s24, v10
	s_or_b64 vcc, vcc, s[2:3]
	v_cmp_u_f32_e64 s[6:7], v13, v13
	v_cmp_lt_f32_e64 s[10:11], s25, v13
	v_cndmask_b32_e32 v11, v6, v11, vcc
	s_or_b64 vcc, s[0:1], s[4:5]
	v_cmp_u_f32_e64 s[8:9], v12, v12
	v_cmp_lt_f32_e64 s[12:13], s24, v12
	v_cndmask_b32_e32 v10, v7, v10, vcc
	s_or_b64 vcc, s[6:7], s[10:11]
	v_cndmask_b32_e32 v13, v6, v13, vcc
	s_or_b64 vcc, s[8:9], s[12:13]
	s_and_b64 s[0:1], exec, s[28:29]
	v_cndmask_b32_e32 v12, v7, v12, vcc
	s_or_b64 s[20:21], s[0:1], s[20:21]
	global_store_dwordx4 v[14:15], v[10:13], off offset:-8
	s_andn2_b64 exec, exec, s[20:21]
	s_cbranch_execnz .LBB140_24
.LBB140_25:
	s_endpgm
	.section	.rodata,"a",@progbits
	.p2align	6, 0x0
	.amdhsa_kernel _ZN2at6native12_GLOBAL__N_125multi_tensor_apply_kernelINS1_18TensorListMetadataILi2EEENS1_21BinaryOpScalarFunctorIfLi2ELi1ELi1EEEJNS0_7maximumIfEEfEEEvT_T0_DpT1_
		.amdhsa_group_segment_fixed_size 0
		.amdhsa_private_segment_fixed_size 0
		.amdhsa_kernarg_size 3408
		.amdhsa_user_sgpr_count 6
		.amdhsa_user_sgpr_private_segment_buffer 1
		.amdhsa_user_sgpr_dispatch_ptr 0
		.amdhsa_user_sgpr_queue_ptr 0
		.amdhsa_user_sgpr_kernarg_segment_ptr 1
		.amdhsa_user_sgpr_dispatch_id 0
		.amdhsa_user_sgpr_flat_scratch_init 0
		.amdhsa_user_sgpr_kernarg_preload_length 0
		.amdhsa_user_sgpr_kernarg_preload_offset 0
		.amdhsa_user_sgpr_private_segment_size 0
		.amdhsa_uses_dynamic_stack 0
		.amdhsa_system_sgpr_private_segment_wavefront_offset 0
		.amdhsa_system_sgpr_workgroup_id_x 1
		.amdhsa_system_sgpr_workgroup_id_y 0
		.amdhsa_system_sgpr_workgroup_id_z 0
		.amdhsa_system_sgpr_workgroup_info 0
		.amdhsa_system_vgpr_workitem_id 0
		.amdhsa_next_free_vgpr 30
		.amdhsa_next_free_sgpr 30
		.amdhsa_accum_offset 32
		.amdhsa_reserve_vcc 1
		.amdhsa_reserve_flat_scratch 0
		.amdhsa_float_round_mode_32 0
		.amdhsa_float_round_mode_16_64 0
		.amdhsa_float_denorm_mode_32 3
		.amdhsa_float_denorm_mode_16_64 3
		.amdhsa_dx10_clamp 1
		.amdhsa_ieee_mode 1
		.amdhsa_fp16_overflow 0
		.amdhsa_tg_split 0
		.amdhsa_exception_fp_ieee_invalid_op 0
		.amdhsa_exception_fp_denorm_src 0
		.amdhsa_exception_fp_ieee_div_zero 0
		.amdhsa_exception_fp_ieee_overflow 0
		.amdhsa_exception_fp_ieee_underflow 0
		.amdhsa_exception_fp_ieee_inexact 0
		.amdhsa_exception_int_div_zero 0
	.end_amdhsa_kernel
	.section	.text._ZN2at6native12_GLOBAL__N_125multi_tensor_apply_kernelINS1_18TensorListMetadataILi2EEENS1_21BinaryOpScalarFunctorIfLi2ELi1ELi1EEEJNS0_7maximumIfEEfEEEvT_T0_DpT1_,"axG",@progbits,_ZN2at6native12_GLOBAL__N_125multi_tensor_apply_kernelINS1_18TensorListMetadataILi2EEENS1_21BinaryOpScalarFunctorIfLi2ELi1ELi1EEEJNS0_7maximumIfEEfEEEvT_T0_DpT1_,comdat
.Lfunc_end140:
	.size	_ZN2at6native12_GLOBAL__N_125multi_tensor_apply_kernelINS1_18TensorListMetadataILi2EEENS1_21BinaryOpScalarFunctorIfLi2ELi1ELi1EEEJNS0_7maximumIfEEfEEEvT_T0_DpT1_, .Lfunc_end140-_ZN2at6native12_GLOBAL__N_125multi_tensor_apply_kernelINS1_18TensorListMetadataILi2EEENS1_21BinaryOpScalarFunctorIfLi2ELi1ELi1EEEJNS0_7maximumIfEEfEEEvT_T0_DpT1_
                                        ; -- End function
	.section	.AMDGPU.csdata,"",@progbits
; Kernel info:
; codeLenInByte = 1428
; NumSgprs: 34
; NumVgprs: 30
; NumAgprs: 0
; TotalNumVgprs: 30
; ScratchSize: 0
; MemoryBound: 0
; FloatMode: 240
; IeeeMode: 1
; LDSByteSize: 0 bytes/workgroup (compile time only)
; SGPRBlocks: 4
; VGPRBlocks: 3
; NumSGPRsForWavesPerEU: 34
; NumVGPRsForWavesPerEU: 30
; AccumOffset: 32
; Occupancy: 8
; WaveLimiterHint : 0
; COMPUTE_PGM_RSRC2:SCRATCH_EN: 0
; COMPUTE_PGM_RSRC2:USER_SGPR: 6
; COMPUTE_PGM_RSRC2:TRAP_HANDLER: 0
; COMPUTE_PGM_RSRC2:TGID_X_EN: 1
; COMPUTE_PGM_RSRC2:TGID_Y_EN: 0
; COMPUTE_PGM_RSRC2:TGID_Z_EN: 0
; COMPUTE_PGM_RSRC2:TIDIG_COMP_CNT: 0
; COMPUTE_PGM_RSRC3_GFX90A:ACCUM_OFFSET: 7
; COMPUTE_PGM_RSRC3_GFX90A:TG_SPLIT: 0
	.section	.text._ZN2at6native12_GLOBAL__N_125multi_tensor_apply_kernelINS1_18TensorListMetadataILi2EEENS1_21BinaryOpScalarFunctorIN3c104HalfELi2ELi1ELi1EEEJNS0_7maximumIfEEfEEEvT_T0_DpT1_,"axG",@progbits,_ZN2at6native12_GLOBAL__N_125multi_tensor_apply_kernelINS1_18TensorListMetadataILi2EEENS1_21BinaryOpScalarFunctorIN3c104HalfELi2ELi1ELi1EEEJNS0_7maximumIfEEfEEEvT_T0_DpT1_,comdat
	.globl	_ZN2at6native12_GLOBAL__N_125multi_tensor_apply_kernelINS1_18TensorListMetadataILi2EEENS1_21BinaryOpScalarFunctorIN3c104HalfELi2ELi1ELi1EEEJNS0_7maximumIfEEfEEEvT_T0_DpT1_ ; -- Begin function _ZN2at6native12_GLOBAL__N_125multi_tensor_apply_kernelINS1_18TensorListMetadataILi2EEENS1_21BinaryOpScalarFunctorIN3c104HalfELi2ELi1ELi1EEEJNS0_7maximumIfEEfEEEvT_T0_DpT1_
	.p2align	8
	.type	_ZN2at6native12_GLOBAL__N_125multi_tensor_apply_kernelINS1_18TensorListMetadataILi2EEENS1_21BinaryOpScalarFunctorIN3c104HalfELi2ELi1ELi1EEEJNS0_7maximumIfEEfEEEvT_T0_DpT1_,@function
_ZN2at6native12_GLOBAL__N_125multi_tensor_apply_kernelINS1_18TensorListMetadataILi2EEENS1_21BinaryOpScalarFunctorIN3c104HalfELi2ELi1ELi1EEEJNS0_7maximumIfEEfEEEvT_T0_DpT1_: ; @_ZN2at6native12_GLOBAL__N_125multi_tensor_apply_kernelINS1_18TensorListMetadataILi2EEENS1_21BinaryOpScalarFunctorIN3c104HalfELi2ELi1ELi1EEEJNS0_7maximumIfEEfEEEvT_T0_DpT1_
; %bb.0:
	v_mov_b32_e32 v1, s6
	global_load_ubyte v1, v1, s[4:5] offset:1536
	s_add_u32 s0, s4, s6
	s_mul_hi_u32 s2, s6, 3
	s_mul_i32 s6, s6, 3
	s_addc_u32 s7, s5, 0
	s_add_u32 s6, s0, s6
	s_addc_u32 s7, s7, s2
	s_load_dword s6, s[6:7], 0x740
	s_mov_b32 s1, 0
	s_mov_b32 s13, s1
	;; [unrolled: 1-line block ×3, first 2 shown]
	s_waitcnt lgkmcnt(0)
	s_ashr_i32 s7, s6, 31
	s_lshl_b64 s[10:11], s[6:7], 17
	s_waitcnt vmcnt(0)
	v_readfirstlane_b32 s0, v1
	s_lshl_b32 s0, s0, 3
	s_load_dwordx2 s[14:15], s[4:5], s0 offset:0x0
	s_load_dword s24, s[4:5], 0xc4c
	s_load_dwordx2 s[8:9], s[4:5], s0 offset:0x400
	s_load_dwordx2 s[16:17], s[4:5], s0 offset:0x200
	s_waitcnt lgkmcnt(0)
	s_and_b32 s0, s14, 7
	s_and_b32 s12, s8, 3
	;; [unrolled: 1-line block ×3, first 2 shown]
	s_or_b64 s[0:1], s[0:1], s[12:13]
	s_or_b64 s[0:1], s[2:3], s[0:1]
	s_lshl_b64 s[2:3], s[6:7], 16
	s_sub_u32 s18, s8, s2
	s_subb_u32 s19, s9, s3
	s_cmp_eq_u64 s[0:1], 0
	s_mov_b64 s[0:1], -1
	s_cbranch_scc1 .LBB141_21
; %bb.1:
	v_cmp_lt_i64_e64 s[0:1], s[18:19], 1
	s_and_b64 vcc, exec, s[0:1]
	s_cbranch_vccnz .LBB141_20
; %bb.2:
	s_load_dword s0, s[4:5], 0xc5c
	v_mov_b32_e32 v2, 0x10000
	v_mov_b32_e32 v3, 0
	v_cmp_lt_u64_e32 vcc, s[18:19], v[2:3]
	v_lshlrev_b32_e32 v10, 1, v0
	s_waitcnt lgkmcnt(0)
	s_and_b32 s2, s0, 0xffff
	s_and_b64 s[0:1], vcc, exec
	v_mov_b32_e32 v13, s15
	v_add_co_u32_e32 v2, vcc, s14, v10
	v_addc_co_u32_e32 v1, vcc, 0, v13, vcc
	v_mov_b32_e32 v11, 0
	v_mov_b32_e32 v15, s17
	v_add_co_u32_e32 v4, vcc, s16, v10
	v_addc_co_u32_e32 v3, vcc, 0, v15, vcc
	v_mad_u64_u32 v[8:9], s[0:1], s2, 6, v[10:11]
	v_add_co_u32_e32 v6, vcc, s14, v8
	v_addc_co_u32_e32 v5, vcc, v13, v9, vcc
	v_add_co_u32_e32 v8, vcc, s16, v8
	s_mul_i32 s6, s2, 3
	v_addc_co_u32_e32 v7, vcc, v15, v9, vcc
	s_cselect_b32 s13, s19, 0
	s_cselect_b32 s12, s18, 0x10000
	s_lshl_b32 s26, s2, 2
	v_add_co_u32_e32 v18, vcc, s6, v0
	v_addc_co_u32_e64 v19, s[0:1], 0, 0, vcc
	v_add_co_u32_e32 v11, vcc, s26, v10
	v_addc_co_u32_e64 v14, s[0:1], 0, 0, vcc
	v_add_co_u32_e32 v10, vcc, s14, v11
	v_addc_co_u32_e32 v9, vcc, v13, v14, vcc
	v_add_co_u32_e32 v12, vcc, s16, v11
	s_lshl_b32 s3, s2, 1
	v_addc_co_u32_e32 v11, vcc, v15, v14, vcc
	v_add_co_u32_e32 v20, vcc, s3, v0
	v_addc_co_u32_e64 v21, s[0:1], 0, 0, vcc
	v_add_co_u32_e32 v22, vcc, s2, v0
	v_lshlrev_b32_e32 v16, 1, v22
	v_cvt_f16_f32_e32 v17, s24
	v_addc_co_u32_e64 v23, s[0:1], 0, 0, vcc
	v_add_co_u32_e32 v14, vcc, s14, v16
	v_addc_co_u32_e32 v13, vcc, 0, v13, vcc
	v_add_co_u32_e32 v16, vcc, s16, v16
	s_mov_b32 s25, 0
	s_lshl_b32 s27, s2, 3
	v_addc_co_u32_e32 v15, vcc, 0, v15, vcc
	s_mov_b64 s[20:21], 0
	s_branch .LBB141_4
.LBB141_3:                              ;   in Loop: Header=BB141_4 Depth=1
	s_or_b64 exec, exec, s[2:3]
	s_add_u32 s20, s20, s26
	s_addc_u32 s21, s21, 0
	s_waitcnt vmcnt(0)
	v_pk_mov_b32 v[24:25], s[18:19], s[18:19] op_sel:[0,1]
	v_cmp_lt_i64_e32 vcc, s[20:21], v[24:25]
	v_mov_b32_e32 v24, 0x10000
	v_mov_b32_e32 v25, 0
	v_cmp_lt_u64_e64 s[0:1], s[20:21], v[24:25]
	s_and_b64 s[0:1], vcc, s[0:1]
	v_mov_b32_e32 v24, s25
	v_add_co_u32_e32 v2, vcc, s27, v2
	v_addc_co_u32_e32 v1, vcc, v1, v24, vcc
	v_add_co_u32_e32 v4, vcc, s27, v4
	v_addc_co_u32_e32 v3, vcc, v3, v24, vcc
	;; [unrolled: 2-line block ×8, first 2 shown]
	s_and_b64 vcc, exec, s[0:1]
	s_cbranch_vccz .LBB141_20
.LBB141_4:                              ; =>This Inner Loop Header: Depth=1
	v_mov_b32_e32 v25, s21
	v_add_co_u32_e32 v24, vcc, s20, v0
	v_addc_co_u32_e32 v25, vcc, 0, v25, vcc
	v_cmp_gt_u64_e32 vcc, s[12:13], v[24:25]
	v_mov_b32_e32 v25, 0
	s_and_saveexec_b64 s[2:3], vcc
	s_cbranch_execz .LBB141_6
; %bb.5:                                ;   in Loop: Header=BB141_4 Depth=1
	v_mov_b32_e32 v25, s11
	v_add_co_u32_e64 v24, s[0:1], s10, v2
	v_addc_co_u32_e64 v25, s[0:1], v1, v25, s[0:1]
	global_load_ushort v25, v[24:25], off
.LBB141_6:                              ;   in Loop: Header=BB141_4 Depth=1
	s_or_b64 exec, exec, s[2:3]
	v_mov_b32_e32 v24, s21
	v_add_co_u32_e64 v26, s[0:1], s20, v22
	v_addc_co_u32_e64 v27, s[0:1], v23, v24, s[0:1]
	v_cmp_gt_u64_e64 s[0:1], s[12:13], v[26:27]
	v_mov_b32_e32 v26, 0
	s_and_saveexec_b64 s[6:7], s[0:1]
	s_cbranch_execz .LBB141_8
; %bb.7:                                ;   in Loop: Header=BB141_4 Depth=1
	v_mov_b32_e32 v24, s11
	v_add_co_u32_e64 v26, s[2:3], s10, v14
	v_addc_co_u32_e64 v27, s[2:3], v13, v24, s[2:3]
	global_load_ushort v26, v[26:27], off
.LBB141_8:                              ;   in Loop: Header=BB141_4 Depth=1
	s_or_b64 exec, exec, s[6:7]
	v_mov_b32_e32 v24, s21
	v_add_co_u32_e64 v28, s[2:3], s20, v20
	v_addc_co_u32_e64 v29, s[2:3], v21, v24, s[2:3]
	v_cmp_gt_u64_e64 s[2:3], s[12:13], v[28:29]
	v_mov_b32_e32 v24, 0
	v_mov_b32_e32 v27, 0
	s_and_saveexec_b64 s[8:9], s[2:3]
	s_cbranch_execz .LBB141_10
; %bb.9:                                ;   in Loop: Header=BB141_4 Depth=1
	v_mov_b32_e32 v27, s11
	v_add_co_u32_e64 v28, s[6:7], s10, v10
	v_addc_co_u32_e64 v29, s[6:7], v9, v27, s[6:7]
	global_load_ushort v27, v[28:29], off
.LBB141_10:                             ;   in Loop: Header=BB141_4 Depth=1
	s_or_b64 exec, exec, s[8:9]
	v_mov_b32_e32 v29, s21
	v_add_co_u32_e64 v28, s[6:7], s20, v18
	v_addc_co_u32_e64 v29, s[6:7], v19, v29, s[6:7]
	v_cmp_gt_u64_e64 s[6:7], s[12:13], v[28:29]
	s_and_saveexec_b64 s[22:23], s[6:7]
	s_cbranch_execnz .LBB141_15
; %bb.11:                               ;   in Loop: Header=BB141_4 Depth=1
	s_or_b64 exec, exec, s[22:23]
	s_and_saveexec_b64 s[22:23], vcc
	s_cbranch_execnz .LBB141_16
.LBB141_12:                             ;   in Loop: Header=BB141_4 Depth=1
	s_or_b64 exec, exec, s[22:23]
	s_and_saveexec_b64 s[8:9], s[0:1]
	s_cbranch_execnz .LBB141_17
.LBB141_13:                             ;   in Loop: Header=BB141_4 Depth=1
	s_or_b64 exec, exec, s[8:9]
	s_and_saveexec_b64 s[8:9], s[2:3]
	s_cbranch_execnz .LBB141_18
.LBB141_14:                             ;   in Loop: Header=BB141_4 Depth=1
	s_or_b64 exec, exec, s[8:9]
	s_and_saveexec_b64 s[2:3], s[6:7]
	s_cbranch_execz .LBB141_3
	s_branch .LBB141_19
.LBB141_15:                             ;   in Loop: Header=BB141_4 Depth=1
	v_mov_b32_e32 v24, s11
	v_add_co_u32_e64 v28, s[8:9], s10, v6
	v_addc_co_u32_e64 v29, s[8:9], v5, v24, s[8:9]
	global_load_ushort v24, v[28:29], off
	s_or_b64 exec, exec, s[22:23]
	s_and_saveexec_b64 s[22:23], vcc
	s_cbranch_execz .LBB141_12
.LBB141_16:                             ;   in Loop: Header=BB141_4 Depth=1
	s_waitcnt vmcnt(0)
	v_cvt_f32_f16_e32 v28, v25
	v_cmp_u_f16_e32 vcc, v25, v25
	v_mov_b32_e32 v29, s11
	v_cmp_lt_f32_e64 s[8:9], s24, v28
	s_or_b64 vcc, vcc, s[8:9]
	v_cndmask_b32_e32 v25, v17, v25, vcc
	v_add_co_u32_e32 v28, vcc, s10, v4
	v_addc_co_u32_e32 v29, vcc, v3, v29, vcc
	global_store_short v[28:29], v25, off
	s_or_b64 exec, exec, s[22:23]
	s_and_saveexec_b64 s[8:9], s[0:1]
	s_cbranch_execz .LBB141_13
.LBB141_17:                             ;   in Loop: Header=BB141_4 Depth=1
	s_waitcnt vmcnt(0)
	v_cvt_f32_f16_e32 v25, v26
	v_cmp_u_f16_e32 vcc, v26, v26
	v_mov_b32_e32 v29, s11
	v_cmp_lt_f32_e64 s[0:1], s24, v25
	s_or_b64 vcc, vcc, s[0:1]
	v_cndmask_b32_e32 v25, v17, v26, vcc
	v_add_co_u32_e32 v28, vcc, s10, v16
	v_addc_co_u32_e32 v29, vcc, v15, v29, vcc
	global_store_short v[28:29], v25, off
	s_or_b64 exec, exec, s[8:9]
	s_and_saveexec_b64 s[8:9], s[2:3]
	s_cbranch_execz .LBB141_14
.LBB141_18:                             ;   in Loop: Header=BB141_4 Depth=1
	s_waitcnt vmcnt(0)
	v_cvt_f32_f16_e32 v25, v27
	v_cmp_u_f16_e32 vcc, v27, v27
	v_mov_b32_e32 v28, s11
	v_cmp_lt_f32_e64 s[0:1], s24, v25
	s_or_b64 vcc, vcc, s[0:1]
	v_cndmask_b32_e32 v25, v17, v27, vcc
	v_add_co_u32_e32 v26, vcc, s10, v12
	v_addc_co_u32_e32 v27, vcc, v11, v28, vcc
	global_store_short v[26:27], v25, off
	s_or_b64 exec, exec, s[8:9]
	s_and_saveexec_b64 s[2:3], s[6:7]
	s_cbranch_execz .LBB141_3
.LBB141_19:                             ;   in Loop: Header=BB141_4 Depth=1
	s_waitcnt vmcnt(0)
	v_cvt_f32_f16_e32 v25, v24
	v_cmp_u_f16_e32 vcc, v24, v24
	v_mov_b32_e32 v26, s11
	v_cmp_lt_f32_e64 s[0:1], s24, v25
	s_or_b64 vcc, vcc, s[0:1]
	v_cndmask_b32_e32 v27, v17, v24, vcc
	v_add_co_u32_e32 v24, vcc, s10, v8
	v_addc_co_u32_e32 v25, vcc, v7, v26, vcc
	global_store_short v[24:25], v27, off
	s_branch .LBB141_3
.LBB141_20:
	s_mov_b64 s[0:1], 0
.LBB141_21:
	s_andn2_b64 vcc, exec, s[0:1]
	s_cbranch_vccnz .LBB141_25
; %bb.22:
	v_mov_b32_e32 v3, 0
	v_lshlrev_b32_e32 v2, 2, v0
	s_mov_b32 s0, 0
	v_cmp_gt_i64_e32 vcc, s[18:19], v[2:3]
	s_and_saveexec_b64 s[2:3], vcc
	s_cbranch_execz .LBB141_25
; %bb.23:
	s_load_dword s1, s[4:5], 0xc5c
	v_cvt_f16_f32_e32 v1, s24
	v_mov_b32_e32 v2, s11
	s_mov_b32 s25, s24
	s_mov_b32 s26, s24
	v_pack_b32_f16 v5, v1, v1
	v_lshlrev_b32_e32 v1, 3, v0
	s_waitcnt lgkmcnt(0)
	s_and_b32 s1, s1, 0xffff
	v_add_co_u32_e32 v4, vcc, s10, v1
	s_mov_b32 s27, s24
	v_addc_co_u32_e32 v1, vcc, 0, v2, vcc
	s_lshl_b32 s28, s1, 3
	v_add_lshl_u32 v2, v0, s1, 2
	s_lshl_b32 s29, s1, 2
	s_mov_b64 s[20:21], 0
	v_mov_b32_e32 v0, s15
	v_mov_b32_e32 v6, s17
	v_lshrrev_b32_e32 v7, 16, v5
	s_mov_b32 s15, 0x5040100
	s_mov_b64 s[22:23], 0xffff
	v_mov_b32_e32 v8, s0
	v_mov_b32_e32 v9, s0
.LBB141_24:                             ; =>This Inner Loop Header: Depth=1
	v_add_co_u32_e32 v10, vcc, s14, v4
	v_addc_co_u32_e32 v11, vcc, v0, v1, vcc
	global_load_dwordx2 v[10:11], v[10:11], off
	v_add_co_u32_e32 v12, vcc, s16, v4
	v_addc_co_u32_e32 v13, vcc, v6, v1, vcc
	v_add_co_u32_e64 v4, s[2:3], s28, v4
	v_cmp_le_i64_e32 vcc, s[18:19], v[2:3]
	v_cmp_lt_u64_e64 s[0:1], s[22:23], v[2:3]
	v_addc_co_u32_e64 v1, s[2:3], v1, v8, s[2:3]
	v_add_co_u32_e64 v2, s[2:3], s29, v2
	s_or_b64 s[30:31], vcc, s[0:1]
	v_addc_co_u32_e64 v3, s[2:3], v3, v9, s[2:3]
	s_waitcnt vmcnt(0)
	v_cvt_f32_f16_e32 v17, v11
	v_lshrrev_b32_e32 v15, 16, v11
	v_cvt_f32_f16_e32 v16, v10
	v_lshrrev_b32_e32 v14, 16, v10
	v_cvt_f32_f16_e32 v19, v15
	v_cvt_f32_f16_e32 v18, v14
	v_cmp_u_f16_e32 vcc, v11, v11
	v_cmp_lt_f32_e64 s[6:7], s26, v17
	v_cmp_u_f16_e64 s[0:1], v10, v10
	v_cmp_lt_f32_e64 s[8:9], s24, v16
	s_or_b64 vcc, vcc, s[6:7]
	v_cmp_u_f16_e64 s[2:3], v15, v15
	v_cmp_lt_f32_e64 s[10:11], s27, v19
	v_cndmask_b32_e32 v11, v5, v11, vcc
	s_or_b64 vcc, s[0:1], s[8:9]
	v_cmp_u_f16_e64 s[4:5], v14, v14
	v_cmp_lt_f32_e64 s[12:13], s25, v18
	v_cndmask_b32_e32 v10, v5, v10, vcc
	s_or_b64 vcc, s[2:3], s[10:11]
	v_cndmask_b32_e32 v15, v7, v15, vcc
	s_or_b64 vcc, s[4:5], s[12:13]
	v_cndmask_b32_e32 v14, v7, v14, vcc
	s_and_b64 s[0:1], exec, s[30:31]
	v_perm_b32 v11, v15, v11, s15
	v_perm_b32 v10, v14, v10, s15
	s_or_b64 s[20:21], s[0:1], s[20:21]
	global_store_dwordx2 v[12:13], v[10:11], off
	s_andn2_b64 exec, exec, s[20:21]
	s_cbranch_execnz .LBB141_24
.LBB141_25:
	s_endpgm
	.section	.rodata,"a",@progbits
	.p2align	6, 0x0
	.amdhsa_kernel _ZN2at6native12_GLOBAL__N_125multi_tensor_apply_kernelINS1_18TensorListMetadataILi2EEENS1_21BinaryOpScalarFunctorIN3c104HalfELi2ELi1ELi1EEEJNS0_7maximumIfEEfEEEvT_T0_DpT1_
		.amdhsa_group_segment_fixed_size 0
		.amdhsa_private_segment_fixed_size 0
		.amdhsa_kernarg_size 3408
		.amdhsa_user_sgpr_count 6
		.amdhsa_user_sgpr_private_segment_buffer 1
		.amdhsa_user_sgpr_dispatch_ptr 0
		.amdhsa_user_sgpr_queue_ptr 0
		.amdhsa_user_sgpr_kernarg_segment_ptr 1
		.amdhsa_user_sgpr_dispatch_id 0
		.amdhsa_user_sgpr_flat_scratch_init 0
		.amdhsa_user_sgpr_kernarg_preload_length 0
		.amdhsa_user_sgpr_kernarg_preload_offset 0
		.amdhsa_user_sgpr_private_segment_size 0
		.amdhsa_uses_dynamic_stack 0
		.amdhsa_system_sgpr_private_segment_wavefront_offset 0
		.amdhsa_system_sgpr_workgroup_id_x 1
		.amdhsa_system_sgpr_workgroup_id_y 0
		.amdhsa_system_sgpr_workgroup_id_z 0
		.amdhsa_system_sgpr_workgroup_info 0
		.amdhsa_system_vgpr_workitem_id 0
		.amdhsa_next_free_vgpr 30
		.amdhsa_next_free_sgpr 32
		.amdhsa_accum_offset 32
		.amdhsa_reserve_vcc 1
		.amdhsa_reserve_flat_scratch 0
		.amdhsa_float_round_mode_32 0
		.amdhsa_float_round_mode_16_64 0
		.amdhsa_float_denorm_mode_32 3
		.amdhsa_float_denorm_mode_16_64 3
		.amdhsa_dx10_clamp 1
		.amdhsa_ieee_mode 1
		.amdhsa_fp16_overflow 0
		.amdhsa_tg_split 0
		.amdhsa_exception_fp_ieee_invalid_op 0
		.amdhsa_exception_fp_denorm_src 0
		.amdhsa_exception_fp_ieee_div_zero 0
		.amdhsa_exception_fp_ieee_overflow 0
		.amdhsa_exception_fp_ieee_underflow 0
		.amdhsa_exception_fp_ieee_inexact 0
		.amdhsa_exception_int_div_zero 0
	.end_amdhsa_kernel
	.section	.text._ZN2at6native12_GLOBAL__N_125multi_tensor_apply_kernelINS1_18TensorListMetadataILi2EEENS1_21BinaryOpScalarFunctorIN3c104HalfELi2ELi1ELi1EEEJNS0_7maximumIfEEfEEEvT_T0_DpT1_,"axG",@progbits,_ZN2at6native12_GLOBAL__N_125multi_tensor_apply_kernelINS1_18TensorListMetadataILi2EEENS1_21BinaryOpScalarFunctorIN3c104HalfELi2ELi1ELi1EEEJNS0_7maximumIfEEfEEEvT_T0_DpT1_,comdat
.Lfunc_end141:
	.size	_ZN2at6native12_GLOBAL__N_125multi_tensor_apply_kernelINS1_18TensorListMetadataILi2EEENS1_21BinaryOpScalarFunctorIN3c104HalfELi2ELi1ELi1EEEJNS0_7maximumIfEEfEEEvT_T0_DpT1_, .Lfunc_end141-_ZN2at6native12_GLOBAL__N_125multi_tensor_apply_kernelINS1_18TensorListMetadataILi2EEENS1_21BinaryOpScalarFunctorIN3c104HalfELi2ELi1ELi1EEEJNS0_7maximumIfEEfEEEvT_T0_DpT1_
                                        ; -- End function
	.section	.AMDGPU.csdata,"",@progbits
; Kernel info:
; codeLenInByte = 1484
; NumSgprs: 36
; NumVgprs: 30
; NumAgprs: 0
; TotalNumVgprs: 30
; ScratchSize: 0
; MemoryBound: 0
; FloatMode: 240
; IeeeMode: 1
; LDSByteSize: 0 bytes/workgroup (compile time only)
; SGPRBlocks: 4
; VGPRBlocks: 3
; NumSGPRsForWavesPerEU: 36
; NumVGPRsForWavesPerEU: 30
; AccumOffset: 32
; Occupancy: 8
; WaveLimiterHint : 0
; COMPUTE_PGM_RSRC2:SCRATCH_EN: 0
; COMPUTE_PGM_RSRC2:USER_SGPR: 6
; COMPUTE_PGM_RSRC2:TRAP_HANDLER: 0
; COMPUTE_PGM_RSRC2:TGID_X_EN: 1
; COMPUTE_PGM_RSRC2:TGID_Y_EN: 0
; COMPUTE_PGM_RSRC2:TGID_Z_EN: 0
; COMPUTE_PGM_RSRC2:TIDIG_COMP_CNT: 0
; COMPUTE_PGM_RSRC3_GFX90A:ACCUM_OFFSET: 7
; COMPUTE_PGM_RSRC3_GFX90A:TG_SPLIT: 0
	.section	.text._ZN2at6native12_GLOBAL__N_125multi_tensor_apply_kernelINS1_18TensorListMetadataILi2EEENS1_21BinaryOpScalarFunctorIN3c108BFloat16ELi2ELi1ELi1EEEJNS0_7maximumIfEEfEEEvT_T0_DpT1_,"axG",@progbits,_ZN2at6native12_GLOBAL__N_125multi_tensor_apply_kernelINS1_18TensorListMetadataILi2EEENS1_21BinaryOpScalarFunctorIN3c108BFloat16ELi2ELi1ELi1EEEJNS0_7maximumIfEEfEEEvT_T0_DpT1_,comdat
	.globl	_ZN2at6native12_GLOBAL__N_125multi_tensor_apply_kernelINS1_18TensorListMetadataILi2EEENS1_21BinaryOpScalarFunctorIN3c108BFloat16ELi2ELi1ELi1EEEJNS0_7maximumIfEEfEEEvT_T0_DpT1_ ; -- Begin function _ZN2at6native12_GLOBAL__N_125multi_tensor_apply_kernelINS1_18TensorListMetadataILi2EEENS1_21BinaryOpScalarFunctorIN3c108BFloat16ELi2ELi1ELi1EEEJNS0_7maximumIfEEfEEEvT_T0_DpT1_
	.p2align	8
	.type	_ZN2at6native12_GLOBAL__N_125multi_tensor_apply_kernelINS1_18TensorListMetadataILi2EEENS1_21BinaryOpScalarFunctorIN3c108BFloat16ELi2ELi1ELi1EEEJNS0_7maximumIfEEfEEEvT_T0_DpT1_,@function
_ZN2at6native12_GLOBAL__N_125multi_tensor_apply_kernelINS1_18TensorListMetadataILi2EEENS1_21BinaryOpScalarFunctorIN3c108BFloat16ELi2ELi1ELi1EEEJNS0_7maximumIfEEfEEEvT_T0_DpT1_: ; @_ZN2at6native12_GLOBAL__N_125multi_tensor_apply_kernelINS1_18TensorListMetadataILi2EEENS1_21BinaryOpScalarFunctorIN3c108BFloat16ELi2ELi1ELi1EEEJNS0_7maximumIfEEfEEEvT_T0_DpT1_
; %bb.0:
	v_mov_b32_e32 v1, s6
	global_load_ubyte v1, v1, s[4:5] offset:1536
	s_add_u32 s0, s4, s6
	s_mul_hi_u32 s2, s6, 3
	s_mul_i32 s6, s6, 3
	s_addc_u32 s7, s5, 0
	s_add_u32 s6, s0, s6
	s_addc_u32 s7, s7, s2
	s_load_dword s6, s[6:7], 0x740
	s_mov_b32 s1, 0
	s_mov_b32 s15, s1
	;; [unrolled: 1-line block ×3, first 2 shown]
	s_waitcnt lgkmcnt(0)
	s_ashr_i32 s7, s6, 31
	s_lshl_b64 s[16:17], s[6:7], 17
	s_waitcnt vmcnt(0)
	v_readfirstlane_b32 s0, v1
	s_lshl_b32 s0, s0, 3
	s_load_dwordx2 s[10:11], s[4:5], s0 offset:0x0
	s_load_dword s24, s[4:5], 0xc4c
	s_load_dwordx2 s[8:9], s[4:5], s0 offset:0x400
	s_load_dwordx2 s[12:13], s[4:5], s0 offset:0x200
	s_waitcnt lgkmcnt(0)
	s_and_b32 s0, s10, 7
	s_and_b32 s14, s8, 3
	;; [unrolled: 1-line block ×3, first 2 shown]
	s_or_b64 s[0:1], s[0:1], s[14:15]
	s_or_b64 s[0:1], s[2:3], s[0:1]
	s_lshl_b64 s[2:3], s[6:7], 16
	s_sub_u32 s14, s8, s2
	s_subb_u32 s15, s9, s3
	s_cmp_eq_u64 s[0:1], 0
	s_mov_b64 s[0:1], -1
	s_cbranch_scc1 .LBB142_21
; %bb.1:
	v_cmp_lt_i64_e64 s[0:1], s[14:15], 1
	s_and_b64 vcc, exec, s[0:1]
	s_cbranch_vccnz .LBB142_20
; %bb.2:
	s_load_dword s0, s[4:5], 0xc5c
	v_mov_b32_e32 v2, 0x10000
	v_mov_b32_e32 v3, 0
	v_cmp_lt_u64_e32 vcc, s[14:15], v[2:3]
	v_lshlrev_b32_e32 v10, 1, v0
	s_waitcnt lgkmcnt(0)
	s_and_b32 s2, s0, 0xffff
	s_and_b64 s[0:1], vcc, exec
	v_mov_b32_e32 v13, s11
	v_add_co_u32_e32 v2, vcc, s10, v10
	v_addc_co_u32_e32 v1, vcc, 0, v13, vcc
	v_mov_b32_e32 v11, 0
	v_mov_b32_e32 v15, s13
	v_add_co_u32_e32 v4, vcc, s12, v10
	v_addc_co_u32_e32 v3, vcc, 0, v15, vcc
	v_mad_u64_u32 v[8:9], s[0:1], s2, 6, v[10:11]
	v_add_co_u32_e32 v6, vcc, s10, v8
	v_addc_co_u32_e32 v5, vcc, v13, v9, vcc
	v_add_co_u32_e32 v8, vcc, s12, v8
	s_mul_i32 s6, s2, 3
	v_addc_co_u32_e32 v7, vcc, v15, v9, vcc
	s_cselect_b32 s19, s15, 0
	s_cselect_b32 s18, s14, 0x10000
	s_lshl_b32 s26, s2, 2
	v_add_co_u32_e32 v17, vcc, s6, v0
	v_addc_co_u32_e64 v18, s[0:1], 0, 0, vcc
	v_add_co_u32_e32 v11, vcc, s26, v10
	v_addc_co_u32_e64 v14, s[0:1], 0, 0, vcc
	v_add_co_u32_e32 v10, vcc, s10, v11
	v_addc_co_u32_e32 v9, vcc, v13, v14, vcc
	v_add_co_u32_e32 v12, vcc, s12, v11
	s_lshl_b32 s3, s2, 1
	v_addc_co_u32_e32 v11, vcc, v15, v14, vcc
	v_add_co_u32_e32 v19, vcc, s3, v0
	v_addc_co_u32_e64 v20, s[0:1], 0, 0, vcc
	v_add_co_u32_e32 v21, vcc, s2, v0
	v_lshlrev_b32_e32 v16, 1, v21
	v_addc_co_u32_e64 v22, s[0:1], 0, 0, vcc
	v_add_co_u32_e32 v14, vcc, s10, v16
	v_addc_co_u32_e32 v13, vcc, 0, v13, vcc
	v_add_co_u32_e32 v16, vcc, s12, v16
	s_mov_b32 s25, 0
	s_lshl_b32 s27, s2, 3
	v_addc_co_u32_e32 v15, vcc, 0, v15, vcc
	s_mov_b64 s[20:21], 0
	s_movk_i32 s28, 0x7fff
	v_mov_b32_e32 v23, 0x7fc0
	s_branch .LBB142_4
.LBB142_3:                              ;   in Loop: Header=BB142_4 Depth=1
	s_or_b64 exec, exec, s[2:3]
	s_add_u32 s20, s20, s26
	s_addc_u32 s21, s21, 0
	s_waitcnt vmcnt(0)
	v_pk_mov_b32 v[24:25], s[14:15], s[14:15] op_sel:[0,1]
	v_cmp_lt_i64_e32 vcc, s[20:21], v[24:25]
	v_mov_b32_e32 v24, 0x10000
	v_mov_b32_e32 v25, 0
	v_cmp_lt_u64_e64 s[0:1], s[20:21], v[24:25]
	s_and_b64 s[0:1], vcc, s[0:1]
	v_mov_b32_e32 v24, s25
	v_add_co_u32_e32 v2, vcc, s27, v2
	v_addc_co_u32_e32 v1, vcc, v1, v24, vcc
	v_add_co_u32_e32 v4, vcc, s27, v4
	v_addc_co_u32_e32 v3, vcc, v3, v24, vcc
	;; [unrolled: 2-line block ×8, first 2 shown]
	s_and_b64 vcc, exec, s[0:1]
	s_cbranch_vccz .LBB142_20
.LBB142_4:                              ; =>This Inner Loop Header: Depth=1
	v_mov_b32_e32 v25, s21
	v_add_co_u32_e32 v24, vcc, s20, v0
	v_addc_co_u32_e32 v25, vcc, 0, v25, vcc
	v_cmp_gt_u64_e64 s[6:7], s[18:19], v[24:25]
	v_mov_b32_e32 v25, 0
	s_and_saveexec_b64 s[0:1], s[6:7]
	s_cbranch_execz .LBB142_6
; %bb.5:                                ;   in Loop: Header=BB142_4 Depth=1
	v_mov_b32_e32 v25, s17
	v_add_co_u32_e32 v24, vcc, s16, v2
	v_addc_co_u32_e32 v25, vcc, v1, v25, vcc
	global_load_ushort v25, v[24:25], off
.LBB142_6:                              ;   in Loop: Header=BB142_4 Depth=1
	s_or_b64 exec, exec, s[0:1]
	v_mov_b32_e32 v24, s21
	v_add_co_u32_e32 v26, vcc, s20, v21
	v_addc_co_u32_e32 v27, vcc, v22, v24, vcc
	v_cmp_gt_u64_e64 s[2:3], s[18:19], v[26:27]
	v_mov_b32_e32 v27, 0
	s_and_saveexec_b64 s[0:1], s[2:3]
	s_cbranch_execz .LBB142_8
; %bb.7:                                ;   in Loop: Header=BB142_4 Depth=1
	v_mov_b32_e32 v24, s17
	v_add_co_u32_e32 v26, vcc, s16, v14
	v_addc_co_u32_e32 v27, vcc, v13, v24, vcc
	global_load_ushort v27, v[26:27], off
.LBB142_8:                              ;   in Loop: Header=BB142_4 Depth=1
	s_or_b64 exec, exec, s[0:1]
	v_mov_b32_e32 v24, s21
	v_add_co_u32_e32 v28, vcc, s20, v19
	v_addc_co_u32_e32 v29, vcc, v20, v24, vcc
	v_cmp_gt_u64_e64 s[0:1], s[18:19], v[28:29]
	v_mov_b32_e32 v24, 0
	v_mov_b32_e32 v26, 0
	s_and_saveexec_b64 s[8:9], s[0:1]
	s_cbranch_execz .LBB142_10
; %bb.9:                                ;   in Loop: Header=BB142_4 Depth=1
	v_mov_b32_e32 v26, s17
	v_add_co_u32_e32 v28, vcc, s16, v10
	v_addc_co_u32_e32 v29, vcc, v9, v26, vcc
	global_load_ushort v26, v[28:29], off
.LBB142_10:                             ;   in Loop: Header=BB142_4 Depth=1
	s_or_b64 exec, exec, s[8:9]
	v_mov_b32_e32 v29, s21
	v_add_co_u32_e32 v28, vcc, s20, v17
	v_addc_co_u32_e32 v29, vcc, v18, v29, vcc
	v_cmp_gt_u64_e32 vcc, s[18:19], v[28:29]
	s_and_saveexec_b64 s[22:23], vcc
	s_cbranch_execnz .LBB142_15
; %bb.11:                               ;   in Loop: Header=BB142_4 Depth=1
	s_or_b64 exec, exec, s[22:23]
	s_and_saveexec_b64 s[22:23], s[6:7]
	s_cbranch_execnz .LBB142_16
.LBB142_12:                             ;   in Loop: Header=BB142_4 Depth=1
	s_or_b64 exec, exec, s[22:23]
	s_and_saveexec_b64 s[8:9], s[2:3]
	s_cbranch_execnz .LBB142_17
.LBB142_13:                             ;   in Loop: Header=BB142_4 Depth=1
	s_or_b64 exec, exec, s[8:9]
	s_and_saveexec_b64 s[6:7], s[0:1]
	s_cbranch_execnz .LBB142_18
.LBB142_14:                             ;   in Loop: Header=BB142_4 Depth=1
	s_or_b64 exec, exec, s[6:7]
	s_and_saveexec_b64 s[2:3], vcc
	s_cbranch_execz .LBB142_3
	s_branch .LBB142_19
.LBB142_15:                             ;   in Loop: Header=BB142_4 Depth=1
	v_mov_b32_e32 v24, s17
	v_add_co_u32_e64 v28, s[8:9], s16, v6
	v_addc_co_u32_e64 v29, s[8:9], v5, v24, s[8:9]
	global_load_ushort v24, v[28:29], off
	s_or_b64 exec, exec, s[22:23]
	s_and_saveexec_b64 s[22:23], s[6:7]
	s_cbranch_execz .LBB142_12
.LBB142_16:                             ;   in Loop: Header=BB142_4 Depth=1
	v_mov_b32_e32 v29, s17
	v_add_co_u32_e64 v28, s[6:7], s16, v4
	v_addc_co_u32_e64 v29, s[6:7], v3, v29, s[6:7]
	s_waitcnt vmcnt(0)
	v_lshlrev_b32_e32 v25, 16, v25
	v_cmp_u_f32_e64 s[6:7], v25, v25
	v_cmp_lt_f32_e64 s[8:9], s24, v25
	v_mov_b32_e32 v30, s24
	s_or_b64 s[6:7], s[6:7], s[8:9]
	v_cndmask_b32_e64 v25, v30, v25, s[6:7]
	v_bfe_u32 v30, v25, 16, 1
	v_add3_u32 v30, v25, v30, s28
	v_lshrrev_b32_e32 v30, 16, v30
	v_cmp_o_f32_e64 s[6:7], v25, v25
	v_cndmask_b32_e64 v25, v23, v30, s[6:7]
	global_store_short v[28:29], v25, off
	s_or_b64 exec, exec, s[22:23]
	s_and_saveexec_b64 s[8:9], s[2:3]
	s_cbranch_execz .LBB142_13
.LBB142_17:                             ;   in Loop: Header=BB142_4 Depth=1
	s_waitcnt vmcnt(0)
	v_lshlrev_b32_e32 v25, 16, v27
	v_cmp_u_f32_e64 s[2:3], v25, v25
	v_cmp_lt_f32_e64 s[6:7], s24, v25
	v_mov_b32_e32 v27, s24
	s_or_b64 s[2:3], s[2:3], s[6:7]
	v_cndmask_b32_e64 v25, v27, v25, s[2:3]
	v_bfe_u32 v27, v25, 16, 1
	v_add3_u32 v27, v25, v27, s28
	v_lshrrev_b32_e32 v27, 16, v27
	v_cmp_o_f32_e64 s[2:3], v25, v25
	v_cndmask_b32_e64 v25, v23, v27, s[2:3]
	v_mov_b32_e32 v27, s17
	v_add_co_u32_e64 v28, s[2:3], s16, v16
	v_addc_co_u32_e64 v29, s[2:3], v15, v27, s[2:3]
	global_store_short v[28:29], v25, off
	s_or_b64 exec, exec, s[8:9]
	s_and_saveexec_b64 s[6:7], s[0:1]
	s_cbranch_execz .LBB142_14
.LBB142_18:                             ;   in Loop: Header=BB142_4 Depth=1
	s_waitcnt vmcnt(0)
	v_lshlrev_b32_e32 v25, 16, v26
	v_cmp_u_f32_e64 s[0:1], v25, v25
	v_cmp_lt_f32_e64 s[2:3], s24, v25
	v_mov_b32_e32 v26, s24
	s_or_b64 s[0:1], s[0:1], s[2:3]
	v_cndmask_b32_e64 v25, v26, v25, s[0:1]
	v_bfe_u32 v26, v25, 16, 1
	v_add3_u32 v26, v25, v26, s28
	v_lshrrev_b32_e32 v26, 16, v26
	v_cmp_o_f32_e64 s[0:1], v25, v25
	v_cndmask_b32_e64 v25, v23, v26, s[0:1]
	v_mov_b32_e32 v27, s17
	v_add_co_u32_e64 v26, s[0:1], s16, v12
	v_addc_co_u32_e64 v27, s[0:1], v11, v27, s[0:1]
	global_store_short v[26:27], v25, off
	s_or_b64 exec, exec, s[6:7]
	s_and_saveexec_b64 s[2:3], vcc
	s_cbranch_execz .LBB142_3
.LBB142_19:                             ;   in Loop: Header=BB142_4 Depth=1
	s_waitcnt vmcnt(0)
	v_lshlrev_b32_e32 v24, 16, v24
	v_cmp_u_f32_e32 vcc, v24, v24
	v_cmp_lt_f32_e64 s[0:1], s24, v24
	v_mov_b32_e32 v25, s24
	s_or_b64 vcc, vcc, s[0:1]
	v_cndmask_b32_e32 v24, v25, v24, vcc
	v_bfe_u32 v25, v24, 16, 1
	v_add3_u32 v25, v24, v25, s28
	v_lshrrev_b32_e32 v25, 16, v25
	v_cmp_o_f32_e32 vcc, v24, v24
	v_cndmask_b32_e32 v26, v23, v25, vcc
	v_mov_b32_e32 v25, s17
	v_add_co_u32_e32 v24, vcc, s16, v8
	v_addc_co_u32_e32 v25, vcc, v7, v25, vcc
	global_store_short v[24:25], v26, off
	s_branch .LBB142_3
.LBB142_20:
	s_mov_b64 s[0:1], 0
.LBB142_21:
	s_andn2_b64 vcc, exec, s[0:1]
	s_cbranch_vccnz .LBB142_25
; %bb.22:
	v_mov_b32_e32 v3, 0
	v_lshlrev_b32_e32 v2, 2, v0
	s_mov_b32 s0, 0
	v_cmp_gt_i64_e32 vcc, s[14:15], v[2:3]
	s_and_saveexec_b64 s[2:3], vcc
	s_cbranch_execz .LBB142_25
; %bb.23:
	s_load_dword s1, s[4:5], 0xc5c
	v_lshlrev_b32_e32 v1, 3, v0
	v_mov_b32_e32 v2, s17
	v_add_co_u32_e32 v4, vcc, s16, v1
	s_waitcnt lgkmcnt(0)
	s_and_b32 s1, s1, 0xffff
	v_addc_co_u32_e32 v1, vcc, 0, v2, vcc
	s_lshl_b32 s20, s1, 3
	v_add_lshl_u32 v2, v0, s1, 2
	s_lshl_b32 s21, s1, 2
	s_mov_b64 s[16:17], 0
	v_mov_b32_e32 v0, s11
	v_mov_b32_e32 v5, s24
	s_movk_i32 s11, 0x7fff
	v_mov_b32_e32 v6, s13
	v_mov_b32_e32 v7, 0x7fc00000
	;; [unrolled: 1-line block ×3, first 2 shown]
	s_mov_b64 s[18:19], 0xffff
	v_mov_b32_e32 v9, s0
	v_mov_b32_e32 v10, s0
.LBB142_24:                             ; =>This Inner Loop Header: Depth=1
	v_add_co_u32_e32 v12, vcc, s10, v4
	v_addc_co_u32_e32 v13, vcc, v0, v1, vcc
	global_load_dwordx2 v[12:13], v[12:13], off
	v_add_co_u32_e32 v14, vcc, s12, v4
	v_add_co_u32_e64 v4, s[2:3], s20, v4
	v_addc_co_u32_e32 v15, vcc, v6, v1, vcc
	v_addc_co_u32_e64 v1, s[2:3], v1, v9, s[2:3]
	v_cmp_le_i64_e32 vcc, s[14:15], v[2:3]
	v_cmp_lt_u64_e64 s[0:1], s[18:19], v[2:3]
	v_add_co_u32_e64 v2, s[2:3], s21, v2
	v_addc_co_u32_e64 v3, s[2:3], v3, v10, s[2:3]
	s_or_b64 s[22:23], vcc, s[0:1]
	s_waitcnt vmcnt(0)
	v_lshlrev_b32_e32 v11, 16, v12
	v_and_b32_e32 v16, 0xffff0000, v12
	v_cmp_u_f32_e32 vcc, v11, v11
	v_cmp_lt_f32_e64 s[0:1], s24, v11
	v_alignbit_b32 v12, v13, v12, 16
	v_cmp_u_f32_e64 s[2:3], v16, v16
	v_cmp_lt_f32_e64 s[4:5], s24, v16
	s_or_b64 vcc, vcc, s[0:1]
	v_and_b32_e32 v13, 0xffff0000, v13
	v_and_b32_e32 v12, 0xffff0000, v12
	v_cndmask_b32_e32 v11, v5, v11, vcc
	s_or_b64 vcc, s[2:3], s[4:5]
	v_cmp_u_f32_e64 s[6:7], v13, v13
	v_cmp_lt_f32_e64 s[8:9], s24, v13
	v_cndmask_b32_e32 v16, v5, v16, vcc
	v_cmp_u_f32_e32 vcc, v12, v12
	v_cmp_lt_f32_e64 s[0:1], s24, v12
	s_or_b64 s[2:3], s[6:7], s[8:9]
	s_or_b64 vcc, vcc, s[0:1]
	v_cndmask_b32_e64 v13, v5, v13, s[2:3]
	v_bfe_u32 v17, v11, 16, 1
	v_bfe_u32 v18, v16, 16, 1
	v_cndmask_b32_e32 v12, v5, v12, vcc
	v_bfe_u32 v19, v13, 16, 1
	v_add3_u32 v17, v11, v17, s11
	v_add3_u32 v18, v16, v18, s11
	v_bfe_u32 v20, v12, 16, 1
	v_add3_u32 v19, v13, v19, s11
	s_and_b64 s[2:3], exec, s[22:23]
	v_lshrrev_b32_e32 v17, 16, v17
	v_and_b32_e32 v18, 0xffff0000, v18
	v_add3_u32 v20, v12, v20, s11
	v_cmp_o_f32_e32 vcc, v16, v16
	v_cmp_o_f32_e64 s[0:1], v11, v11
	v_and_b32_e32 v19, 0xffff0000, v19
	s_or_b64 s[16:17], s[2:3], s[16:17]
	v_cmp_o_f32_e64 s[2:3], v13, v13
	v_lshrrev_b32_e32 v11, 16, v20
	v_cndmask_b32_e32 v16, v7, v18, vcc
	v_cndmask_b32_e64 v17, v8, v17, s[0:1]
	v_cmp_o_f32_e32 vcc, v12, v12
	v_cndmask_b32_e64 v13, v7, v19, s[2:3]
	v_cndmask_b32_e32 v11, v8, v11, vcc
	v_or_b32_e32 v12, v17, v16
	v_or3_b32 v13, 0, v11, v13
	v_or3_b32 v12, v12, 0, 0
	global_store_dwordx2 v[14:15], v[12:13], off
	s_andn2_b64 exec, exec, s[16:17]
	s_cbranch_execnz .LBB142_24
.LBB142_25:
	s_endpgm
	.section	.rodata,"a",@progbits
	.p2align	6, 0x0
	.amdhsa_kernel _ZN2at6native12_GLOBAL__N_125multi_tensor_apply_kernelINS1_18TensorListMetadataILi2EEENS1_21BinaryOpScalarFunctorIN3c108BFloat16ELi2ELi1ELi1EEEJNS0_7maximumIfEEfEEEvT_T0_DpT1_
		.amdhsa_group_segment_fixed_size 0
		.amdhsa_private_segment_fixed_size 0
		.amdhsa_kernarg_size 3408
		.amdhsa_user_sgpr_count 6
		.amdhsa_user_sgpr_private_segment_buffer 1
		.amdhsa_user_sgpr_dispatch_ptr 0
		.amdhsa_user_sgpr_queue_ptr 0
		.amdhsa_user_sgpr_kernarg_segment_ptr 1
		.amdhsa_user_sgpr_dispatch_id 0
		.amdhsa_user_sgpr_flat_scratch_init 0
		.amdhsa_user_sgpr_kernarg_preload_length 0
		.amdhsa_user_sgpr_kernarg_preload_offset 0
		.amdhsa_user_sgpr_private_segment_size 0
		.amdhsa_uses_dynamic_stack 0
		.amdhsa_system_sgpr_private_segment_wavefront_offset 0
		.amdhsa_system_sgpr_workgroup_id_x 1
		.amdhsa_system_sgpr_workgroup_id_y 0
		.amdhsa_system_sgpr_workgroup_id_z 0
		.amdhsa_system_sgpr_workgroup_info 0
		.amdhsa_system_vgpr_workitem_id 0
		.amdhsa_next_free_vgpr 31
		.amdhsa_next_free_sgpr 29
		.amdhsa_accum_offset 32
		.amdhsa_reserve_vcc 1
		.amdhsa_reserve_flat_scratch 0
		.amdhsa_float_round_mode_32 0
		.amdhsa_float_round_mode_16_64 0
		.amdhsa_float_denorm_mode_32 3
		.amdhsa_float_denorm_mode_16_64 3
		.amdhsa_dx10_clamp 1
		.amdhsa_ieee_mode 1
		.amdhsa_fp16_overflow 0
		.amdhsa_tg_split 0
		.amdhsa_exception_fp_ieee_invalid_op 0
		.amdhsa_exception_fp_denorm_src 0
		.amdhsa_exception_fp_ieee_div_zero 0
		.amdhsa_exception_fp_ieee_overflow 0
		.amdhsa_exception_fp_ieee_underflow 0
		.amdhsa_exception_fp_ieee_inexact 0
		.amdhsa_exception_int_div_zero 0
	.end_amdhsa_kernel
	.section	.text._ZN2at6native12_GLOBAL__N_125multi_tensor_apply_kernelINS1_18TensorListMetadataILi2EEENS1_21BinaryOpScalarFunctorIN3c108BFloat16ELi2ELi1ELi1EEEJNS0_7maximumIfEEfEEEvT_T0_DpT1_,"axG",@progbits,_ZN2at6native12_GLOBAL__N_125multi_tensor_apply_kernelINS1_18TensorListMetadataILi2EEENS1_21BinaryOpScalarFunctorIN3c108BFloat16ELi2ELi1ELi1EEEJNS0_7maximumIfEEfEEEvT_T0_DpT1_,comdat
.Lfunc_end142:
	.size	_ZN2at6native12_GLOBAL__N_125multi_tensor_apply_kernelINS1_18TensorListMetadataILi2EEENS1_21BinaryOpScalarFunctorIN3c108BFloat16ELi2ELi1ELi1EEEJNS0_7maximumIfEEfEEEvT_T0_DpT1_, .Lfunc_end142-_ZN2at6native12_GLOBAL__N_125multi_tensor_apply_kernelINS1_18TensorListMetadataILi2EEENS1_21BinaryOpScalarFunctorIN3c108BFloat16ELi2ELi1ELi1EEEJNS0_7maximumIfEEfEEEvT_T0_DpT1_
                                        ; -- End function
	.section	.AMDGPU.csdata,"",@progbits
; Kernel info:
; codeLenInByte = 1784
; NumSgprs: 33
; NumVgprs: 31
; NumAgprs: 0
; TotalNumVgprs: 31
; ScratchSize: 0
; MemoryBound: 0
; FloatMode: 240
; IeeeMode: 1
; LDSByteSize: 0 bytes/workgroup (compile time only)
; SGPRBlocks: 4
; VGPRBlocks: 3
; NumSGPRsForWavesPerEU: 33
; NumVGPRsForWavesPerEU: 31
; AccumOffset: 32
; Occupancy: 8
; WaveLimiterHint : 0
; COMPUTE_PGM_RSRC2:SCRATCH_EN: 0
; COMPUTE_PGM_RSRC2:USER_SGPR: 6
; COMPUTE_PGM_RSRC2:TRAP_HANDLER: 0
; COMPUTE_PGM_RSRC2:TGID_X_EN: 1
; COMPUTE_PGM_RSRC2:TGID_Y_EN: 0
; COMPUTE_PGM_RSRC2:TGID_Z_EN: 0
; COMPUTE_PGM_RSRC2:TIDIG_COMP_CNT: 0
; COMPUTE_PGM_RSRC3_GFX90A:ACCUM_OFFSET: 7
; COMPUTE_PGM_RSRC3_GFX90A:TG_SPLIT: 0
	.text
	.p2alignl 6, 3212836864
	.fill 256, 4, 3212836864
	.type	__hip_cuid_db40a452d8a69688,@object ; @__hip_cuid_db40a452d8a69688
	.section	.bss,"aw",@nobits
	.globl	__hip_cuid_db40a452d8a69688
__hip_cuid_db40a452d8a69688:
	.byte	0                               ; 0x0
	.size	__hip_cuid_db40a452d8a69688, 1

	.ident	"AMD clang version 19.0.0git (https://github.com/RadeonOpenCompute/llvm-project roc-6.4.0 25133 c7fe45cf4b819c5991fe208aaa96edf142730f1d)"
	.section	".note.GNU-stack","",@progbits
	.addrsig
	.addrsig_sym __hip_cuid_db40a452d8a69688
	.amdgpu_metadata
---
amdhsa.kernels:
  - .agpr_count:     0
    .args:
      - .offset:         0
        .size:           3368
        .value_kind:     by_value
      - .offset:         3368
        .size:           1
        .value_kind:     by_value
      - .offset:         3369
        .size:           1
        .value_kind:     by_value
      - .offset:         3370
        .size:           1
        .value_kind:     by_value
      - .offset:         3376
        .size:           4
        .value_kind:     hidden_block_count_x
      - .offset:         3380
        .size:           4
        .value_kind:     hidden_block_count_y
      - .offset:         3384
        .size:           4
        .value_kind:     hidden_block_count_z
      - .offset:         3388
        .size:           2
        .value_kind:     hidden_group_size_x
      - .offset:         3390
        .size:           2
        .value_kind:     hidden_group_size_y
      - .offset:         3392
        .size:           2
        .value_kind:     hidden_group_size_z
      - .offset:         3394
        .size:           2
        .value_kind:     hidden_remainder_x
      - .offset:         3396
        .size:           2
        .value_kind:     hidden_remainder_y
      - .offset:         3398
        .size:           2
        .value_kind:     hidden_remainder_z
      - .offset:         3416
        .size:           8
        .value_kind:     hidden_global_offset_x
      - .offset:         3424
        .size:           8
        .value_kind:     hidden_global_offset_y
      - .offset:         3432
        .size:           8
        .value_kind:     hidden_global_offset_z
      - .offset:         3440
        .size:           2
        .value_kind:     hidden_grid_dims
    .group_segment_fixed_size: 0
    .kernarg_segment_align: 8
    .kernarg_segment_size: 3632
    .language:       OpenCL C
    .language_version:
      - 2
      - 0
    .max_flat_workgroup_size: 512
    .name:           _ZN2at6native12_GLOBAL__N_125multi_tensor_apply_kernelINS1_18TensorListMetadataILi1EEENS1_21BinaryOpScalarFunctorIhLi1ELi1ELi0EEEJSt4plusIhEhEEEvT_T0_DpT1_
    .private_segment_fixed_size: 0
    .sgpr_count:     27
    .sgpr_spill_count: 0
    .symbol:         _ZN2at6native12_GLOBAL__N_125multi_tensor_apply_kernelINS1_18TensorListMetadataILi1EEENS1_21BinaryOpScalarFunctorIhLi1ELi1ELi0EEEJSt4plusIhEhEEEvT_T0_DpT1_.kd
    .uniform_work_group_size: 1
    .uses_dynamic_stack: false
    .vgpr_count:     26
    .vgpr_spill_count: 0
    .wavefront_size: 64
  - .agpr_count:     0
    .args:
      - .offset:         0
        .size:           3368
        .value_kind:     by_value
      - .offset:         3368
        .size:           1
        .value_kind:     by_value
      - .offset:         3369
        .size:           1
        .value_kind:     by_value
      - .offset:         3370
        .size:           1
        .value_kind:     by_value
      - .offset:         3376
        .size:           4
        .value_kind:     hidden_block_count_x
      - .offset:         3380
        .size:           4
        .value_kind:     hidden_block_count_y
      - .offset:         3384
        .size:           4
        .value_kind:     hidden_block_count_z
      - .offset:         3388
        .size:           2
        .value_kind:     hidden_group_size_x
      - .offset:         3390
        .size:           2
        .value_kind:     hidden_group_size_y
      - .offset:         3392
        .size:           2
        .value_kind:     hidden_group_size_z
      - .offset:         3394
        .size:           2
        .value_kind:     hidden_remainder_x
      - .offset:         3396
        .size:           2
        .value_kind:     hidden_remainder_y
      - .offset:         3398
        .size:           2
        .value_kind:     hidden_remainder_z
      - .offset:         3416
        .size:           8
        .value_kind:     hidden_global_offset_x
      - .offset:         3424
        .size:           8
        .value_kind:     hidden_global_offset_y
      - .offset:         3432
        .size:           8
        .value_kind:     hidden_global_offset_z
      - .offset:         3440
        .size:           2
        .value_kind:     hidden_grid_dims
    .group_segment_fixed_size: 0
    .kernarg_segment_align: 8
    .kernarg_segment_size: 3632
    .language:       OpenCL C
    .language_version:
      - 2
      - 0
    .max_flat_workgroup_size: 512
    .name:           _ZN2at6native12_GLOBAL__N_125multi_tensor_apply_kernelINS1_18TensorListMetadataILi1EEENS1_21BinaryOpScalarFunctorIaLi1ELi1ELi0EEEJSt4plusIaEaEEEvT_T0_DpT1_
    .private_segment_fixed_size: 0
    .sgpr_count:     27
    .sgpr_spill_count: 0
    .symbol:         _ZN2at6native12_GLOBAL__N_125multi_tensor_apply_kernelINS1_18TensorListMetadataILi1EEENS1_21BinaryOpScalarFunctorIaLi1ELi1ELi0EEEJSt4plusIaEaEEEvT_T0_DpT1_.kd
    .uniform_work_group_size: 1
    .uses_dynamic_stack: false
    .vgpr_count:     26
    .vgpr_spill_count: 0
    .wavefront_size: 64
  - .agpr_count:     0
    .args:
      - .offset:         0
        .size:           3368
        .value_kind:     by_value
      - .offset:         3368
        .size:           1
        .value_kind:     by_value
      - .offset:         3369
        .size:           1
        .value_kind:     by_value
      - .offset:         3372
        .size:           4
        .value_kind:     by_value
      - .offset:         3376
        .size:           4
        .value_kind:     hidden_block_count_x
      - .offset:         3380
        .size:           4
        .value_kind:     hidden_block_count_y
      - .offset:         3384
        .size:           4
        .value_kind:     hidden_block_count_z
      - .offset:         3388
        .size:           2
        .value_kind:     hidden_group_size_x
      - .offset:         3390
        .size:           2
        .value_kind:     hidden_group_size_y
      - .offset:         3392
        .size:           2
        .value_kind:     hidden_group_size_z
      - .offset:         3394
        .size:           2
        .value_kind:     hidden_remainder_x
      - .offset:         3396
        .size:           2
        .value_kind:     hidden_remainder_y
      - .offset:         3398
        .size:           2
        .value_kind:     hidden_remainder_z
      - .offset:         3416
        .size:           8
        .value_kind:     hidden_global_offset_x
      - .offset:         3424
        .size:           8
        .value_kind:     hidden_global_offset_y
      - .offset:         3432
        .size:           8
        .value_kind:     hidden_global_offset_z
      - .offset:         3440
        .size:           2
        .value_kind:     hidden_grid_dims
    .group_segment_fixed_size: 0
    .kernarg_segment_align: 8
    .kernarg_segment_size: 3632
    .language:       OpenCL C
    .language_version:
      - 2
      - 0
    .max_flat_workgroup_size: 512
    .name:           _ZN2at6native12_GLOBAL__N_125multi_tensor_apply_kernelINS1_18TensorListMetadataILi1EEENS1_21BinaryOpScalarFunctorIiLi1ELi1ELi0EEEJSt4plusIiEiEEEvT_T0_DpT1_
    .private_segment_fixed_size: 0
    .sgpr_count:     33
    .sgpr_spill_count: 0
    .symbol:         _ZN2at6native12_GLOBAL__N_125multi_tensor_apply_kernelINS1_18TensorListMetadataILi1EEENS1_21BinaryOpScalarFunctorIiLi1ELi1ELi0EEEJSt4plusIiEiEEEvT_T0_DpT1_.kd
    .uniform_work_group_size: 1
    .uses_dynamic_stack: false
    .vgpr_count:     22
    .vgpr_spill_count: 0
    .wavefront_size: 64
  - .agpr_count:     0
    .args:
      - .offset:         0
        .size:           3368
        .value_kind:     by_value
      - .offset:         3368
        .size:           1
        .value_kind:     by_value
      - .offset:         3369
        .size:           1
        .value_kind:     by_value
      - .offset:         3376
        .size:           8
        .value_kind:     by_value
      - .offset:         3384
        .size:           4
        .value_kind:     hidden_block_count_x
      - .offset:         3388
        .size:           4
        .value_kind:     hidden_block_count_y
      - .offset:         3392
        .size:           4
        .value_kind:     hidden_block_count_z
      - .offset:         3396
        .size:           2
        .value_kind:     hidden_group_size_x
      - .offset:         3398
        .size:           2
        .value_kind:     hidden_group_size_y
      - .offset:         3400
        .size:           2
        .value_kind:     hidden_group_size_z
      - .offset:         3402
        .size:           2
        .value_kind:     hidden_remainder_x
      - .offset:         3404
        .size:           2
        .value_kind:     hidden_remainder_y
      - .offset:         3406
        .size:           2
        .value_kind:     hidden_remainder_z
      - .offset:         3424
        .size:           8
        .value_kind:     hidden_global_offset_x
      - .offset:         3432
        .size:           8
        .value_kind:     hidden_global_offset_y
      - .offset:         3440
        .size:           8
        .value_kind:     hidden_global_offset_z
      - .offset:         3448
        .size:           2
        .value_kind:     hidden_grid_dims
    .group_segment_fixed_size: 0
    .kernarg_segment_align: 8
    .kernarg_segment_size: 3640
    .language:       OpenCL C
    .language_version:
      - 2
      - 0
    .max_flat_workgroup_size: 512
    .name:           _ZN2at6native12_GLOBAL__N_125multi_tensor_apply_kernelINS1_18TensorListMetadataILi1EEENS1_21BinaryOpScalarFunctorIlLi1ELi1ELi0EEEJSt4plusIlElEEEvT_T0_DpT1_
    .private_segment_fixed_size: 0
    .sgpr_count:     34
    .sgpr_spill_count: 0
    .symbol:         _ZN2at6native12_GLOBAL__N_125multi_tensor_apply_kernelINS1_18TensorListMetadataILi1EEENS1_21BinaryOpScalarFunctorIlLi1ELi1ELi0EEEJSt4plusIlElEEEvT_T0_DpT1_.kd
    .uniform_work_group_size: 1
    .uses_dynamic_stack: false
    .vgpr_count:     24
    .vgpr_spill_count: 0
    .wavefront_size: 64
  - .agpr_count:     0
    .args:
      - .offset:         0
        .size:           3368
        .value_kind:     by_value
      - .offset:         3368
        .size:           1
        .value_kind:     by_value
      - .offset:         3369
        .size:           1
        .value_kind:     by_value
      - .offset:         3370
        .size:           2
        .value_kind:     by_value
      - .offset:         3376
        .size:           4
        .value_kind:     hidden_block_count_x
      - .offset:         3380
        .size:           4
        .value_kind:     hidden_block_count_y
      - .offset:         3384
        .size:           4
        .value_kind:     hidden_block_count_z
      - .offset:         3388
        .size:           2
        .value_kind:     hidden_group_size_x
      - .offset:         3390
        .size:           2
        .value_kind:     hidden_group_size_y
      - .offset:         3392
        .size:           2
        .value_kind:     hidden_group_size_z
      - .offset:         3394
        .size:           2
        .value_kind:     hidden_remainder_x
      - .offset:         3396
        .size:           2
        .value_kind:     hidden_remainder_y
      - .offset:         3398
        .size:           2
        .value_kind:     hidden_remainder_z
      - .offset:         3416
        .size:           8
        .value_kind:     hidden_global_offset_x
      - .offset:         3424
        .size:           8
        .value_kind:     hidden_global_offset_y
      - .offset:         3432
        .size:           8
        .value_kind:     hidden_global_offset_z
      - .offset:         3440
        .size:           2
        .value_kind:     hidden_grid_dims
    .group_segment_fixed_size: 0
    .kernarg_segment_align: 8
    .kernarg_segment_size: 3632
    .language:       OpenCL C
    .language_version:
      - 2
      - 0
    .max_flat_workgroup_size: 512
    .name:           _ZN2at6native12_GLOBAL__N_125multi_tensor_apply_kernelINS1_18TensorListMetadataILi1EEENS1_21BinaryOpScalarFunctorIsLi1ELi1ELi0EEEJSt4plusIsEsEEEvT_T0_DpT1_
    .private_segment_fixed_size: 0
    .sgpr_count:     32
    .sgpr_spill_count: 0
    .symbol:         _ZN2at6native12_GLOBAL__N_125multi_tensor_apply_kernelINS1_18TensorListMetadataILi1EEENS1_21BinaryOpScalarFunctorIsLi1ELi1ELi0EEEJSt4plusIsEsEEEvT_T0_DpT1_.kd
    .uniform_work_group_size: 1
    .uses_dynamic_stack: false
    .vgpr_count:     22
    .vgpr_spill_count: 0
    .wavefront_size: 64
  - .agpr_count:     0
    .args:
      - .offset:         0
        .size:           3368
        .value_kind:     by_value
      - .offset:         3368
        .size:           1
        .value_kind:     by_value
      - .offset:         3369
        .size:           1
        .value_kind:     by_value
      - .offset:         3376
        .size:           8
        .value_kind:     by_value
      - .offset:         3384
        .size:           4
        .value_kind:     hidden_block_count_x
      - .offset:         3388
        .size:           4
        .value_kind:     hidden_block_count_y
      - .offset:         3392
        .size:           4
        .value_kind:     hidden_block_count_z
      - .offset:         3396
        .size:           2
        .value_kind:     hidden_group_size_x
      - .offset:         3398
        .size:           2
        .value_kind:     hidden_group_size_y
      - .offset:         3400
        .size:           2
        .value_kind:     hidden_group_size_z
      - .offset:         3402
        .size:           2
        .value_kind:     hidden_remainder_x
      - .offset:         3404
        .size:           2
        .value_kind:     hidden_remainder_y
      - .offset:         3406
        .size:           2
        .value_kind:     hidden_remainder_z
      - .offset:         3424
        .size:           8
        .value_kind:     hidden_global_offset_x
      - .offset:         3432
        .size:           8
        .value_kind:     hidden_global_offset_y
      - .offset:         3440
        .size:           8
        .value_kind:     hidden_global_offset_z
      - .offset:         3448
        .size:           2
        .value_kind:     hidden_grid_dims
    .group_segment_fixed_size: 0
    .kernarg_segment_align: 8
    .kernarg_segment_size: 3640
    .language:       OpenCL C
    .language_version:
      - 2
      - 0
    .max_flat_workgroup_size: 512
    .name:           _ZN2at6native12_GLOBAL__N_125multi_tensor_apply_kernelINS1_18TensorListMetadataILi1EEENS1_21BinaryOpScalarFunctorIdLi1ELi1ELi0EEEJSt4plusIdEdEEEvT_T0_DpT1_
    .private_segment_fixed_size: 0
    .sgpr_count:     34
    .sgpr_spill_count: 0
    .symbol:         _ZN2at6native12_GLOBAL__N_125multi_tensor_apply_kernelINS1_18TensorListMetadataILi1EEENS1_21BinaryOpScalarFunctorIdLi1ELi1ELi0EEEJSt4plusIdEdEEEvT_T0_DpT1_.kd
    .uniform_work_group_size: 1
    .uses_dynamic_stack: false
    .vgpr_count:     26
    .vgpr_spill_count: 0
    .wavefront_size: 64
  - .agpr_count:     0
    .args:
      - .offset:         0
        .size:           3368
        .value_kind:     by_value
      - .offset:         3368
        .size:           1
        .value_kind:     by_value
      - .offset:         3369
        .size:           1
        .value_kind:     by_value
      - .offset:         3372
        .size:           4
        .value_kind:     by_value
      - .offset:         3376
        .size:           4
        .value_kind:     hidden_block_count_x
      - .offset:         3380
        .size:           4
        .value_kind:     hidden_block_count_y
      - .offset:         3384
        .size:           4
        .value_kind:     hidden_block_count_z
      - .offset:         3388
        .size:           2
        .value_kind:     hidden_group_size_x
      - .offset:         3390
        .size:           2
        .value_kind:     hidden_group_size_y
      - .offset:         3392
        .size:           2
        .value_kind:     hidden_group_size_z
      - .offset:         3394
        .size:           2
        .value_kind:     hidden_remainder_x
      - .offset:         3396
        .size:           2
        .value_kind:     hidden_remainder_y
      - .offset:         3398
        .size:           2
        .value_kind:     hidden_remainder_z
      - .offset:         3416
        .size:           8
        .value_kind:     hidden_global_offset_x
      - .offset:         3424
        .size:           8
        .value_kind:     hidden_global_offset_y
      - .offset:         3432
        .size:           8
        .value_kind:     hidden_global_offset_z
      - .offset:         3440
        .size:           2
        .value_kind:     hidden_grid_dims
    .group_segment_fixed_size: 0
    .kernarg_segment_align: 8
    .kernarg_segment_size: 3632
    .language:       OpenCL C
    .language_version:
      - 2
      - 0
    .max_flat_workgroup_size: 512
    .name:           _ZN2at6native12_GLOBAL__N_125multi_tensor_apply_kernelINS1_18TensorListMetadataILi1EEENS1_21BinaryOpScalarFunctorIfLi1ELi1ELi0EEEJSt4plusIfEfEEEvT_T0_DpT1_
    .private_segment_fixed_size: 0
    .sgpr_count:     33
    .sgpr_spill_count: 0
    .symbol:         _ZN2at6native12_GLOBAL__N_125multi_tensor_apply_kernelINS1_18TensorListMetadataILi1EEENS1_21BinaryOpScalarFunctorIfLi1ELi1ELi0EEEJSt4plusIfEfEEEvT_T0_DpT1_.kd
    .uniform_work_group_size: 1
    .uses_dynamic_stack: false
    .vgpr_count:     22
    .vgpr_spill_count: 0
    .wavefront_size: 64
  - .agpr_count:     0
    .args:
      - .offset:         0
        .size:           3368
        .value_kind:     by_value
      - .offset:         3368
        .size:           1
        .value_kind:     by_value
      - .offset:         3369
        .size:           1
        .value_kind:     by_value
      - .offset:         3376
        .size:           16
        .value_kind:     by_value
      - .offset:         3392
        .size:           4
        .value_kind:     hidden_block_count_x
      - .offset:         3396
        .size:           4
        .value_kind:     hidden_block_count_y
      - .offset:         3400
        .size:           4
        .value_kind:     hidden_block_count_z
      - .offset:         3404
        .size:           2
        .value_kind:     hidden_group_size_x
      - .offset:         3406
        .size:           2
        .value_kind:     hidden_group_size_y
      - .offset:         3408
        .size:           2
        .value_kind:     hidden_group_size_z
      - .offset:         3410
        .size:           2
        .value_kind:     hidden_remainder_x
      - .offset:         3412
        .size:           2
        .value_kind:     hidden_remainder_y
      - .offset:         3414
        .size:           2
        .value_kind:     hidden_remainder_z
      - .offset:         3432
        .size:           8
        .value_kind:     hidden_global_offset_x
      - .offset:         3440
        .size:           8
        .value_kind:     hidden_global_offset_y
      - .offset:         3448
        .size:           8
        .value_kind:     hidden_global_offset_z
      - .offset:         3456
        .size:           2
        .value_kind:     hidden_grid_dims
    .group_segment_fixed_size: 0
    .kernarg_segment_align: 16
    .kernarg_segment_size: 3648
    .language:       OpenCL C
    .language_version:
      - 2
      - 0
    .max_flat_workgroup_size: 512
    .name:           _ZN2at6native12_GLOBAL__N_125multi_tensor_apply_kernelINS1_18TensorListMetadataILi1EEENS1_21BinaryOpScalarFunctorIN3c107complexIdEELi1ELi1ELi0EEEJSt4plusIS8_ES8_EEEvT_T0_DpT1_
    .private_segment_fixed_size: 0
    .sgpr_count:     34
    .sgpr_spill_count: 0
    .symbol:         _ZN2at6native12_GLOBAL__N_125multi_tensor_apply_kernelINS1_18TensorListMetadataILi1EEENS1_21BinaryOpScalarFunctorIN3c107complexIdEELi1ELi1ELi0EEEJSt4plusIS8_ES8_EEEvT_T0_DpT1_.kd
    .uniform_work_group_size: 1
    .uses_dynamic_stack: false
    .vgpr_count:     32
    .vgpr_spill_count: 0
    .wavefront_size: 64
  - .agpr_count:     0
    .args:
      - .offset:         0
        .size:           3368
        .value_kind:     by_value
      - .offset:         3368
        .size:           1
        .value_kind:     by_value
      - .offset:         3369
        .size:           1
        .value_kind:     by_value
      - .offset:         3376
        .size:           8
        .value_kind:     by_value
      - .offset:         3384
        .size:           4
        .value_kind:     hidden_block_count_x
      - .offset:         3388
        .size:           4
        .value_kind:     hidden_block_count_y
      - .offset:         3392
        .size:           4
        .value_kind:     hidden_block_count_z
      - .offset:         3396
        .size:           2
        .value_kind:     hidden_group_size_x
      - .offset:         3398
        .size:           2
        .value_kind:     hidden_group_size_y
      - .offset:         3400
        .size:           2
        .value_kind:     hidden_group_size_z
      - .offset:         3402
        .size:           2
        .value_kind:     hidden_remainder_x
      - .offset:         3404
        .size:           2
        .value_kind:     hidden_remainder_y
      - .offset:         3406
        .size:           2
        .value_kind:     hidden_remainder_z
      - .offset:         3424
        .size:           8
        .value_kind:     hidden_global_offset_x
      - .offset:         3432
        .size:           8
        .value_kind:     hidden_global_offset_y
      - .offset:         3440
        .size:           8
        .value_kind:     hidden_global_offset_z
      - .offset:         3448
        .size:           2
        .value_kind:     hidden_grid_dims
    .group_segment_fixed_size: 4096
    .kernarg_segment_align: 8
    .kernarg_segment_size: 3640
    .language:       OpenCL C
    .language_version:
      - 2
      - 0
    .max_flat_workgroup_size: 512
    .name:           _ZN2at6native12_GLOBAL__N_125multi_tensor_apply_kernelINS1_18TensorListMetadataILi1EEENS1_21BinaryOpScalarFunctorIN3c107complexIfEELi1ELi1ELi0EEEJSt4plusIS8_ES8_EEEvT_T0_DpT1_
    .private_segment_fixed_size: 0
    .sgpr_count:     30
    .sgpr_spill_count: 0
    .symbol:         _ZN2at6native12_GLOBAL__N_125multi_tensor_apply_kernelINS1_18TensorListMetadataILi1EEENS1_21BinaryOpScalarFunctorIN3c107complexIfEELi1ELi1ELi0EEEJSt4plusIS8_ES8_EEEvT_T0_DpT1_.kd
    .uniform_work_group_size: 1
    .uses_dynamic_stack: false
    .vgpr_count:     32
    .vgpr_spill_count: 0
    .wavefront_size: 64
  - .agpr_count:     0
    .args:
      - .offset:         0
        .size:           3368
        .value_kind:     by_value
      - .offset:         3368
        .size:           1
        .value_kind:     by_value
      - .offset:         3369
        .size:           1
        .value_kind:     by_value
      - .offset:         3370
        .size:           1
        .value_kind:     by_value
      - .offset:         3376
        .size:           4
        .value_kind:     hidden_block_count_x
      - .offset:         3380
        .size:           4
        .value_kind:     hidden_block_count_y
      - .offset:         3384
        .size:           4
        .value_kind:     hidden_block_count_z
      - .offset:         3388
        .size:           2
        .value_kind:     hidden_group_size_x
      - .offset:         3390
        .size:           2
        .value_kind:     hidden_group_size_y
      - .offset:         3392
        .size:           2
        .value_kind:     hidden_group_size_z
      - .offset:         3394
        .size:           2
        .value_kind:     hidden_remainder_x
      - .offset:         3396
        .size:           2
        .value_kind:     hidden_remainder_y
      - .offset:         3398
        .size:           2
        .value_kind:     hidden_remainder_z
      - .offset:         3416
        .size:           8
        .value_kind:     hidden_global_offset_x
      - .offset:         3424
        .size:           8
        .value_kind:     hidden_global_offset_y
      - .offset:         3432
        .size:           8
        .value_kind:     hidden_global_offset_z
      - .offset:         3440
        .size:           2
        .value_kind:     hidden_grid_dims
    .group_segment_fixed_size: 0
    .kernarg_segment_align: 8
    .kernarg_segment_size: 3632
    .language:       OpenCL C
    .language_version:
      - 2
      - 0
    .max_flat_workgroup_size: 512
    .name:           _ZN2at6native12_GLOBAL__N_125multi_tensor_apply_kernelINS1_18TensorListMetadataILi1EEENS1_21BinaryOpScalarFunctorIbLi1ELi1ELi0EEEJSt4plusIbEbEEEvT_T0_DpT1_
    .private_segment_fixed_size: 0
    .sgpr_count:     25
    .sgpr_spill_count: 0
    .symbol:         _ZN2at6native12_GLOBAL__N_125multi_tensor_apply_kernelINS1_18TensorListMetadataILi1EEENS1_21BinaryOpScalarFunctorIbLi1ELi1ELi0EEEJSt4plusIbEbEEEvT_T0_DpT1_.kd
    .uniform_work_group_size: 1
    .uses_dynamic_stack: false
    .vgpr_count:     26
    .vgpr_spill_count: 0
    .wavefront_size: 64
  - .agpr_count:     0
    .args:
      - .offset:         0
        .size:           3368
        .value_kind:     by_value
      - .offset:         3368
        .size:           1
        .value_kind:     by_value
      - .offset:         3369
        .size:           1
        .value_kind:     by_value
      - .offset:         3372
        .size:           4
        .value_kind:     by_value
      - .offset:         3376
        .size:           4
        .value_kind:     hidden_block_count_x
      - .offset:         3380
        .size:           4
        .value_kind:     hidden_block_count_y
      - .offset:         3384
        .size:           4
        .value_kind:     hidden_block_count_z
      - .offset:         3388
        .size:           2
        .value_kind:     hidden_group_size_x
      - .offset:         3390
        .size:           2
        .value_kind:     hidden_group_size_y
      - .offset:         3392
        .size:           2
        .value_kind:     hidden_group_size_z
      - .offset:         3394
        .size:           2
        .value_kind:     hidden_remainder_x
      - .offset:         3396
        .size:           2
        .value_kind:     hidden_remainder_y
      - .offset:         3398
        .size:           2
        .value_kind:     hidden_remainder_z
      - .offset:         3416
        .size:           8
        .value_kind:     hidden_global_offset_x
      - .offset:         3424
        .size:           8
        .value_kind:     hidden_global_offset_y
      - .offset:         3432
        .size:           8
        .value_kind:     hidden_global_offset_z
      - .offset:         3440
        .size:           2
        .value_kind:     hidden_grid_dims
    .group_segment_fixed_size: 0
    .kernarg_segment_align: 8
    .kernarg_segment_size: 3632
    .language:       OpenCL C
    .language_version:
      - 2
      - 0
    .max_flat_workgroup_size: 512
    .name:           _ZN2at6native12_GLOBAL__N_125multi_tensor_apply_kernelINS1_18TensorListMetadataILi1EEENS1_21BinaryOpScalarFunctorIN3c104HalfELi1ELi1ELi0EEEJSt4plusIfEfEEEvT_T0_DpT1_
    .private_segment_fixed_size: 0
    .sgpr_count:     32
    .sgpr_spill_count: 0
    .symbol:         _ZN2at6native12_GLOBAL__N_125multi_tensor_apply_kernelINS1_18TensorListMetadataILi1EEENS1_21BinaryOpScalarFunctorIN3c104HalfELi1ELi1ELi0EEEJSt4plusIfEfEEEvT_T0_DpT1_.kd
    .uniform_work_group_size: 1
    .uses_dynamic_stack: false
    .vgpr_count:     22
    .vgpr_spill_count: 0
    .wavefront_size: 64
  - .agpr_count:     0
    .args:
      - .offset:         0
        .size:           3368
        .value_kind:     by_value
      - .offset:         3368
        .size:           1
        .value_kind:     by_value
      - .offset:         3369
        .size:           1
        .value_kind:     by_value
      - .offset:         3372
        .size:           4
        .value_kind:     by_value
      - .offset:         3376
        .size:           4
        .value_kind:     hidden_block_count_x
      - .offset:         3380
        .size:           4
        .value_kind:     hidden_block_count_y
      - .offset:         3384
        .size:           4
        .value_kind:     hidden_block_count_z
      - .offset:         3388
        .size:           2
        .value_kind:     hidden_group_size_x
      - .offset:         3390
        .size:           2
        .value_kind:     hidden_group_size_y
      - .offset:         3392
        .size:           2
        .value_kind:     hidden_group_size_z
      - .offset:         3394
        .size:           2
        .value_kind:     hidden_remainder_x
      - .offset:         3396
        .size:           2
        .value_kind:     hidden_remainder_y
      - .offset:         3398
        .size:           2
        .value_kind:     hidden_remainder_z
      - .offset:         3416
        .size:           8
        .value_kind:     hidden_global_offset_x
      - .offset:         3424
        .size:           8
        .value_kind:     hidden_global_offset_y
      - .offset:         3432
        .size:           8
        .value_kind:     hidden_global_offset_z
      - .offset:         3440
        .size:           2
        .value_kind:     hidden_grid_dims
    .group_segment_fixed_size: 0
    .kernarg_segment_align: 8
    .kernarg_segment_size: 3632
    .language:       OpenCL C
    .language_version:
      - 2
      - 0
    .max_flat_workgroup_size: 512
    .name:           _ZN2at6native12_GLOBAL__N_125multi_tensor_apply_kernelINS1_18TensorListMetadataILi1EEENS1_21BinaryOpScalarFunctorIN3c108BFloat16ELi1ELi1ELi0EEEJSt4plusIfEfEEEvT_T0_DpT1_
    .private_segment_fixed_size: 0
    .sgpr_count:     33
    .sgpr_spill_count: 0
    .symbol:         _ZN2at6native12_GLOBAL__N_125multi_tensor_apply_kernelINS1_18TensorListMetadataILi1EEENS1_21BinaryOpScalarFunctorIN3c108BFloat16ELi1ELi1ELi0EEEJSt4plusIfEfEEEvT_T0_DpT1_.kd
    .uniform_work_group_size: 1
    .uses_dynamic_stack: false
    .vgpr_count:     24
    .vgpr_spill_count: 0
    .wavefront_size: 64
  - .agpr_count:     0
    .args:
      - .offset:         0
        .size:           3144
        .value_kind:     by_value
      - .offset:         3144
        .size:           1
        .value_kind:     by_value
      - .offset:         3145
        .size:           1
        .value_kind:     by_value
      - .offset:         3146
        .size:           1
        .value_kind:     by_value
      - .offset:         3152
        .size:           4
        .value_kind:     hidden_block_count_x
      - .offset:         3156
        .size:           4
        .value_kind:     hidden_block_count_y
      - .offset:         3160
        .size:           4
        .value_kind:     hidden_block_count_z
      - .offset:         3164
        .size:           2
        .value_kind:     hidden_group_size_x
      - .offset:         3166
        .size:           2
        .value_kind:     hidden_group_size_y
      - .offset:         3168
        .size:           2
        .value_kind:     hidden_group_size_z
      - .offset:         3170
        .size:           2
        .value_kind:     hidden_remainder_x
      - .offset:         3172
        .size:           2
        .value_kind:     hidden_remainder_y
      - .offset:         3174
        .size:           2
        .value_kind:     hidden_remainder_z
      - .offset:         3192
        .size:           8
        .value_kind:     hidden_global_offset_x
      - .offset:         3200
        .size:           8
        .value_kind:     hidden_global_offset_y
      - .offset:         3208
        .size:           8
        .value_kind:     hidden_global_offset_z
      - .offset:         3216
        .size:           2
        .value_kind:     hidden_grid_dims
    .group_segment_fixed_size: 0
    .kernarg_segment_align: 8
    .kernarg_segment_size: 3408
    .language:       OpenCL C
    .language_version:
      - 2
      - 0
    .max_flat_workgroup_size: 512
    .name:           _ZN2at6native12_GLOBAL__N_125multi_tensor_apply_kernelINS1_18TensorListMetadataILi2EEENS1_21BinaryOpScalarFunctorIhLi2ELi1ELi1EEEJSt4plusIhEhEEEvT_T0_DpT1_
    .private_segment_fixed_size: 0
    .sgpr_count:     29
    .sgpr_spill_count: 0
    .symbol:         _ZN2at6native12_GLOBAL__N_125multi_tensor_apply_kernelINS1_18TensorListMetadataILi2EEENS1_21BinaryOpScalarFunctorIhLi2ELi1ELi1EEEJSt4plusIhEhEEEvT_T0_DpT1_.kd
    .uniform_work_group_size: 1
    .uses_dynamic_stack: false
    .vgpr_count:     32
    .vgpr_spill_count: 0
    .wavefront_size: 64
  - .agpr_count:     0
    .args:
      - .offset:         0
        .size:           3144
        .value_kind:     by_value
      - .offset:         3144
        .size:           1
        .value_kind:     by_value
      - .offset:         3145
        .size:           1
        .value_kind:     by_value
      - .offset:         3146
        .size:           1
        .value_kind:     by_value
      - .offset:         3152
        .size:           4
        .value_kind:     hidden_block_count_x
      - .offset:         3156
        .size:           4
        .value_kind:     hidden_block_count_y
      - .offset:         3160
        .size:           4
        .value_kind:     hidden_block_count_z
      - .offset:         3164
        .size:           2
        .value_kind:     hidden_group_size_x
      - .offset:         3166
        .size:           2
        .value_kind:     hidden_group_size_y
      - .offset:         3168
        .size:           2
        .value_kind:     hidden_group_size_z
      - .offset:         3170
        .size:           2
        .value_kind:     hidden_remainder_x
      - .offset:         3172
        .size:           2
        .value_kind:     hidden_remainder_y
      - .offset:         3174
        .size:           2
        .value_kind:     hidden_remainder_z
      - .offset:         3192
        .size:           8
        .value_kind:     hidden_global_offset_x
      - .offset:         3200
        .size:           8
        .value_kind:     hidden_global_offset_y
      - .offset:         3208
        .size:           8
        .value_kind:     hidden_global_offset_z
      - .offset:         3216
        .size:           2
        .value_kind:     hidden_grid_dims
    .group_segment_fixed_size: 0
    .kernarg_segment_align: 8
    .kernarg_segment_size: 3408
    .language:       OpenCL C
    .language_version:
      - 2
      - 0
    .max_flat_workgroup_size: 512
    .name:           _ZN2at6native12_GLOBAL__N_125multi_tensor_apply_kernelINS1_18TensorListMetadataILi2EEENS1_21BinaryOpScalarFunctorIaLi2ELi1ELi1EEEJSt4plusIaEaEEEvT_T0_DpT1_
    .private_segment_fixed_size: 0
    .sgpr_count:     29
    .sgpr_spill_count: 0
    .symbol:         _ZN2at6native12_GLOBAL__N_125multi_tensor_apply_kernelINS1_18TensorListMetadataILi2EEENS1_21BinaryOpScalarFunctorIaLi2ELi1ELi1EEEJSt4plusIaEaEEEvT_T0_DpT1_.kd
    .uniform_work_group_size: 1
    .uses_dynamic_stack: false
    .vgpr_count:     32
    .vgpr_spill_count: 0
    .wavefront_size: 64
  - .agpr_count:     0
    .args:
      - .offset:         0
        .size:           3144
        .value_kind:     by_value
      - .offset:         3144
        .size:           1
        .value_kind:     by_value
      - .offset:         3145
        .size:           1
        .value_kind:     by_value
      - .offset:         3148
        .size:           4
        .value_kind:     by_value
      - .offset:         3152
        .size:           4
        .value_kind:     hidden_block_count_x
      - .offset:         3156
        .size:           4
        .value_kind:     hidden_block_count_y
      - .offset:         3160
        .size:           4
        .value_kind:     hidden_block_count_z
      - .offset:         3164
        .size:           2
        .value_kind:     hidden_group_size_x
      - .offset:         3166
        .size:           2
        .value_kind:     hidden_group_size_y
      - .offset:         3168
        .size:           2
        .value_kind:     hidden_group_size_z
      - .offset:         3170
        .size:           2
        .value_kind:     hidden_remainder_x
      - .offset:         3172
        .size:           2
        .value_kind:     hidden_remainder_y
      - .offset:         3174
        .size:           2
        .value_kind:     hidden_remainder_z
      - .offset:         3192
        .size:           8
        .value_kind:     hidden_global_offset_x
      - .offset:         3200
        .size:           8
        .value_kind:     hidden_global_offset_y
      - .offset:         3208
        .size:           8
        .value_kind:     hidden_global_offset_z
      - .offset:         3216
        .size:           2
        .value_kind:     hidden_grid_dims
    .group_segment_fixed_size: 0
    .kernarg_segment_align: 8
    .kernarg_segment_size: 3408
    .language:       OpenCL C
    .language_version:
      - 2
      - 0
    .max_flat_workgroup_size: 512
    .name:           _ZN2at6native12_GLOBAL__N_125multi_tensor_apply_kernelINS1_18TensorListMetadataILi2EEENS1_21BinaryOpScalarFunctorIiLi2ELi1ELi1EEEJSt4plusIiEiEEEvT_T0_DpT1_
    .private_segment_fixed_size: 0
    .sgpr_count:     32
    .sgpr_spill_count: 0
    .symbol:         _ZN2at6native12_GLOBAL__N_125multi_tensor_apply_kernelINS1_18TensorListMetadataILi2EEENS1_21BinaryOpScalarFunctorIiLi2ELi1ELi1EEEJSt4plusIiEiEEEvT_T0_DpT1_.kd
    .uniform_work_group_size: 1
    .uses_dynamic_stack: false
    .vgpr_count:     30
    .vgpr_spill_count: 0
    .wavefront_size: 64
  - .agpr_count:     0
    .args:
      - .offset:         0
        .size:           3144
        .value_kind:     by_value
      - .offset:         3144
        .size:           1
        .value_kind:     by_value
      - .offset:         3145
        .size:           1
        .value_kind:     by_value
      - .offset:         3152
        .size:           8
        .value_kind:     by_value
      - .offset:         3160
        .size:           4
        .value_kind:     hidden_block_count_x
      - .offset:         3164
        .size:           4
        .value_kind:     hidden_block_count_y
      - .offset:         3168
        .size:           4
        .value_kind:     hidden_block_count_z
      - .offset:         3172
        .size:           2
        .value_kind:     hidden_group_size_x
      - .offset:         3174
        .size:           2
        .value_kind:     hidden_group_size_y
      - .offset:         3176
        .size:           2
        .value_kind:     hidden_group_size_z
      - .offset:         3178
        .size:           2
        .value_kind:     hidden_remainder_x
      - .offset:         3180
        .size:           2
        .value_kind:     hidden_remainder_y
      - .offset:         3182
        .size:           2
        .value_kind:     hidden_remainder_z
      - .offset:         3200
        .size:           8
        .value_kind:     hidden_global_offset_x
      - .offset:         3208
        .size:           8
        .value_kind:     hidden_global_offset_y
      - .offset:         3216
        .size:           8
        .value_kind:     hidden_global_offset_z
      - .offset:         3224
        .size:           2
        .value_kind:     hidden_grid_dims
    .group_segment_fixed_size: 0
    .kernarg_segment_align: 8
    .kernarg_segment_size: 3416
    .language:       OpenCL C
    .language_version:
      - 2
      - 0
    .max_flat_workgroup_size: 512
    .name:           _ZN2at6native12_GLOBAL__N_125multi_tensor_apply_kernelINS1_18TensorListMetadataILi2EEENS1_21BinaryOpScalarFunctorIlLi2ELi1ELi1EEEJSt4plusIlElEEEvT_T0_DpT1_
    .private_segment_fixed_size: 0
    .sgpr_count:     33
    .sgpr_spill_count: 0
    .symbol:         _ZN2at6native12_GLOBAL__N_125multi_tensor_apply_kernelINS1_18TensorListMetadataILi2EEENS1_21BinaryOpScalarFunctorIlLi2ELi1ELi1EEEJSt4plusIlElEEEvT_T0_DpT1_.kd
    .uniform_work_group_size: 1
    .uses_dynamic_stack: false
    .vgpr_count:     34
    .vgpr_spill_count: 0
    .wavefront_size: 64
  - .agpr_count:     0
    .args:
      - .offset:         0
        .size:           3144
        .value_kind:     by_value
      - .offset:         3144
        .size:           1
        .value_kind:     by_value
      - .offset:         3145
        .size:           1
        .value_kind:     by_value
      - .offset:         3146
        .size:           2
        .value_kind:     by_value
      - .offset:         3152
        .size:           4
        .value_kind:     hidden_block_count_x
      - .offset:         3156
        .size:           4
        .value_kind:     hidden_block_count_y
      - .offset:         3160
        .size:           4
        .value_kind:     hidden_block_count_z
      - .offset:         3164
        .size:           2
        .value_kind:     hidden_group_size_x
      - .offset:         3166
        .size:           2
        .value_kind:     hidden_group_size_y
      - .offset:         3168
        .size:           2
        .value_kind:     hidden_group_size_z
      - .offset:         3170
        .size:           2
        .value_kind:     hidden_remainder_x
      - .offset:         3172
        .size:           2
        .value_kind:     hidden_remainder_y
      - .offset:         3174
        .size:           2
        .value_kind:     hidden_remainder_z
      - .offset:         3192
        .size:           8
        .value_kind:     hidden_global_offset_x
      - .offset:         3200
        .size:           8
        .value_kind:     hidden_global_offset_y
      - .offset:         3208
        .size:           8
        .value_kind:     hidden_global_offset_z
      - .offset:         3216
        .size:           2
        .value_kind:     hidden_grid_dims
    .group_segment_fixed_size: 0
    .kernarg_segment_align: 8
    .kernarg_segment_size: 3408
    .language:       OpenCL C
    .language_version:
      - 2
      - 0
    .max_flat_workgroup_size: 512
    .name:           _ZN2at6native12_GLOBAL__N_125multi_tensor_apply_kernelINS1_18TensorListMetadataILi2EEENS1_21BinaryOpScalarFunctorIsLi2ELi1ELi1EEEJSt4plusIsEsEEEvT_T0_DpT1_
    .private_segment_fixed_size: 0
    .sgpr_count:     32
    .sgpr_spill_count: 0
    .symbol:         _ZN2at6native12_GLOBAL__N_125multi_tensor_apply_kernelINS1_18TensorListMetadataILi2EEENS1_21BinaryOpScalarFunctorIsLi2ELi1ELi1EEEJSt4plusIsEsEEEvT_T0_DpT1_.kd
    .uniform_work_group_size: 1
    .uses_dynamic_stack: false
    .vgpr_count:     30
    .vgpr_spill_count: 0
    .wavefront_size: 64
  - .agpr_count:     0
    .args:
      - .offset:         0
        .size:           3144
        .value_kind:     by_value
      - .offset:         3144
        .size:           1
        .value_kind:     by_value
      - .offset:         3145
        .size:           1
        .value_kind:     by_value
      - .offset:         3152
        .size:           8
        .value_kind:     by_value
      - .offset:         3160
        .size:           4
        .value_kind:     hidden_block_count_x
      - .offset:         3164
        .size:           4
        .value_kind:     hidden_block_count_y
      - .offset:         3168
        .size:           4
        .value_kind:     hidden_block_count_z
      - .offset:         3172
        .size:           2
        .value_kind:     hidden_group_size_x
      - .offset:         3174
        .size:           2
        .value_kind:     hidden_group_size_y
      - .offset:         3176
        .size:           2
        .value_kind:     hidden_group_size_z
      - .offset:         3178
        .size:           2
        .value_kind:     hidden_remainder_x
      - .offset:         3180
        .size:           2
        .value_kind:     hidden_remainder_y
      - .offset:         3182
        .size:           2
        .value_kind:     hidden_remainder_z
      - .offset:         3200
        .size:           8
        .value_kind:     hidden_global_offset_x
      - .offset:         3208
        .size:           8
        .value_kind:     hidden_global_offset_y
      - .offset:         3216
        .size:           8
        .value_kind:     hidden_global_offset_z
      - .offset:         3224
        .size:           2
        .value_kind:     hidden_grid_dims
    .group_segment_fixed_size: 0
    .kernarg_segment_align: 8
    .kernarg_segment_size: 3416
    .language:       OpenCL C
    .language_version:
      - 2
      - 0
    .max_flat_workgroup_size: 512
    .name:           _ZN2at6native12_GLOBAL__N_125multi_tensor_apply_kernelINS1_18TensorListMetadataILi2EEENS1_21BinaryOpScalarFunctorIdLi2ELi1ELi1EEEJSt4plusIdEdEEEvT_T0_DpT1_
    .private_segment_fixed_size: 0
    .sgpr_count:     33
    .sgpr_spill_count: 0
    .symbol:         _ZN2at6native12_GLOBAL__N_125multi_tensor_apply_kernelINS1_18TensorListMetadataILi2EEENS1_21BinaryOpScalarFunctorIdLi2ELi1ELi1EEEJSt4plusIdEdEEEvT_T0_DpT1_.kd
    .uniform_work_group_size: 1
    .uses_dynamic_stack: false
    .vgpr_count:     34
    .vgpr_spill_count: 0
    .wavefront_size: 64
  - .agpr_count:     0
    .args:
      - .offset:         0
        .size:           3144
        .value_kind:     by_value
      - .offset:         3144
        .size:           1
        .value_kind:     by_value
      - .offset:         3145
        .size:           1
        .value_kind:     by_value
      - .offset:         3148
        .size:           4
        .value_kind:     by_value
      - .offset:         3152
        .size:           4
        .value_kind:     hidden_block_count_x
      - .offset:         3156
        .size:           4
        .value_kind:     hidden_block_count_y
      - .offset:         3160
        .size:           4
        .value_kind:     hidden_block_count_z
      - .offset:         3164
        .size:           2
        .value_kind:     hidden_group_size_x
      - .offset:         3166
        .size:           2
        .value_kind:     hidden_group_size_y
      - .offset:         3168
        .size:           2
        .value_kind:     hidden_group_size_z
      - .offset:         3170
        .size:           2
        .value_kind:     hidden_remainder_x
      - .offset:         3172
        .size:           2
        .value_kind:     hidden_remainder_y
      - .offset:         3174
        .size:           2
        .value_kind:     hidden_remainder_z
      - .offset:         3192
        .size:           8
        .value_kind:     hidden_global_offset_x
      - .offset:         3200
        .size:           8
        .value_kind:     hidden_global_offset_y
      - .offset:         3208
        .size:           8
        .value_kind:     hidden_global_offset_z
      - .offset:         3216
        .size:           2
        .value_kind:     hidden_grid_dims
    .group_segment_fixed_size: 0
    .kernarg_segment_align: 8
    .kernarg_segment_size: 3408
    .language:       OpenCL C
    .language_version:
      - 2
      - 0
    .max_flat_workgroup_size: 512
    .name:           _ZN2at6native12_GLOBAL__N_125multi_tensor_apply_kernelINS1_18TensorListMetadataILi2EEENS1_21BinaryOpScalarFunctorIfLi2ELi1ELi1EEEJSt4plusIfEfEEEvT_T0_DpT1_
    .private_segment_fixed_size: 0
    .sgpr_count:     32
    .sgpr_spill_count: 0
    .symbol:         _ZN2at6native12_GLOBAL__N_125multi_tensor_apply_kernelINS1_18TensorListMetadataILi2EEENS1_21BinaryOpScalarFunctorIfLi2ELi1ELi1EEEJSt4plusIfEfEEEvT_T0_DpT1_.kd
    .uniform_work_group_size: 1
    .uses_dynamic_stack: false
    .vgpr_count:     30
    .vgpr_spill_count: 0
    .wavefront_size: 64
  - .agpr_count:     0
    .args:
      - .offset:         0
        .size:           3144
        .value_kind:     by_value
      - .offset:         3144
        .size:           1
        .value_kind:     by_value
      - .offset:         3145
        .size:           1
        .value_kind:     by_value
      - .offset:         3152
        .size:           16
        .value_kind:     by_value
      - .offset:         3168
        .size:           4
        .value_kind:     hidden_block_count_x
      - .offset:         3172
        .size:           4
        .value_kind:     hidden_block_count_y
      - .offset:         3176
        .size:           4
        .value_kind:     hidden_block_count_z
      - .offset:         3180
        .size:           2
        .value_kind:     hidden_group_size_x
      - .offset:         3182
        .size:           2
        .value_kind:     hidden_group_size_y
      - .offset:         3184
        .size:           2
        .value_kind:     hidden_group_size_z
      - .offset:         3186
        .size:           2
        .value_kind:     hidden_remainder_x
      - .offset:         3188
        .size:           2
        .value_kind:     hidden_remainder_y
      - .offset:         3190
        .size:           2
        .value_kind:     hidden_remainder_z
      - .offset:         3208
        .size:           8
        .value_kind:     hidden_global_offset_x
      - .offset:         3216
        .size:           8
        .value_kind:     hidden_global_offset_y
      - .offset:         3224
        .size:           8
        .value_kind:     hidden_global_offset_z
      - .offset:         3232
        .size:           2
        .value_kind:     hidden_grid_dims
    .group_segment_fixed_size: 0
    .kernarg_segment_align: 16
    .kernarg_segment_size: 3424
    .language:       OpenCL C
    .language_version:
      - 2
      - 0
    .max_flat_workgroup_size: 512
    .name:           _ZN2at6native12_GLOBAL__N_125multi_tensor_apply_kernelINS1_18TensorListMetadataILi2EEENS1_21BinaryOpScalarFunctorIN3c107complexIdEELi2ELi1ELi1EEEJSt4plusIS8_ES8_EEEvT_T0_DpT1_
    .private_segment_fixed_size: 0
    .sgpr_count:     43
    .sgpr_spill_count: 0
    .symbol:         _ZN2at6native12_GLOBAL__N_125multi_tensor_apply_kernelINS1_18TensorListMetadataILi2EEENS1_21BinaryOpScalarFunctorIN3c107complexIdEELi2ELi1ELi1EEEJSt4plusIS8_ES8_EEEvT_T0_DpT1_.kd
    .uniform_work_group_size: 1
    .uses_dynamic_stack: false
    .vgpr_count:     38
    .vgpr_spill_count: 0
    .wavefront_size: 64
  - .agpr_count:     0
    .args:
      - .offset:         0
        .size:           3144
        .value_kind:     by_value
      - .offset:         3144
        .size:           1
        .value_kind:     by_value
      - .offset:         3145
        .size:           1
        .value_kind:     by_value
      - .offset:         3152
        .size:           8
        .value_kind:     by_value
      - .offset:         3160
        .size:           4
        .value_kind:     hidden_block_count_x
      - .offset:         3164
        .size:           4
        .value_kind:     hidden_block_count_y
      - .offset:         3168
        .size:           4
        .value_kind:     hidden_block_count_z
      - .offset:         3172
        .size:           2
        .value_kind:     hidden_group_size_x
      - .offset:         3174
        .size:           2
        .value_kind:     hidden_group_size_y
      - .offset:         3176
        .size:           2
        .value_kind:     hidden_group_size_z
      - .offset:         3178
        .size:           2
        .value_kind:     hidden_remainder_x
      - .offset:         3180
        .size:           2
        .value_kind:     hidden_remainder_y
      - .offset:         3182
        .size:           2
        .value_kind:     hidden_remainder_z
      - .offset:         3200
        .size:           8
        .value_kind:     hidden_global_offset_x
      - .offset:         3208
        .size:           8
        .value_kind:     hidden_global_offset_y
      - .offset:         3216
        .size:           8
        .value_kind:     hidden_global_offset_z
      - .offset:         3224
        .size:           2
        .value_kind:     hidden_grid_dims
    .group_segment_fixed_size: 4096
    .kernarg_segment_align: 8
    .kernarg_segment_size: 3416
    .language:       OpenCL C
    .language_version:
      - 2
      - 0
    .max_flat_workgroup_size: 512
    .name:           _ZN2at6native12_GLOBAL__N_125multi_tensor_apply_kernelINS1_18TensorListMetadataILi2EEENS1_21BinaryOpScalarFunctorIN3c107complexIfEELi2ELi1ELi1EEEJSt4plusIS8_ES8_EEEvT_T0_DpT1_
    .private_segment_fixed_size: 0
    .sgpr_count:     31
    .sgpr_spill_count: 0
    .symbol:         _ZN2at6native12_GLOBAL__N_125multi_tensor_apply_kernelINS1_18TensorListMetadataILi2EEENS1_21BinaryOpScalarFunctorIN3c107complexIfEELi2ELi1ELi1EEEJSt4plusIS8_ES8_EEEvT_T0_DpT1_.kd
    .uniform_work_group_size: 1
    .uses_dynamic_stack: false
    .vgpr_count:     38
    .vgpr_spill_count: 0
    .wavefront_size: 64
  - .agpr_count:     0
    .args:
      - .offset:         0
        .size:           3144
        .value_kind:     by_value
      - .offset:         3144
        .size:           1
        .value_kind:     by_value
      - .offset:         3145
        .size:           1
        .value_kind:     by_value
      - .offset:         3146
        .size:           1
        .value_kind:     by_value
      - .offset:         3152
        .size:           4
        .value_kind:     hidden_block_count_x
      - .offset:         3156
        .size:           4
        .value_kind:     hidden_block_count_y
      - .offset:         3160
        .size:           4
        .value_kind:     hidden_block_count_z
      - .offset:         3164
        .size:           2
        .value_kind:     hidden_group_size_x
      - .offset:         3166
        .size:           2
        .value_kind:     hidden_group_size_y
      - .offset:         3168
        .size:           2
        .value_kind:     hidden_group_size_z
      - .offset:         3170
        .size:           2
        .value_kind:     hidden_remainder_x
      - .offset:         3172
        .size:           2
        .value_kind:     hidden_remainder_y
      - .offset:         3174
        .size:           2
        .value_kind:     hidden_remainder_z
      - .offset:         3192
        .size:           8
        .value_kind:     hidden_global_offset_x
      - .offset:         3200
        .size:           8
        .value_kind:     hidden_global_offset_y
      - .offset:         3208
        .size:           8
        .value_kind:     hidden_global_offset_z
      - .offset:         3216
        .size:           2
        .value_kind:     hidden_grid_dims
    .group_segment_fixed_size: 0
    .kernarg_segment_align: 8
    .kernarg_segment_size: 3408
    .language:       OpenCL C
    .language_version:
      - 2
      - 0
    .max_flat_workgroup_size: 512
    .name:           _ZN2at6native12_GLOBAL__N_125multi_tensor_apply_kernelINS1_18TensorListMetadataILi2EEENS1_21BinaryOpScalarFunctorIbLi2ELi1ELi1EEEJSt4plusIbEbEEEvT_T0_DpT1_
    .private_segment_fixed_size: 0
    .sgpr_count:     27
    .sgpr_spill_count: 0
    .symbol:         _ZN2at6native12_GLOBAL__N_125multi_tensor_apply_kernelINS1_18TensorListMetadataILi2EEENS1_21BinaryOpScalarFunctorIbLi2ELi1ELi1EEEJSt4plusIbEbEEEvT_T0_DpT1_.kd
    .uniform_work_group_size: 1
    .uses_dynamic_stack: false
    .vgpr_count:     32
    .vgpr_spill_count: 0
    .wavefront_size: 64
  - .agpr_count:     0
    .args:
      - .offset:         0
        .size:           3144
        .value_kind:     by_value
      - .offset:         3144
        .size:           1
        .value_kind:     by_value
      - .offset:         3145
        .size:           1
        .value_kind:     by_value
      - .offset:         3148
        .size:           4
        .value_kind:     by_value
      - .offset:         3152
        .size:           4
        .value_kind:     hidden_block_count_x
      - .offset:         3156
        .size:           4
        .value_kind:     hidden_block_count_y
      - .offset:         3160
        .size:           4
        .value_kind:     hidden_block_count_z
      - .offset:         3164
        .size:           2
        .value_kind:     hidden_group_size_x
      - .offset:         3166
        .size:           2
        .value_kind:     hidden_group_size_y
      - .offset:         3168
        .size:           2
        .value_kind:     hidden_group_size_z
      - .offset:         3170
        .size:           2
        .value_kind:     hidden_remainder_x
      - .offset:         3172
        .size:           2
        .value_kind:     hidden_remainder_y
      - .offset:         3174
        .size:           2
        .value_kind:     hidden_remainder_z
      - .offset:         3192
        .size:           8
        .value_kind:     hidden_global_offset_x
      - .offset:         3200
        .size:           8
        .value_kind:     hidden_global_offset_y
      - .offset:         3208
        .size:           8
        .value_kind:     hidden_global_offset_z
      - .offset:         3216
        .size:           2
        .value_kind:     hidden_grid_dims
    .group_segment_fixed_size: 0
    .kernarg_segment_align: 8
    .kernarg_segment_size: 3408
    .language:       OpenCL C
    .language_version:
      - 2
      - 0
    .max_flat_workgroup_size: 512
    .name:           _ZN2at6native12_GLOBAL__N_125multi_tensor_apply_kernelINS1_18TensorListMetadataILi2EEENS1_21BinaryOpScalarFunctorIN3c104HalfELi2ELi1ELi1EEEJSt4plusIfEfEEEvT_T0_DpT1_
    .private_segment_fixed_size: 0
    .sgpr_count:     32
    .sgpr_spill_count: 0
    .symbol:         _ZN2at6native12_GLOBAL__N_125multi_tensor_apply_kernelINS1_18TensorListMetadataILi2EEENS1_21BinaryOpScalarFunctorIN3c104HalfELi2ELi1ELi1EEEJSt4plusIfEfEEEvT_T0_DpT1_.kd
    .uniform_work_group_size: 1
    .uses_dynamic_stack: false
    .vgpr_count:     30
    .vgpr_spill_count: 0
    .wavefront_size: 64
  - .agpr_count:     0
    .args:
      - .offset:         0
        .size:           3144
        .value_kind:     by_value
      - .offset:         3144
        .size:           1
        .value_kind:     by_value
      - .offset:         3145
        .size:           1
        .value_kind:     by_value
      - .offset:         3148
        .size:           4
        .value_kind:     by_value
      - .offset:         3152
        .size:           4
        .value_kind:     hidden_block_count_x
      - .offset:         3156
        .size:           4
        .value_kind:     hidden_block_count_y
      - .offset:         3160
        .size:           4
        .value_kind:     hidden_block_count_z
      - .offset:         3164
        .size:           2
        .value_kind:     hidden_group_size_x
      - .offset:         3166
        .size:           2
        .value_kind:     hidden_group_size_y
      - .offset:         3168
        .size:           2
        .value_kind:     hidden_group_size_z
      - .offset:         3170
        .size:           2
        .value_kind:     hidden_remainder_x
      - .offset:         3172
        .size:           2
        .value_kind:     hidden_remainder_y
      - .offset:         3174
        .size:           2
        .value_kind:     hidden_remainder_z
      - .offset:         3192
        .size:           8
        .value_kind:     hidden_global_offset_x
      - .offset:         3200
        .size:           8
        .value_kind:     hidden_global_offset_y
      - .offset:         3208
        .size:           8
        .value_kind:     hidden_global_offset_z
      - .offset:         3216
        .size:           2
        .value_kind:     hidden_grid_dims
    .group_segment_fixed_size: 0
    .kernarg_segment_align: 8
    .kernarg_segment_size: 3408
    .language:       OpenCL C
    .language_version:
      - 2
      - 0
    .max_flat_workgroup_size: 512
    .name:           _ZN2at6native12_GLOBAL__N_125multi_tensor_apply_kernelINS1_18TensorListMetadataILi2EEENS1_21BinaryOpScalarFunctorIN3c108BFloat16ELi2ELi1ELi1EEEJSt4plusIfEfEEEvT_T0_DpT1_
    .private_segment_fixed_size: 0
    .sgpr_count:     33
    .sgpr_spill_count: 0
    .symbol:         _ZN2at6native12_GLOBAL__N_125multi_tensor_apply_kernelINS1_18TensorListMetadataILi2EEENS1_21BinaryOpScalarFunctorIN3c108BFloat16ELi2ELi1ELi1EEEJSt4plusIfEfEEEvT_T0_DpT1_.kd
    .uniform_work_group_size: 1
    .uses_dynamic_stack: false
    .vgpr_count:     31
    .vgpr_spill_count: 0
    .wavefront_size: 64
  - .agpr_count:     0
    .args:
      - .offset:         0
        .size:           3368
        .value_kind:     by_value
      - .offset:         3368
        .size:           1
        .value_kind:     by_value
      - .offset:         3369
        .size:           1
        .value_kind:     by_value
      - .offset:         3370
        .size:           1
        .value_kind:     by_value
      - .offset:         3376
        .size:           4
        .value_kind:     hidden_block_count_x
      - .offset:         3380
        .size:           4
        .value_kind:     hidden_block_count_y
      - .offset:         3384
        .size:           4
        .value_kind:     hidden_block_count_z
      - .offset:         3388
        .size:           2
        .value_kind:     hidden_group_size_x
      - .offset:         3390
        .size:           2
        .value_kind:     hidden_group_size_y
      - .offset:         3392
        .size:           2
        .value_kind:     hidden_group_size_z
      - .offset:         3394
        .size:           2
        .value_kind:     hidden_remainder_x
      - .offset:         3396
        .size:           2
        .value_kind:     hidden_remainder_y
      - .offset:         3398
        .size:           2
        .value_kind:     hidden_remainder_z
      - .offset:         3416
        .size:           8
        .value_kind:     hidden_global_offset_x
      - .offset:         3424
        .size:           8
        .value_kind:     hidden_global_offset_y
      - .offset:         3432
        .size:           8
        .value_kind:     hidden_global_offset_z
      - .offset:         3440
        .size:           2
        .value_kind:     hidden_grid_dims
    .group_segment_fixed_size: 0
    .kernarg_segment_align: 8
    .kernarg_segment_size: 3632
    .language:       OpenCL C
    .language_version:
      - 2
      - 0
    .max_flat_workgroup_size: 512
    .name:           _ZN2at6native12_GLOBAL__N_125multi_tensor_apply_kernelINS1_18TensorListMetadataILi1EEENS1_21BinaryOpScalarFunctorIhLi1ELi1ELi0EEEJSt10multipliesIhEhEEEvT_T0_DpT1_
    .private_segment_fixed_size: 0
    .sgpr_count:     27
    .sgpr_spill_count: 0
    .symbol:         _ZN2at6native12_GLOBAL__N_125multi_tensor_apply_kernelINS1_18TensorListMetadataILi1EEENS1_21BinaryOpScalarFunctorIhLi1ELi1ELi0EEEJSt10multipliesIhEhEEEvT_T0_DpT1_.kd
    .uniform_work_group_size: 1
    .uses_dynamic_stack: false
    .vgpr_count:     26
    .vgpr_spill_count: 0
    .wavefront_size: 64
  - .agpr_count:     0
    .args:
      - .offset:         0
        .size:           3368
        .value_kind:     by_value
      - .offset:         3368
        .size:           1
        .value_kind:     by_value
      - .offset:         3369
        .size:           1
        .value_kind:     by_value
      - .offset:         3370
        .size:           1
        .value_kind:     by_value
      - .offset:         3376
        .size:           4
        .value_kind:     hidden_block_count_x
      - .offset:         3380
        .size:           4
        .value_kind:     hidden_block_count_y
      - .offset:         3384
        .size:           4
        .value_kind:     hidden_block_count_z
      - .offset:         3388
        .size:           2
        .value_kind:     hidden_group_size_x
      - .offset:         3390
        .size:           2
        .value_kind:     hidden_group_size_y
      - .offset:         3392
        .size:           2
        .value_kind:     hidden_group_size_z
      - .offset:         3394
        .size:           2
        .value_kind:     hidden_remainder_x
      - .offset:         3396
        .size:           2
        .value_kind:     hidden_remainder_y
      - .offset:         3398
        .size:           2
        .value_kind:     hidden_remainder_z
      - .offset:         3416
        .size:           8
        .value_kind:     hidden_global_offset_x
      - .offset:         3424
        .size:           8
        .value_kind:     hidden_global_offset_y
      - .offset:         3432
        .size:           8
        .value_kind:     hidden_global_offset_z
      - .offset:         3440
        .size:           2
        .value_kind:     hidden_grid_dims
    .group_segment_fixed_size: 0
    .kernarg_segment_align: 8
    .kernarg_segment_size: 3632
    .language:       OpenCL C
    .language_version:
      - 2
      - 0
    .max_flat_workgroup_size: 512
    .name:           _ZN2at6native12_GLOBAL__N_125multi_tensor_apply_kernelINS1_18TensorListMetadataILi1EEENS1_21BinaryOpScalarFunctorIaLi1ELi1ELi0EEEJSt10multipliesIaEaEEEvT_T0_DpT1_
    .private_segment_fixed_size: 0
    .sgpr_count:     27
    .sgpr_spill_count: 0
    .symbol:         _ZN2at6native12_GLOBAL__N_125multi_tensor_apply_kernelINS1_18TensorListMetadataILi1EEENS1_21BinaryOpScalarFunctorIaLi1ELi1ELi0EEEJSt10multipliesIaEaEEEvT_T0_DpT1_.kd
    .uniform_work_group_size: 1
    .uses_dynamic_stack: false
    .vgpr_count:     26
    .vgpr_spill_count: 0
    .wavefront_size: 64
  - .agpr_count:     0
    .args:
      - .offset:         0
        .size:           3368
        .value_kind:     by_value
      - .offset:         3368
        .size:           1
        .value_kind:     by_value
      - .offset:         3369
        .size:           1
        .value_kind:     by_value
      - .offset:         3372
        .size:           4
        .value_kind:     by_value
      - .offset:         3376
        .size:           4
        .value_kind:     hidden_block_count_x
      - .offset:         3380
        .size:           4
        .value_kind:     hidden_block_count_y
      - .offset:         3384
        .size:           4
        .value_kind:     hidden_block_count_z
      - .offset:         3388
        .size:           2
        .value_kind:     hidden_group_size_x
      - .offset:         3390
        .size:           2
        .value_kind:     hidden_group_size_y
      - .offset:         3392
        .size:           2
        .value_kind:     hidden_group_size_z
      - .offset:         3394
        .size:           2
        .value_kind:     hidden_remainder_x
      - .offset:         3396
        .size:           2
        .value_kind:     hidden_remainder_y
      - .offset:         3398
        .size:           2
        .value_kind:     hidden_remainder_z
      - .offset:         3416
        .size:           8
        .value_kind:     hidden_global_offset_x
      - .offset:         3424
        .size:           8
        .value_kind:     hidden_global_offset_y
      - .offset:         3432
        .size:           8
        .value_kind:     hidden_global_offset_z
      - .offset:         3440
        .size:           2
        .value_kind:     hidden_grid_dims
    .group_segment_fixed_size: 0
    .kernarg_segment_align: 8
    .kernarg_segment_size: 3632
    .language:       OpenCL C
    .language_version:
      - 2
      - 0
    .max_flat_workgroup_size: 512
    .name:           _ZN2at6native12_GLOBAL__N_125multi_tensor_apply_kernelINS1_18TensorListMetadataILi1EEENS1_21BinaryOpScalarFunctorIiLi1ELi1ELi0EEEJSt10multipliesIiEiEEEvT_T0_DpT1_
    .private_segment_fixed_size: 0
    .sgpr_count:     33
    .sgpr_spill_count: 0
    .symbol:         _ZN2at6native12_GLOBAL__N_125multi_tensor_apply_kernelINS1_18TensorListMetadataILi1EEENS1_21BinaryOpScalarFunctorIiLi1ELi1ELi0EEEJSt10multipliesIiEiEEEvT_T0_DpT1_.kd
    .uniform_work_group_size: 1
    .uses_dynamic_stack: false
    .vgpr_count:     22
    .vgpr_spill_count: 0
    .wavefront_size: 64
  - .agpr_count:     0
    .args:
      - .offset:         0
        .size:           3368
        .value_kind:     by_value
      - .offset:         3368
        .size:           1
        .value_kind:     by_value
      - .offset:         3369
        .size:           1
        .value_kind:     by_value
      - .offset:         3376
        .size:           8
        .value_kind:     by_value
      - .offset:         3384
        .size:           4
        .value_kind:     hidden_block_count_x
      - .offset:         3388
        .size:           4
        .value_kind:     hidden_block_count_y
      - .offset:         3392
        .size:           4
        .value_kind:     hidden_block_count_z
      - .offset:         3396
        .size:           2
        .value_kind:     hidden_group_size_x
      - .offset:         3398
        .size:           2
        .value_kind:     hidden_group_size_y
      - .offset:         3400
        .size:           2
        .value_kind:     hidden_group_size_z
      - .offset:         3402
        .size:           2
        .value_kind:     hidden_remainder_x
      - .offset:         3404
        .size:           2
        .value_kind:     hidden_remainder_y
      - .offset:         3406
        .size:           2
        .value_kind:     hidden_remainder_z
      - .offset:         3424
        .size:           8
        .value_kind:     hidden_global_offset_x
      - .offset:         3432
        .size:           8
        .value_kind:     hidden_global_offset_y
      - .offset:         3440
        .size:           8
        .value_kind:     hidden_global_offset_z
      - .offset:         3448
        .size:           2
        .value_kind:     hidden_grid_dims
    .group_segment_fixed_size: 0
    .kernarg_segment_align: 8
    .kernarg_segment_size: 3640
    .language:       OpenCL C
    .language_version:
      - 2
      - 0
    .max_flat_workgroup_size: 512
    .name:           _ZN2at6native12_GLOBAL__N_125multi_tensor_apply_kernelINS1_18TensorListMetadataILi1EEENS1_21BinaryOpScalarFunctorIlLi1ELi1ELi0EEEJSt10multipliesIlElEEEvT_T0_DpT1_
    .private_segment_fixed_size: 0
    .sgpr_count:     34
    .sgpr_spill_count: 0
    .symbol:         _ZN2at6native12_GLOBAL__N_125multi_tensor_apply_kernelINS1_18TensorListMetadataILi1EEENS1_21BinaryOpScalarFunctorIlLi1ELi1ELi0EEEJSt10multipliesIlElEEEvT_T0_DpT1_.kd
    .uniform_work_group_size: 1
    .uses_dynamic_stack: false
    .vgpr_count:     24
    .vgpr_spill_count: 0
    .wavefront_size: 64
  - .agpr_count:     0
    .args:
      - .offset:         0
        .size:           3368
        .value_kind:     by_value
      - .offset:         3368
        .size:           1
        .value_kind:     by_value
      - .offset:         3369
        .size:           1
        .value_kind:     by_value
      - .offset:         3370
        .size:           2
        .value_kind:     by_value
      - .offset:         3376
        .size:           4
        .value_kind:     hidden_block_count_x
      - .offset:         3380
        .size:           4
        .value_kind:     hidden_block_count_y
      - .offset:         3384
        .size:           4
        .value_kind:     hidden_block_count_z
      - .offset:         3388
        .size:           2
        .value_kind:     hidden_group_size_x
      - .offset:         3390
        .size:           2
        .value_kind:     hidden_group_size_y
      - .offset:         3392
        .size:           2
        .value_kind:     hidden_group_size_z
      - .offset:         3394
        .size:           2
        .value_kind:     hidden_remainder_x
      - .offset:         3396
        .size:           2
        .value_kind:     hidden_remainder_y
      - .offset:         3398
        .size:           2
        .value_kind:     hidden_remainder_z
      - .offset:         3416
        .size:           8
        .value_kind:     hidden_global_offset_x
      - .offset:         3424
        .size:           8
        .value_kind:     hidden_global_offset_y
      - .offset:         3432
        .size:           8
        .value_kind:     hidden_global_offset_z
      - .offset:         3440
        .size:           2
        .value_kind:     hidden_grid_dims
    .group_segment_fixed_size: 0
    .kernarg_segment_align: 8
    .kernarg_segment_size: 3632
    .language:       OpenCL C
    .language_version:
      - 2
      - 0
    .max_flat_workgroup_size: 512
    .name:           _ZN2at6native12_GLOBAL__N_125multi_tensor_apply_kernelINS1_18TensorListMetadataILi1EEENS1_21BinaryOpScalarFunctorIsLi1ELi1ELi0EEEJSt10multipliesIsEsEEEvT_T0_DpT1_
    .private_segment_fixed_size: 0
    .sgpr_count:     32
    .sgpr_spill_count: 0
    .symbol:         _ZN2at6native12_GLOBAL__N_125multi_tensor_apply_kernelINS1_18TensorListMetadataILi1EEENS1_21BinaryOpScalarFunctorIsLi1ELi1ELi0EEEJSt10multipliesIsEsEEEvT_T0_DpT1_.kd
    .uniform_work_group_size: 1
    .uses_dynamic_stack: false
    .vgpr_count:     22
    .vgpr_spill_count: 0
    .wavefront_size: 64
  - .agpr_count:     0
    .args:
      - .offset:         0
        .size:           3368
        .value_kind:     by_value
      - .offset:         3368
        .size:           1
        .value_kind:     by_value
      - .offset:         3369
        .size:           1
        .value_kind:     by_value
      - .offset:         3376
        .size:           8
        .value_kind:     by_value
      - .offset:         3384
        .size:           4
        .value_kind:     hidden_block_count_x
      - .offset:         3388
        .size:           4
        .value_kind:     hidden_block_count_y
      - .offset:         3392
        .size:           4
        .value_kind:     hidden_block_count_z
      - .offset:         3396
        .size:           2
        .value_kind:     hidden_group_size_x
      - .offset:         3398
        .size:           2
        .value_kind:     hidden_group_size_y
      - .offset:         3400
        .size:           2
        .value_kind:     hidden_group_size_z
      - .offset:         3402
        .size:           2
        .value_kind:     hidden_remainder_x
      - .offset:         3404
        .size:           2
        .value_kind:     hidden_remainder_y
      - .offset:         3406
        .size:           2
        .value_kind:     hidden_remainder_z
      - .offset:         3424
        .size:           8
        .value_kind:     hidden_global_offset_x
      - .offset:         3432
        .size:           8
        .value_kind:     hidden_global_offset_y
      - .offset:         3440
        .size:           8
        .value_kind:     hidden_global_offset_z
      - .offset:         3448
        .size:           2
        .value_kind:     hidden_grid_dims
    .group_segment_fixed_size: 0
    .kernarg_segment_align: 8
    .kernarg_segment_size: 3640
    .language:       OpenCL C
    .language_version:
      - 2
      - 0
    .max_flat_workgroup_size: 512
    .name:           _ZN2at6native12_GLOBAL__N_125multi_tensor_apply_kernelINS1_18TensorListMetadataILi1EEENS1_21BinaryOpScalarFunctorIdLi1ELi1ELi0EEEJSt10multipliesIdEdEEEvT_T0_DpT1_
    .private_segment_fixed_size: 0
    .sgpr_count:     34
    .sgpr_spill_count: 0
    .symbol:         _ZN2at6native12_GLOBAL__N_125multi_tensor_apply_kernelINS1_18TensorListMetadataILi1EEENS1_21BinaryOpScalarFunctorIdLi1ELi1ELi0EEEJSt10multipliesIdEdEEEvT_T0_DpT1_.kd
    .uniform_work_group_size: 1
    .uses_dynamic_stack: false
    .vgpr_count:     26
    .vgpr_spill_count: 0
    .wavefront_size: 64
  - .agpr_count:     0
    .args:
      - .offset:         0
        .size:           3368
        .value_kind:     by_value
      - .offset:         3368
        .size:           1
        .value_kind:     by_value
      - .offset:         3369
        .size:           1
        .value_kind:     by_value
      - .offset:         3372
        .size:           4
        .value_kind:     by_value
      - .offset:         3376
        .size:           4
        .value_kind:     hidden_block_count_x
      - .offset:         3380
        .size:           4
        .value_kind:     hidden_block_count_y
      - .offset:         3384
        .size:           4
        .value_kind:     hidden_block_count_z
      - .offset:         3388
        .size:           2
        .value_kind:     hidden_group_size_x
      - .offset:         3390
        .size:           2
        .value_kind:     hidden_group_size_y
      - .offset:         3392
        .size:           2
        .value_kind:     hidden_group_size_z
      - .offset:         3394
        .size:           2
        .value_kind:     hidden_remainder_x
      - .offset:         3396
        .size:           2
        .value_kind:     hidden_remainder_y
      - .offset:         3398
        .size:           2
        .value_kind:     hidden_remainder_z
      - .offset:         3416
        .size:           8
        .value_kind:     hidden_global_offset_x
      - .offset:         3424
        .size:           8
        .value_kind:     hidden_global_offset_y
      - .offset:         3432
        .size:           8
        .value_kind:     hidden_global_offset_z
      - .offset:         3440
        .size:           2
        .value_kind:     hidden_grid_dims
    .group_segment_fixed_size: 0
    .kernarg_segment_align: 8
    .kernarg_segment_size: 3632
    .language:       OpenCL C
    .language_version:
      - 2
      - 0
    .max_flat_workgroup_size: 512
    .name:           _ZN2at6native12_GLOBAL__N_125multi_tensor_apply_kernelINS1_18TensorListMetadataILi1EEENS1_21BinaryOpScalarFunctorIfLi1ELi1ELi0EEEJSt10multipliesIfEfEEEvT_T0_DpT1_
    .private_segment_fixed_size: 0
    .sgpr_count:     33
    .sgpr_spill_count: 0
    .symbol:         _ZN2at6native12_GLOBAL__N_125multi_tensor_apply_kernelINS1_18TensorListMetadataILi1EEENS1_21BinaryOpScalarFunctorIfLi1ELi1ELi0EEEJSt10multipliesIfEfEEEvT_T0_DpT1_.kd
    .uniform_work_group_size: 1
    .uses_dynamic_stack: false
    .vgpr_count:     22
    .vgpr_spill_count: 0
    .wavefront_size: 64
  - .agpr_count:     0
    .args:
      - .offset:         0
        .size:           3368
        .value_kind:     by_value
      - .offset:         3368
        .size:           1
        .value_kind:     by_value
      - .offset:         3369
        .size:           1
        .value_kind:     by_value
      - .offset:         3376
        .size:           16
        .value_kind:     by_value
      - .offset:         3392
        .size:           4
        .value_kind:     hidden_block_count_x
      - .offset:         3396
        .size:           4
        .value_kind:     hidden_block_count_y
      - .offset:         3400
        .size:           4
        .value_kind:     hidden_block_count_z
      - .offset:         3404
        .size:           2
        .value_kind:     hidden_group_size_x
      - .offset:         3406
        .size:           2
        .value_kind:     hidden_group_size_y
      - .offset:         3408
        .size:           2
        .value_kind:     hidden_group_size_z
      - .offset:         3410
        .size:           2
        .value_kind:     hidden_remainder_x
      - .offset:         3412
        .size:           2
        .value_kind:     hidden_remainder_y
      - .offset:         3414
        .size:           2
        .value_kind:     hidden_remainder_z
      - .offset:         3432
        .size:           8
        .value_kind:     hidden_global_offset_x
      - .offset:         3440
        .size:           8
        .value_kind:     hidden_global_offset_y
      - .offset:         3448
        .size:           8
        .value_kind:     hidden_global_offset_z
      - .offset:         3456
        .size:           2
        .value_kind:     hidden_grid_dims
    .group_segment_fixed_size: 0
    .kernarg_segment_align: 16
    .kernarg_segment_size: 3648
    .language:       OpenCL C
    .language_version:
      - 2
      - 0
    .max_flat_workgroup_size: 512
    .name:           _ZN2at6native12_GLOBAL__N_125multi_tensor_apply_kernelINS1_18TensorListMetadataILi1EEENS1_21BinaryOpScalarFunctorIN3c107complexIdEELi1ELi1ELi0EEEJSt10multipliesIS8_ES8_EEEvT_T0_DpT1_
    .private_segment_fixed_size: 0
    .sgpr_count:     34
    .sgpr_spill_count: 0
    .symbol:         _ZN2at6native12_GLOBAL__N_125multi_tensor_apply_kernelINS1_18TensorListMetadataILi1EEENS1_21BinaryOpScalarFunctorIN3c107complexIdEELi1ELi1ELi0EEEJSt10multipliesIS8_ES8_EEEvT_T0_DpT1_.kd
    .uniform_work_group_size: 1
    .uses_dynamic_stack: false
    .vgpr_count:     36
    .vgpr_spill_count: 0
    .wavefront_size: 64
  - .agpr_count:     0
    .args:
      - .offset:         0
        .size:           3368
        .value_kind:     by_value
      - .offset:         3368
        .size:           1
        .value_kind:     by_value
      - .offset:         3369
        .size:           1
        .value_kind:     by_value
      - .offset:         3376
        .size:           8
        .value_kind:     by_value
      - .offset:         3384
        .size:           4
        .value_kind:     hidden_block_count_x
      - .offset:         3388
        .size:           4
        .value_kind:     hidden_block_count_y
      - .offset:         3392
        .size:           4
        .value_kind:     hidden_block_count_z
      - .offset:         3396
        .size:           2
        .value_kind:     hidden_group_size_x
      - .offset:         3398
        .size:           2
        .value_kind:     hidden_group_size_y
      - .offset:         3400
        .size:           2
        .value_kind:     hidden_group_size_z
      - .offset:         3402
        .size:           2
        .value_kind:     hidden_remainder_x
      - .offset:         3404
        .size:           2
        .value_kind:     hidden_remainder_y
      - .offset:         3406
        .size:           2
        .value_kind:     hidden_remainder_z
      - .offset:         3424
        .size:           8
        .value_kind:     hidden_global_offset_x
      - .offset:         3432
        .size:           8
        .value_kind:     hidden_global_offset_y
      - .offset:         3440
        .size:           8
        .value_kind:     hidden_global_offset_z
      - .offset:         3448
        .size:           2
        .value_kind:     hidden_grid_dims
    .group_segment_fixed_size: 4096
    .kernarg_segment_align: 8
    .kernarg_segment_size: 3640
    .language:       OpenCL C
    .language_version:
      - 2
      - 0
    .max_flat_workgroup_size: 512
    .name:           _ZN2at6native12_GLOBAL__N_125multi_tensor_apply_kernelINS1_18TensorListMetadataILi1EEENS1_21BinaryOpScalarFunctorIN3c107complexIfEELi1ELi1ELi0EEEJSt10multipliesIS8_ES8_EEEvT_T0_DpT1_
    .private_segment_fixed_size: 0
    .sgpr_count:     31
    .sgpr_spill_count: 0
    .symbol:         _ZN2at6native12_GLOBAL__N_125multi_tensor_apply_kernelINS1_18TensorListMetadataILi1EEENS1_21BinaryOpScalarFunctorIN3c107complexIfEELi1ELi1ELi0EEEJSt10multipliesIS8_ES8_EEEvT_T0_DpT1_.kd
    .uniform_work_group_size: 1
    .uses_dynamic_stack: false
    .vgpr_count:     34
    .vgpr_spill_count: 0
    .wavefront_size: 64
  - .agpr_count:     0
    .args:
      - .offset:         0
        .size:           3368
        .value_kind:     by_value
      - .offset:         3368
        .size:           1
        .value_kind:     by_value
      - .offset:         3369
        .size:           1
        .value_kind:     by_value
      - .offset:         3370
        .size:           1
        .value_kind:     by_value
      - .offset:         3376
        .size:           4
        .value_kind:     hidden_block_count_x
      - .offset:         3380
        .size:           4
        .value_kind:     hidden_block_count_y
      - .offset:         3384
        .size:           4
        .value_kind:     hidden_block_count_z
      - .offset:         3388
        .size:           2
        .value_kind:     hidden_group_size_x
      - .offset:         3390
        .size:           2
        .value_kind:     hidden_group_size_y
      - .offset:         3392
        .size:           2
        .value_kind:     hidden_group_size_z
      - .offset:         3394
        .size:           2
        .value_kind:     hidden_remainder_x
      - .offset:         3396
        .size:           2
        .value_kind:     hidden_remainder_y
      - .offset:         3398
        .size:           2
        .value_kind:     hidden_remainder_z
      - .offset:         3416
        .size:           8
        .value_kind:     hidden_global_offset_x
      - .offset:         3424
        .size:           8
        .value_kind:     hidden_global_offset_y
      - .offset:         3432
        .size:           8
        .value_kind:     hidden_global_offset_z
      - .offset:         3440
        .size:           2
        .value_kind:     hidden_grid_dims
    .group_segment_fixed_size: 0
    .kernarg_segment_align: 8
    .kernarg_segment_size: 3632
    .language:       OpenCL C
    .language_version:
      - 2
      - 0
    .max_flat_workgroup_size: 512
    .name:           _ZN2at6native12_GLOBAL__N_125multi_tensor_apply_kernelINS1_18TensorListMetadataILi1EEENS1_21BinaryOpScalarFunctorIbLi1ELi1ELi0EEEJSt10multipliesIbEbEEEvT_T0_DpT1_
    .private_segment_fixed_size: 0
    .sgpr_count:     27
    .sgpr_spill_count: 0
    .symbol:         _ZN2at6native12_GLOBAL__N_125multi_tensor_apply_kernelINS1_18TensorListMetadataILi1EEENS1_21BinaryOpScalarFunctorIbLi1ELi1ELi0EEEJSt10multipliesIbEbEEEvT_T0_DpT1_.kd
    .uniform_work_group_size: 1
    .uses_dynamic_stack: false
    .vgpr_count:     26
    .vgpr_spill_count: 0
    .wavefront_size: 64
  - .agpr_count:     0
    .args:
      - .offset:         0
        .size:           3368
        .value_kind:     by_value
      - .offset:         3368
        .size:           1
        .value_kind:     by_value
      - .offset:         3369
        .size:           1
        .value_kind:     by_value
      - .offset:         3372
        .size:           4
        .value_kind:     by_value
      - .offset:         3376
        .size:           4
        .value_kind:     hidden_block_count_x
      - .offset:         3380
        .size:           4
        .value_kind:     hidden_block_count_y
      - .offset:         3384
        .size:           4
        .value_kind:     hidden_block_count_z
      - .offset:         3388
        .size:           2
        .value_kind:     hidden_group_size_x
      - .offset:         3390
        .size:           2
        .value_kind:     hidden_group_size_y
      - .offset:         3392
        .size:           2
        .value_kind:     hidden_group_size_z
      - .offset:         3394
        .size:           2
        .value_kind:     hidden_remainder_x
      - .offset:         3396
        .size:           2
        .value_kind:     hidden_remainder_y
      - .offset:         3398
        .size:           2
        .value_kind:     hidden_remainder_z
      - .offset:         3416
        .size:           8
        .value_kind:     hidden_global_offset_x
      - .offset:         3424
        .size:           8
        .value_kind:     hidden_global_offset_y
      - .offset:         3432
        .size:           8
        .value_kind:     hidden_global_offset_z
      - .offset:         3440
        .size:           2
        .value_kind:     hidden_grid_dims
    .group_segment_fixed_size: 0
    .kernarg_segment_align: 8
    .kernarg_segment_size: 3632
    .language:       OpenCL C
    .language_version:
      - 2
      - 0
    .max_flat_workgroup_size: 512
    .name:           _ZN2at6native12_GLOBAL__N_125multi_tensor_apply_kernelINS1_18TensorListMetadataILi1EEENS1_21BinaryOpScalarFunctorIN3c104HalfELi1ELi1ELi0EEEJSt10multipliesIfEfEEEvT_T0_DpT1_
    .private_segment_fixed_size: 0
    .sgpr_count:     32
    .sgpr_spill_count: 0
    .symbol:         _ZN2at6native12_GLOBAL__N_125multi_tensor_apply_kernelINS1_18TensorListMetadataILi1EEENS1_21BinaryOpScalarFunctorIN3c104HalfELi1ELi1ELi0EEEJSt10multipliesIfEfEEEvT_T0_DpT1_.kd
    .uniform_work_group_size: 1
    .uses_dynamic_stack: false
    .vgpr_count:     22
    .vgpr_spill_count: 0
    .wavefront_size: 64
  - .agpr_count:     0
    .args:
      - .offset:         0
        .size:           3368
        .value_kind:     by_value
      - .offset:         3368
        .size:           1
        .value_kind:     by_value
      - .offset:         3369
        .size:           1
        .value_kind:     by_value
      - .offset:         3372
        .size:           4
        .value_kind:     by_value
      - .offset:         3376
        .size:           4
        .value_kind:     hidden_block_count_x
      - .offset:         3380
        .size:           4
        .value_kind:     hidden_block_count_y
      - .offset:         3384
        .size:           4
        .value_kind:     hidden_block_count_z
      - .offset:         3388
        .size:           2
        .value_kind:     hidden_group_size_x
      - .offset:         3390
        .size:           2
        .value_kind:     hidden_group_size_y
      - .offset:         3392
        .size:           2
        .value_kind:     hidden_group_size_z
      - .offset:         3394
        .size:           2
        .value_kind:     hidden_remainder_x
      - .offset:         3396
        .size:           2
        .value_kind:     hidden_remainder_y
      - .offset:         3398
        .size:           2
        .value_kind:     hidden_remainder_z
      - .offset:         3416
        .size:           8
        .value_kind:     hidden_global_offset_x
      - .offset:         3424
        .size:           8
        .value_kind:     hidden_global_offset_y
      - .offset:         3432
        .size:           8
        .value_kind:     hidden_global_offset_z
      - .offset:         3440
        .size:           2
        .value_kind:     hidden_grid_dims
    .group_segment_fixed_size: 0
    .kernarg_segment_align: 8
    .kernarg_segment_size: 3632
    .language:       OpenCL C
    .language_version:
      - 2
      - 0
    .max_flat_workgroup_size: 512
    .name:           _ZN2at6native12_GLOBAL__N_125multi_tensor_apply_kernelINS1_18TensorListMetadataILi1EEENS1_21BinaryOpScalarFunctorIN3c108BFloat16ELi1ELi1ELi0EEEJSt10multipliesIfEfEEEvT_T0_DpT1_
    .private_segment_fixed_size: 0
    .sgpr_count:     33
    .sgpr_spill_count: 0
    .symbol:         _ZN2at6native12_GLOBAL__N_125multi_tensor_apply_kernelINS1_18TensorListMetadataILi1EEENS1_21BinaryOpScalarFunctorIN3c108BFloat16ELi1ELi1ELi0EEEJSt10multipliesIfEfEEEvT_T0_DpT1_.kd
    .uniform_work_group_size: 1
    .uses_dynamic_stack: false
    .vgpr_count:     24
    .vgpr_spill_count: 0
    .wavefront_size: 64
  - .agpr_count:     0
    .args:
      - .offset:         0
        .size:           3144
        .value_kind:     by_value
      - .offset:         3144
        .size:           1
        .value_kind:     by_value
      - .offset:         3145
        .size:           1
        .value_kind:     by_value
      - .offset:         3146
        .size:           1
        .value_kind:     by_value
      - .offset:         3152
        .size:           4
        .value_kind:     hidden_block_count_x
      - .offset:         3156
        .size:           4
        .value_kind:     hidden_block_count_y
      - .offset:         3160
        .size:           4
        .value_kind:     hidden_block_count_z
      - .offset:         3164
        .size:           2
        .value_kind:     hidden_group_size_x
      - .offset:         3166
        .size:           2
        .value_kind:     hidden_group_size_y
      - .offset:         3168
        .size:           2
        .value_kind:     hidden_group_size_z
      - .offset:         3170
        .size:           2
        .value_kind:     hidden_remainder_x
      - .offset:         3172
        .size:           2
        .value_kind:     hidden_remainder_y
      - .offset:         3174
        .size:           2
        .value_kind:     hidden_remainder_z
      - .offset:         3192
        .size:           8
        .value_kind:     hidden_global_offset_x
      - .offset:         3200
        .size:           8
        .value_kind:     hidden_global_offset_y
      - .offset:         3208
        .size:           8
        .value_kind:     hidden_global_offset_z
      - .offset:         3216
        .size:           2
        .value_kind:     hidden_grid_dims
    .group_segment_fixed_size: 0
    .kernarg_segment_align: 8
    .kernarg_segment_size: 3408
    .language:       OpenCL C
    .language_version:
      - 2
      - 0
    .max_flat_workgroup_size: 512
    .name:           _ZN2at6native12_GLOBAL__N_125multi_tensor_apply_kernelINS1_18TensorListMetadataILi2EEENS1_21BinaryOpScalarFunctorIhLi2ELi1ELi1EEEJSt10multipliesIhEhEEEvT_T0_DpT1_
    .private_segment_fixed_size: 0
    .sgpr_count:     29
    .sgpr_spill_count: 0
    .symbol:         _ZN2at6native12_GLOBAL__N_125multi_tensor_apply_kernelINS1_18TensorListMetadataILi2EEENS1_21BinaryOpScalarFunctorIhLi2ELi1ELi1EEEJSt10multipliesIhEhEEEvT_T0_DpT1_.kd
    .uniform_work_group_size: 1
    .uses_dynamic_stack: false
    .vgpr_count:     32
    .vgpr_spill_count: 0
    .wavefront_size: 64
  - .agpr_count:     0
    .args:
      - .offset:         0
        .size:           3144
        .value_kind:     by_value
      - .offset:         3144
        .size:           1
        .value_kind:     by_value
      - .offset:         3145
        .size:           1
        .value_kind:     by_value
      - .offset:         3146
        .size:           1
        .value_kind:     by_value
      - .offset:         3152
        .size:           4
        .value_kind:     hidden_block_count_x
      - .offset:         3156
        .size:           4
        .value_kind:     hidden_block_count_y
      - .offset:         3160
        .size:           4
        .value_kind:     hidden_block_count_z
      - .offset:         3164
        .size:           2
        .value_kind:     hidden_group_size_x
      - .offset:         3166
        .size:           2
        .value_kind:     hidden_group_size_y
      - .offset:         3168
        .size:           2
        .value_kind:     hidden_group_size_z
      - .offset:         3170
        .size:           2
        .value_kind:     hidden_remainder_x
      - .offset:         3172
        .size:           2
        .value_kind:     hidden_remainder_y
      - .offset:         3174
        .size:           2
        .value_kind:     hidden_remainder_z
      - .offset:         3192
        .size:           8
        .value_kind:     hidden_global_offset_x
      - .offset:         3200
        .size:           8
        .value_kind:     hidden_global_offset_y
      - .offset:         3208
        .size:           8
        .value_kind:     hidden_global_offset_z
      - .offset:         3216
        .size:           2
        .value_kind:     hidden_grid_dims
    .group_segment_fixed_size: 0
    .kernarg_segment_align: 8
    .kernarg_segment_size: 3408
    .language:       OpenCL C
    .language_version:
      - 2
      - 0
    .max_flat_workgroup_size: 512
    .name:           _ZN2at6native12_GLOBAL__N_125multi_tensor_apply_kernelINS1_18TensorListMetadataILi2EEENS1_21BinaryOpScalarFunctorIaLi2ELi1ELi1EEEJSt10multipliesIaEaEEEvT_T0_DpT1_
    .private_segment_fixed_size: 0
    .sgpr_count:     29
    .sgpr_spill_count: 0
    .symbol:         _ZN2at6native12_GLOBAL__N_125multi_tensor_apply_kernelINS1_18TensorListMetadataILi2EEENS1_21BinaryOpScalarFunctorIaLi2ELi1ELi1EEEJSt10multipliesIaEaEEEvT_T0_DpT1_.kd
    .uniform_work_group_size: 1
    .uses_dynamic_stack: false
    .vgpr_count:     32
    .vgpr_spill_count: 0
    .wavefront_size: 64
  - .agpr_count:     0
    .args:
      - .offset:         0
        .size:           3144
        .value_kind:     by_value
      - .offset:         3144
        .size:           1
        .value_kind:     by_value
      - .offset:         3145
        .size:           1
        .value_kind:     by_value
      - .offset:         3148
        .size:           4
        .value_kind:     by_value
      - .offset:         3152
        .size:           4
        .value_kind:     hidden_block_count_x
      - .offset:         3156
        .size:           4
        .value_kind:     hidden_block_count_y
      - .offset:         3160
        .size:           4
        .value_kind:     hidden_block_count_z
      - .offset:         3164
        .size:           2
        .value_kind:     hidden_group_size_x
      - .offset:         3166
        .size:           2
        .value_kind:     hidden_group_size_y
      - .offset:         3168
        .size:           2
        .value_kind:     hidden_group_size_z
      - .offset:         3170
        .size:           2
        .value_kind:     hidden_remainder_x
      - .offset:         3172
        .size:           2
        .value_kind:     hidden_remainder_y
      - .offset:         3174
        .size:           2
        .value_kind:     hidden_remainder_z
      - .offset:         3192
        .size:           8
        .value_kind:     hidden_global_offset_x
      - .offset:         3200
        .size:           8
        .value_kind:     hidden_global_offset_y
      - .offset:         3208
        .size:           8
        .value_kind:     hidden_global_offset_z
      - .offset:         3216
        .size:           2
        .value_kind:     hidden_grid_dims
    .group_segment_fixed_size: 0
    .kernarg_segment_align: 8
    .kernarg_segment_size: 3408
    .language:       OpenCL C
    .language_version:
      - 2
      - 0
    .max_flat_workgroup_size: 512
    .name:           _ZN2at6native12_GLOBAL__N_125multi_tensor_apply_kernelINS1_18TensorListMetadataILi2EEENS1_21BinaryOpScalarFunctorIiLi2ELi1ELi1EEEJSt10multipliesIiEiEEEvT_T0_DpT1_
    .private_segment_fixed_size: 0
    .sgpr_count:     32
    .sgpr_spill_count: 0
    .symbol:         _ZN2at6native12_GLOBAL__N_125multi_tensor_apply_kernelINS1_18TensorListMetadataILi2EEENS1_21BinaryOpScalarFunctorIiLi2ELi1ELi1EEEJSt10multipliesIiEiEEEvT_T0_DpT1_.kd
    .uniform_work_group_size: 1
    .uses_dynamic_stack: false
    .vgpr_count:     30
    .vgpr_spill_count: 0
    .wavefront_size: 64
  - .agpr_count:     0
    .args:
      - .offset:         0
        .size:           3144
        .value_kind:     by_value
      - .offset:         3144
        .size:           1
        .value_kind:     by_value
      - .offset:         3145
        .size:           1
        .value_kind:     by_value
      - .offset:         3152
        .size:           8
        .value_kind:     by_value
      - .offset:         3160
        .size:           4
        .value_kind:     hidden_block_count_x
      - .offset:         3164
        .size:           4
        .value_kind:     hidden_block_count_y
      - .offset:         3168
        .size:           4
        .value_kind:     hidden_block_count_z
      - .offset:         3172
        .size:           2
        .value_kind:     hidden_group_size_x
      - .offset:         3174
        .size:           2
        .value_kind:     hidden_group_size_y
      - .offset:         3176
        .size:           2
        .value_kind:     hidden_group_size_z
      - .offset:         3178
        .size:           2
        .value_kind:     hidden_remainder_x
      - .offset:         3180
        .size:           2
        .value_kind:     hidden_remainder_y
      - .offset:         3182
        .size:           2
        .value_kind:     hidden_remainder_z
      - .offset:         3200
        .size:           8
        .value_kind:     hidden_global_offset_x
      - .offset:         3208
        .size:           8
        .value_kind:     hidden_global_offset_y
      - .offset:         3216
        .size:           8
        .value_kind:     hidden_global_offset_z
      - .offset:         3224
        .size:           2
        .value_kind:     hidden_grid_dims
    .group_segment_fixed_size: 0
    .kernarg_segment_align: 8
    .kernarg_segment_size: 3416
    .language:       OpenCL C
    .language_version:
      - 2
      - 0
    .max_flat_workgroup_size: 512
    .name:           _ZN2at6native12_GLOBAL__N_125multi_tensor_apply_kernelINS1_18TensorListMetadataILi2EEENS1_21BinaryOpScalarFunctorIlLi2ELi1ELi1EEEJSt10multipliesIlElEEEvT_T0_DpT1_
    .private_segment_fixed_size: 0
    .sgpr_count:     33
    .sgpr_spill_count: 0
    .symbol:         _ZN2at6native12_GLOBAL__N_125multi_tensor_apply_kernelINS1_18TensorListMetadataILi2EEENS1_21BinaryOpScalarFunctorIlLi2ELi1ELi1EEEJSt10multipliesIlElEEEvT_T0_DpT1_.kd
    .uniform_work_group_size: 1
    .uses_dynamic_stack: false
    .vgpr_count:     35
    .vgpr_spill_count: 0
    .wavefront_size: 64
  - .agpr_count:     0
    .args:
      - .offset:         0
        .size:           3144
        .value_kind:     by_value
      - .offset:         3144
        .size:           1
        .value_kind:     by_value
      - .offset:         3145
        .size:           1
        .value_kind:     by_value
      - .offset:         3146
        .size:           2
        .value_kind:     by_value
      - .offset:         3152
        .size:           4
        .value_kind:     hidden_block_count_x
      - .offset:         3156
        .size:           4
        .value_kind:     hidden_block_count_y
      - .offset:         3160
        .size:           4
        .value_kind:     hidden_block_count_z
      - .offset:         3164
        .size:           2
        .value_kind:     hidden_group_size_x
      - .offset:         3166
        .size:           2
        .value_kind:     hidden_group_size_y
      - .offset:         3168
        .size:           2
        .value_kind:     hidden_group_size_z
      - .offset:         3170
        .size:           2
        .value_kind:     hidden_remainder_x
      - .offset:         3172
        .size:           2
        .value_kind:     hidden_remainder_y
      - .offset:         3174
        .size:           2
        .value_kind:     hidden_remainder_z
      - .offset:         3192
        .size:           8
        .value_kind:     hidden_global_offset_x
      - .offset:         3200
        .size:           8
        .value_kind:     hidden_global_offset_y
      - .offset:         3208
        .size:           8
        .value_kind:     hidden_global_offset_z
      - .offset:         3216
        .size:           2
        .value_kind:     hidden_grid_dims
    .group_segment_fixed_size: 0
    .kernarg_segment_align: 8
    .kernarg_segment_size: 3408
    .language:       OpenCL C
    .language_version:
      - 2
      - 0
    .max_flat_workgroup_size: 512
    .name:           _ZN2at6native12_GLOBAL__N_125multi_tensor_apply_kernelINS1_18TensorListMetadataILi2EEENS1_21BinaryOpScalarFunctorIsLi2ELi1ELi1EEEJSt10multipliesIsEsEEEvT_T0_DpT1_
    .private_segment_fixed_size: 0
    .sgpr_count:     32
    .sgpr_spill_count: 0
    .symbol:         _ZN2at6native12_GLOBAL__N_125multi_tensor_apply_kernelINS1_18TensorListMetadataILi2EEENS1_21BinaryOpScalarFunctorIsLi2ELi1ELi1EEEJSt10multipliesIsEsEEEvT_T0_DpT1_.kd
    .uniform_work_group_size: 1
    .uses_dynamic_stack: false
    .vgpr_count:     30
    .vgpr_spill_count: 0
    .wavefront_size: 64
  - .agpr_count:     0
    .args:
      - .offset:         0
        .size:           3144
        .value_kind:     by_value
      - .offset:         3144
        .size:           1
        .value_kind:     by_value
      - .offset:         3145
        .size:           1
        .value_kind:     by_value
      - .offset:         3152
        .size:           8
        .value_kind:     by_value
      - .offset:         3160
        .size:           4
        .value_kind:     hidden_block_count_x
      - .offset:         3164
        .size:           4
        .value_kind:     hidden_block_count_y
      - .offset:         3168
        .size:           4
        .value_kind:     hidden_block_count_z
      - .offset:         3172
        .size:           2
        .value_kind:     hidden_group_size_x
      - .offset:         3174
        .size:           2
        .value_kind:     hidden_group_size_y
      - .offset:         3176
        .size:           2
        .value_kind:     hidden_group_size_z
      - .offset:         3178
        .size:           2
        .value_kind:     hidden_remainder_x
      - .offset:         3180
        .size:           2
        .value_kind:     hidden_remainder_y
      - .offset:         3182
        .size:           2
        .value_kind:     hidden_remainder_z
      - .offset:         3200
        .size:           8
        .value_kind:     hidden_global_offset_x
      - .offset:         3208
        .size:           8
        .value_kind:     hidden_global_offset_y
      - .offset:         3216
        .size:           8
        .value_kind:     hidden_global_offset_z
      - .offset:         3224
        .size:           2
        .value_kind:     hidden_grid_dims
    .group_segment_fixed_size: 0
    .kernarg_segment_align: 8
    .kernarg_segment_size: 3416
    .language:       OpenCL C
    .language_version:
      - 2
      - 0
    .max_flat_workgroup_size: 512
    .name:           _ZN2at6native12_GLOBAL__N_125multi_tensor_apply_kernelINS1_18TensorListMetadataILi2EEENS1_21BinaryOpScalarFunctorIdLi2ELi1ELi1EEEJSt10multipliesIdEdEEEvT_T0_DpT1_
    .private_segment_fixed_size: 0
    .sgpr_count:     33
    .sgpr_spill_count: 0
    .symbol:         _ZN2at6native12_GLOBAL__N_125multi_tensor_apply_kernelINS1_18TensorListMetadataILi2EEENS1_21BinaryOpScalarFunctorIdLi2ELi1ELi1EEEJSt10multipliesIdEdEEEvT_T0_DpT1_.kd
    .uniform_work_group_size: 1
    .uses_dynamic_stack: false
    .vgpr_count:     34
    .vgpr_spill_count: 0
    .wavefront_size: 64
  - .agpr_count:     0
    .args:
      - .offset:         0
        .size:           3144
        .value_kind:     by_value
      - .offset:         3144
        .size:           1
        .value_kind:     by_value
      - .offset:         3145
        .size:           1
        .value_kind:     by_value
      - .offset:         3148
        .size:           4
        .value_kind:     by_value
      - .offset:         3152
        .size:           4
        .value_kind:     hidden_block_count_x
      - .offset:         3156
        .size:           4
        .value_kind:     hidden_block_count_y
      - .offset:         3160
        .size:           4
        .value_kind:     hidden_block_count_z
      - .offset:         3164
        .size:           2
        .value_kind:     hidden_group_size_x
      - .offset:         3166
        .size:           2
        .value_kind:     hidden_group_size_y
      - .offset:         3168
        .size:           2
        .value_kind:     hidden_group_size_z
      - .offset:         3170
        .size:           2
        .value_kind:     hidden_remainder_x
      - .offset:         3172
        .size:           2
        .value_kind:     hidden_remainder_y
      - .offset:         3174
        .size:           2
        .value_kind:     hidden_remainder_z
      - .offset:         3192
        .size:           8
        .value_kind:     hidden_global_offset_x
      - .offset:         3200
        .size:           8
        .value_kind:     hidden_global_offset_y
      - .offset:         3208
        .size:           8
        .value_kind:     hidden_global_offset_z
      - .offset:         3216
        .size:           2
        .value_kind:     hidden_grid_dims
    .group_segment_fixed_size: 0
    .kernarg_segment_align: 8
    .kernarg_segment_size: 3408
    .language:       OpenCL C
    .language_version:
      - 2
      - 0
    .max_flat_workgroup_size: 512
    .name:           _ZN2at6native12_GLOBAL__N_125multi_tensor_apply_kernelINS1_18TensorListMetadataILi2EEENS1_21BinaryOpScalarFunctorIfLi2ELi1ELi1EEEJSt10multipliesIfEfEEEvT_T0_DpT1_
    .private_segment_fixed_size: 0
    .sgpr_count:     32
    .sgpr_spill_count: 0
    .symbol:         _ZN2at6native12_GLOBAL__N_125multi_tensor_apply_kernelINS1_18TensorListMetadataILi2EEENS1_21BinaryOpScalarFunctorIfLi2ELi1ELi1EEEJSt10multipliesIfEfEEEvT_T0_DpT1_.kd
    .uniform_work_group_size: 1
    .uses_dynamic_stack: false
    .vgpr_count:     30
    .vgpr_spill_count: 0
    .wavefront_size: 64
  - .agpr_count:     0
    .args:
      - .offset:         0
        .size:           3144
        .value_kind:     by_value
      - .offset:         3144
        .size:           1
        .value_kind:     by_value
      - .offset:         3145
        .size:           1
        .value_kind:     by_value
      - .offset:         3152
        .size:           16
        .value_kind:     by_value
      - .offset:         3168
        .size:           4
        .value_kind:     hidden_block_count_x
      - .offset:         3172
        .size:           4
        .value_kind:     hidden_block_count_y
      - .offset:         3176
        .size:           4
        .value_kind:     hidden_block_count_z
      - .offset:         3180
        .size:           2
        .value_kind:     hidden_group_size_x
      - .offset:         3182
        .size:           2
        .value_kind:     hidden_group_size_y
      - .offset:         3184
        .size:           2
        .value_kind:     hidden_group_size_z
      - .offset:         3186
        .size:           2
        .value_kind:     hidden_remainder_x
      - .offset:         3188
        .size:           2
        .value_kind:     hidden_remainder_y
      - .offset:         3190
        .size:           2
        .value_kind:     hidden_remainder_z
      - .offset:         3208
        .size:           8
        .value_kind:     hidden_global_offset_x
      - .offset:         3216
        .size:           8
        .value_kind:     hidden_global_offset_y
      - .offset:         3224
        .size:           8
        .value_kind:     hidden_global_offset_z
      - .offset:         3232
        .size:           2
        .value_kind:     hidden_grid_dims
    .group_segment_fixed_size: 0
    .kernarg_segment_align: 16
    .kernarg_segment_size: 3424
    .language:       OpenCL C
    .language_version:
      - 2
      - 0
    .max_flat_workgroup_size: 512
    .name:           _ZN2at6native12_GLOBAL__N_125multi_tensor_apply_kernelINS1_18TensorListMetadataILi2EEENS1_21BinaryOpScalarFunctorIN3c107complexIdEELi2ELi1ELi1EEEJSt10multipliesIS8_ES8_EEEvT_T0_DpT1_
    .private_segment_fixed_size: 0
    .sgpr_count:     43
    .sgpr_spill_count: 0
    .symbol:         _ZN2at6native12_GLOBAL__N_125multi_tensor_apply_kernelINS1_18TensorListMetadataILi2EEENS1_21BinaryOpScalarFunctorIN3c107complexIdEELi2ELi1ELi1EEEJSt10multipliesIS8_ES8_EEEvT_T0_DpT1_.kd
    .uniform_work_group_size: 1
    .uses_dynamic_stack: false
    .vgpr_count:     42
    .vgpr_spill_count: 0
    .wavefront_size: 64
  - .agpr_count:     0
    .args:
      - .offset:         0
        .size:           3144
        .value_kind:     by_value
      - .offset:         3144
        .size:           1
        .value_kind:     by_value
      - .offset:         3145
        .size:           1
        .value_kind:     by_value
      - .offset:         3152
        .size:           8
        .value_kind:     by_value
      - .offset:         3160
        .size:           4
        .value_kind:     hidden_block_count_x
      - .offset:         3164
        .size:           4
        .value_kind:     hidden_block_count_y
      - .offset:         3168
        .size:           4
        .value_kind:     hidden_block_count_z
      - .offset:         3172
        .size:           2
        .value_kind:     hidden_group_size_x
      - .offset:         3174
        .size:           2
        .value_kind:     hidden_group_size_y
      - .offset:         3176
        .size:           2
        .value_kind:     hidden_group_size_z
      - .offset:         3178
        .size:           2
        .value_kind:     hidden_remainder_x
      - .offset:         3180
        .size:           2
        .value_kind:     hidden_remainder_y
      - .offset:         3182
        .size:           2
        .value_kind:     hidden_remainder_z
      - .offset:         3200
        .size:           8
        .value_kind:     hidden_global_offset_x
      - .offset:         3208
        .size:           8
        .value_kind:     hidden_global_offset_y
      - .offset:         3216
        .size:           8
        .value_kind:     hidden_global_offset_z
      - .offset:         3224
        .size:           2
        .value_kind:     hidden_grid_dims
    .group_segment_fixed_size: 4096
    .kernarg_segment_align: 8
    .kernarg_segment_size: 3416
    .language:       OpenCL C
    .language_version:
      - 2
      - 0
    .max_flat_workgroup_size: 512
    .name:           _ZN2at6native12_GLOBAL__N_125multi_tensor_apply_kernelINS1_18TensorListMetadataILi2EEENS1_21BinaryOpScalarFunctorIN3c107complexIfEELi2ELi1ELi1EEEJSt10multipliesIS8_ES8_EEEvT_T0_DpT1_
    .private_segment_fixed_size: 0
    .sgpr_count:     40
    .sgpr_spill_count: 0
    .symbol:         _ZN2at6native12_GLOBAL__N_125multi_tensor_apply_kernelINS1_18TensorListMetadataILi2EEENS1_21BinaryOpScalarFunctorIN3c107complexIfEELi2ELi1ELi1EEEJSt10multipliesIS8_ES8_EEEvT_T0_DpT1_.kd
    .uniform_work_group_size: 1
    .uses_dynamic_stack: false
    .vgpr_count:     38
    .vgpr_spill_count: 0
    .wavefront_size: 64
  - .agpr_count:     0
    .args:
      - .offset:         0
        .size:           3144
        .value_kind:     by_value
      - .offset:         3144
        .size:           1
        .value_kind:     by_value
      - .offset:         3145
        .size:           1
        .value_kind:     by_value
      - .offset:         3146
        .size:           1
        .value_kind:     by_value
      - .offset:         3152
        .size:           4
        .value_kind:     hidden_block_count_x
      - .offset:         3156
        .size:           4
        .value_kind:     hidden_block_count_y
      - .offset:         3160
        .size:           4
        .value_kind:     hidden_block_count_z
      - .offset:         3164
        .size:           2
        .value_kind:     hidden_group_size_x
      - .offset:         3166
        .size:           2
        .value_kind:     hidden_group_size_y
      - .offset:         3168
        .size:           2
        .value_kind:     hidden_group_size_z
      - .offset:         3170
        .size:           2
        .value_kind:     hidden_remainder_x
      - .offset:         3172
        .size:           2
        .value_kind:     hidden_remainder_y
      - .offset:         3174
        .size:           2
        .value_kind:     hidden_remainder_z
      - .offset:         3192
        .size:           8
        .value_kind:     hidden_global_offset_x
      - .offset:         3200
        .size:           8
        .value_kind:     hidden_global_offset_y
      - .offset:         3208
        .size:           8
        .value_kind:     hidden_global_offset_z
      - .offset:         3216
        .size:           2
        .value_kind:     hidden_grid_dims
    .group_segment_fixed_size: 0
    .kernarg_segment_align: 8
    .kernarg_segment_size: 3408
    .language:       OpenCL C
    .language_version:
      - 2
      - 0
    .max_flat_workgroup_size: 512
    .name:           _ZN2at6native12_GLOBAL__N_125multi_tensor_apply_kernelINS1_18TensorListMetadataILi2EEENS1_21BinaryOpScalarFunctorIbLi2ELi1ELi1EEEJSt10multipliesIbEbEEEvT_T0_DpT1_
    .private_segment_fixed_size: 0
    .sgpr_count:     29
    .sgpr_spill_count: 0
    .symbol:         _ZN2at6native12_GLOBAL__N_125multi_tensor_apply_kernelINS1_18TensorListMetadataILi2EEENS1_21BinaryOpScalarFunctorIbLi2ELi1ELi1EEEJSt10multipliesIbEbEEEvT_T0_DpT1_.kd
    .uniform_work_group_size: 1
    .uses_dynamic_stack: false
    .vgpr_count:     32
    .vgpr_spill_count: 0
    .wavefront_size: 64
  - .agpr_count:     0
    .args:
      - .offset:         0
        .size:           3144
        .value_kind:     by_value
      - .offset:         3144
        .size:           1
        .value_kind:     by_value
      - .offset:         3145
        .size:           1
        .value_kind:     by_value
      - .offset:         3148
        .size:           4
        .value_kind:     by_value
      - .offset:         3152
        .size:           4
        .value_kind:     hidden_block_count_x
      - .offset:         3156
        .size:           4
        .value_kind:     hidden_block_count_y
      - .offset:         3160
        .size:           4
        .value_kind:     hidden_block_count_z
      - .offset:         3164
        .size:           2
        .value_kind:     hidden_group_size_x
      - .offset:         3166
        .size:           2
        .value_kind:     hidden_group_size_y
      - .offset:         3168
        .size:           2
        .value_kind:     hidden_group_size_z
      - .offset:         3170
        .size:           2
        .value_kind:     hidden_remainder_x
      - .offset:         3172
        .size:           2
        .value_kind:     hidden_remainder_y
      - .offset:         3174
        .size:           2
        .value_kind:     hidden_remainder_z
      - .offset:         3192
        .size:           8
        .value_kind:     hidden_global_offset_x
      - .offset:         3200
        .size:           8
        .value_kind:     hidden_global_offset_y
      - .offset:         3208
        .size:           8
        .value_kind:     hidden_global_offset_z
      - .offset:         3216
        .size:           2
        .value_kind:     hidden_grid_dims
    .group_segment_fixed_size: 0
    .kernarg_segment_align: 8
    .kernarg_segment_size: 3408
    .language:       OpenCL C
    .language_version:
      - 2
      - 0
    .max_flat_workgroup_size: 512
    .name:           _ZN2at6native12_GLOBAL__N_125multi_tensor_apply_kernelINS1_18TensorListMetadataILi2EEENS1_21BinaryOpScalarFunctorIN3c104HalfELi2ELi1ELi1EEEJSt10multipliesIfEfEEEvT_T0_DpT1_
    .private_segment_fixed_size: 0
    .sgpr_count:     32
    .sgpr_spill_count: 0
    .symbol:         _ZN2at6native12_GLOBAL__N_125multi_tensor_apply_kernelINS1_18TensorListMetadataILi2EEENS1_21BinaryOpScalarFunctorIN3c104HalfELi2ELi1ELi1EEEJSt10multipliesIfEfEEEvT_T0_DpT1_.kd
    .uniform_work_group_size: 1
    .uses_dynamic_stack: false
    .vgpr_count:     30
    .vgpr_spill_count: 0
    .wavefront_size: 64
  - .agpr_count:     0
    .args:
      - .offset:         0
        .size:           3144
        .value_kind:     by_value
      - .offset:         3144
        .size:           1
        .value_kind:     by_value
      - .offset:         3145
        .size:           1
        .value_kind:     by_value
      - .offset:         3148
        .size:           4
        .value_kind:     by_value
      - .offset:         3152
        .size:           4
        .value_kind:     hidden_block_count_x
      - .offset:         3156
        .size:           4
        .value_kind:     hidden_block_count_y
      - .offset:         3160
        .size:           4
        .value_kind:     hidden_block_count_z
      - .offset:         3164
        .size:           2
        .value_kind:     hidden_group_size_x
      - .offset:         3166
        .size:           2
        .value_kind:     hidden_group_size_y
      - .offset:         3168
        .size:           2
        .value_kind:     hidden_group_size_z
      - .offset:         3170
        .size:           2
        .value_kind:     hidden_remainder_x
      - .offset:         3172
        .size:           2
        .value_kind:     hidden_remainder_y
      - .offset:         3174
        .size:           2
        .value_kind:     hidden_remainder_z
      - .offset:         3192
        .size:           8
        .value_kind:     hidden_global_offset_x
      - .offset:         3200
        .size:           8
        .value_kind:     hidden_global_offset_y
      - .offset:         3208
        .size:           8
        .value_kind:     hidden_global_offset_z
      - .offset:         3216
        .size:           2
        .value_kind:     hidden_grid_dims
    .group_segment_fixed_size: 0
    .kernarg_segment_align: 8
    .kernarg_segment_size: 3408
    .language:       OpenCL C
    .language_version:
      - 2
      - 0
    .max_flat_workgroup_size: 512
    .name:           _ZN2at6native12_GLOBAL__N_125multi_tensor_apply_kernelINS1_18TensorListMetadataILi2EEENS1_21BinaryOpScalarFunctorIN3c108BFloat16ELi2ELi1ELi1EEEJSt10multipliesIfEfEEEvT_T0_DpT1_
    .private_segment_fixed_size: 0
    .sgpr_count:     33
    .sgpr_spill_count: 0
    .symbol:         _ZN2at6native12_GLOBAL__N_125multi_tensor_apply_kernelINS1_18TensorListMetadataILi2EEENS1_21BinaryOpScalarFunctorIN3c108BFloat16ELi2ELi1ELi1EEEJSt10multipliesIfEfEEEvT_T0_DpT1_.kd
    .uniform_work_group_size: 1
    .uses_dynamic_stack: false
    .vgpr_count:     31
    .vgpr_spill_count: 0
    .wavefront_size: 64
  - .agpr_count:     0
    .args:
      - .offset:         0
        .size:           3368
        .value_kind:     by_value
      - .offset:         3368
        .size:           1
        .value_kind:     by_value
      - .offset:         3369
        .size:           1
        .value_kind:     by_value
      - .offset:         3370
        .size:           1
        .value_kind:     by_value
      - .offset:         3376
        .size:           4
        .value_kind:     hidden_block_count_x
      - .offset:         3380
        .size:           4
        .value_kind:     hidden_block_count_y
      - .offset:         3384
        .size:           4
        .value_kind:     hidden_block_count_z
      - .offset:         3388
        .size:           2
        .value_kind:     hidden_group_size_x
      - .offset:         3390
        .size:           2
        .value_kind:     hidden_group_size_y
      - .offset:         3392
        .size:           2
        .value_kind:     hidden_group_size_z
      - .offset:         3394
        .size:           2
        .value_kind:     hidden_remainder_x
      - .offset:         3396
        .size:           2
        .value_kind:     hidden_remainder_y
      - .offset:         3398
        .size:           2
        .value_kind:     hidden_remainder_z
      - .offset:         3416
        .size:           8
        .value_kind:     hidden_global_offset_x
      - .offset:         3424
        .size:           8
        .value_kind:     hidden_global_offset_y
      - .offset:         3432
        .size:           8
        .value_kind:     hidden_global_offset_z
      - .offset:         3440
        .size:           2
        .value_kind:     hidden_grid_dims
    .group_segment_fixed_size: 0
    .kernarg_segment_align: 8
    .kernarg_segment_size: 3632
    .language:       OpenCL C
    .language_version:
      - 2
      - 0
    .max_flat_workgroup_size: 512
    .name:           _ZN2at6native12_GLOBAL__N_125multi_tensor_apply_kernelINS1_18TensorListMetadataILi1EEENS1_21BinaryOpScalarFunctorIhLi1ELi1ELi0EEEJNS1_13power_functorIhEEhEEEvT_T0_DpT1_
    .private_segment_fixed_size: 0
    .sgpr_count:     32
    .sgpr_spill_count: 0
    .symbol:         _ZN2at6native12_GLOBAL__N_125multi_tensor_apply_kernelINS1_18TensorListMetadataILi1EEENS1_21BinaryOpScalarFunctorIhLi1ELi1ELi0EEEJNS1_13power_functorIhEEhEEEvT_T0_DpT1_.kd
    .uniform_work_group_size: 1
    .uses_dynamic_stack: false
    .vgpr_count:     24
    .vgpr_spill_count: 0
    .wavefront_size: 64
  - .agpr_count:     0
    .args:
      - .offset:         0
        .size:           3368
        .value_kind:     by_value
      - .offset:         3368
        .size:           1
        .value_kind:     by_value
      - .offset:         3369
        .size:           1
        .value_kind:     by_value
      - .offset:         3370
        .size:           1
        .value_kind:     by_value
      - .offset:         3376
        .size:           4
        .value_kind:     hidden_block_count_x
      - .offset:         3380
        .size:           4
        .value_kind:     hidden_block_count_y
      - .offset:         3384
        .size:           4
        .value_kind:     hidden_block_count_z
      - .offset:         3388
        .size:           2
        .value_kind:     hidden_group_size_x
      - .offset:         3390
        .size:           2
        .value_kind:     hidden_group_size_y
      - .offset:         3392
        .size:           2
        .value_kind:     hidden_group_size_z
      - .offset:         3394
        .size:           2
        .value_kind:     hidden_remainder_x
      - .offset:         3396
        .size:           2
        .value_kind:     hidden_remainder_y
      - .offset:         3398
        .size:           2
        .value_kind:     hidden_remainder_z
      - .offset:         3416
        .size:           8
        .value_kind:     hidden_global_offset_x
      - .offset:         3424
        .size:           8
        .value_kind:     hidden_global_offset_y
      - .offset:         3432
        .size:           8
        .value_kind:     hidden_global_offset_z
      - .offset:         3440
        .size:           2
        .value_kind:     hidden_grid_dims
    .group_segment_fixed_size: 0
    .kernarg_segment_align: 8
    .kernarg_segment_size: 3632
    .language:       OpenCL C
    .language_version:
      - 2
      - 0
    .max_flat_workgroup_size: 512
    .name:           _ZN2at6native12_GLOBAL__N_125multi_tensor_apply_kernelINS1_18TensorListMetadataILi1EEENS1_21BinaryOpScalarFunctorIaLi1ELi1ELi0EEEJNS1_13power_functorIaEEaEEEvT_T0_DpT1_
    .private_segment_fixed_size: 0
    .sgpr_count:     42
    .sgpr_spill_count: 0
    .symbol:         _ZN2at6native12_GLOBAL__N_125multi_tensor_apply_kernelINS1_18TensorListMetadataILi1EEENS1_21BinaryOpScalarFunctorIaLi1ELi1ELi0EEEJNS1_13power_functorIaEEaEEEvT_T0_DpT1_.kd
    .uniform_work_group_size: 1
    .uses_dynamic_stack: false
    .vgpr_count:     23
    .vgpr_spill_count: 0
    .wavefront_size: 64
  - .agpr_count:     0
    .args:
      - .offset:         0
        .size:           3368
        .value_kind:     by_value
      - .offset:         3368
        .size:           1
        .value_kind:     by_value
      - .offset:         3369
        .size:           1
        .value_kind:     by_value
      - .offset:         3372
        .size:           4
        .value_kind:     by_value
      - .offset:         3376
        .size:           4
        .value_kind:     hidden_block_count_x
      - .offset:         3380
        .size:           4
        .value_kind:     hidden_block_count_y
      - .offset:         3384
        .size:           4
        .value_kind:     hidden_block_count_z
      - .offset:         3388
        .size:           2
        .value_kind:     hidden_group_size_x
      - .offset:         3390
        .size:           2
        .value_kind:     hidden_group_size_y
      - .offset:         3392
        .size:           2
        .value_kind:     hidden_group_size_z
      - .offset:         3394
        .size:           2
        .value_kind:     hidden_remainder_x
      - .offset:         3396
        .size:           2
        .value_kind:     hidden_remainder_y
      - .offset:         3398
        .size:           2
        .value_kind:     hidden_remainder_z
      - .offset:         3416
        .size:           8
        .value_kind:     hidden_global_offset_x
      - .offset:         3424
        .size:           8
        .value_kind:     hidden_global_offset_y
      - .offset:         3432
        .size:           8
        .value_kind:     hidden_global_offset_z
      - .offset:         3440
        .size:           2
        .value_kind:     hidden_grid_dims
    .group_segment_fixed_size: 0
    .kernarg_segment_align: 8
    .kernarg_segment_size: 3632
    .language:       OpenCL C
    .language_version:
      - 2
      - 0
    .max_flat_workgroup_size: 512
    .name:           _ZN2at6native12_GLOBAL__N_125multi_tensor_apply_kernelINS1_18TensorListMetadataILi1EEENS1_21BinaryOpScalarFunctorIiLi1ELi1ELi0EEEJNS1_13power_functorIiEEiEEEvT_T0_DpT1_
    .private_segment_fixed_size: 0
    .sgpr_count:     44
    .sgpr_spill_count: 0
    .symbol:         _ZN2at6native12_GLOBAL__N_125multi_tensor_apply_kernelINS1_18TensorListMetadataILi1EEENS1_21BinaryOpScalarFunctorIiLi1ELi1ELi0EEEJNS1_13power_functorIiEEiEEEvT_T0_DpT1_.kd
    .uniform_work_group_size: 1
    .uses_dynamic_stack: false
    .vgpr_count:     20
    .vgpr_spill_count: 0
    .wavefront_size: 64
  - .agpr_count:     0
    .args:
      - .offset:         0
        .size:           3368
        .value_kind:     by_value
      - .offset:         3368
        .size:           1
        .value_kind:     by_value
      - .offset:         3369
        .size:           1
        .value_kind:     by_value
      - .offset:         3376
        .size:           8
        .value_kind:     by_value
      - .offset:         3384
        .size:           4
        .value_kind:     hidden_block_count_x
      - .offset:         3388
        .size:           4
        .value_kind:     hidden_block_count_y
      - .offset:         3392
        .size:           4
        .value_kind:     hidden_block_count_z
      - .offset:         3396
        .size:           2
        .value_kind:     hidden_group_size_x
      - .offset:         3398
        .size:           2
        .value_kind:     hidden_group_size_y
      - .offset:         3400
        .size:           2
        .value_kind:     hidden_group_size_z
      - .offset:         3402
        .size:           2
        .value_kind:     hidden_remainder_x
      - .offset:         3404
        .size:           2
        .value_kind:     hidden_remainder_y
      - .offset:         3406
        .size:           2
        .value_kind:     hidden_remainder_z
      - .offset:         3424
        .size:           8
        .value_kind:     hidden_global_offset_x
      - .offset:         3432
        .size:           8
        .value_kind:     hidden_global_offset_y
      - .offset:         3440
        .size:           8
        .value_kind:     hidden_global_offset_z
      - .offset:         3448
        .size:           2
        .value_kind:     hidden_grid_dims
    .group_segment_fixed_size: 0
    .kernarg_segment_align: 8
    .kernarg_segment_size: 3640
    .language:       OpenCL C
    .language_version:
      - 2
      - 0
    .max_flat_workgroup_size: 512
    .name:           _ZN2at6native12_GLOBAL__N_125multi_tensor_apply_kernelINS1_18TensorListMetadataILi1EEENS1_21BinaryOpScalarFunctorIlLi1ELi1ELi0EEEJNS1_13power_functorIlEElEEEvT_T0_DpT1_
    .private_segment_fixed_size: 0
    .sgpr_count:     46
    .sgpr_spill_count: 0
    .symbol:         _ZN2at6native12_GLOBAL__N_125multi_tensor_apply_kernelINS1_18TensorListMetadataILi1EEENS1_21BinaryOpScalarFunctorIlLi1ELi1ELi0EEEJNS1_13power_functorIlEElEEEvT_T0_DpT1_.kd
    .uniform_work_group_size: 1
    .uses_dynamic_stack: false
    .vgpr_count:     28
    .vgpr_spill_count: 0
    .wavefront_size: 64
  - .agpr_count:     0
    .args:
      - .offset:         0
        .size:           3368
        .value_kind:     by_value
      - .offset:         3368
        .size:           1
        .value_kind:     by_value
      - .offset:         3369
        .size:           1
        .value_kind:     by_value
      - .offset:         3370
        .size:           2
        .value_kind:     by_value
      - .offset:         3376
        .size:           4
        .value_kind:     hidden_block_count_x
      - .offset:         3380
        .size:           4
        .value_kind:     hidden_block_count_y
      - .offset:         3384
        .size:           4
        .value_kind:     hidden_block_count_z
      - .offset:         3388
        .size:           2
        .value_kind:     hidden_group_size_x
      - .offset:         3390
        .size:           2
        .value_kind:     hidden_group_size_y
      - .offset:         3392
        .size:           2
        .value_kind:     hidden_group_size_z
      - .offset:         3394
        .size:           2
        .value_kind:     hidden_remainder_x
      - .offset:         3396
        .size:           2
        .value_kind:     hidden_remainder_y
      - .offset:         3398
        .size:           2
        .value_kind:     hidden_remainder_z
      - .offset:         3416
        .size:           8
        .value_kind:     hidden_global_offset_x
      - .offset:         3424
        .size:           8
        .value_kind:     hidden_global_offset_y
      - .offset:         3432
        .size:           8
        .value_kind:     hidden_global_offset_z
      - .offset:         3440
        .size:           2
        .value_kind:     hidden_grid_dims
    .group_segment_fixed_size: 0
    .kernarg_segment_align: 8
    .kernarg_segment_size: 3632
    .language:       OpenCL C
    .language_version:
      - 2
      - 0
    .max_flat_workgroup_size: 512
    .name:           _ZN2at6native12_GLOBAL__N_125multi_tensor_apply_kernelINS1_18TensorListMetadataILi1EEENS1_21BinaryOpScalarFunctorIsLi1ELi1ELi0EEEJNS1_13power_functorIsEEsEEEvT_T0_DpT1_
    .private_segment_fixed_size: 0
    .sgpr_count:     44
    .sgpr_spill_count: 0
    .symbol:         _ZN2at6native12_GLOBAL__N_125multi_tensor_apply_kernelINS1_18TensorListMetadataILi1EEENS1_21BinaryOpScalarFunctorIsLi1ELi1ELi0EEEJNS1_13power_functorIsEEsEEEvT_T0_DpT1_.kd
    .uniform_work_group_size: 1
    .uses_dynamic_stack: false
    .vgpr_count:     20
    .vgpr_spill_count: 0
    .wavefront_size: 64
  - .agpr_count:     0
    .args:
      - .offset:         0
        .size:           3368
        .value_kind:     by_value
      - .offset:         3368
        .size:           1
        .value_kind:     by_value
      - .offset:         3369
        .size:           1
        .value_kind:     by_value
      - .offset:         3376
        .size:           8
        .value_kind:     by_value
      - .offset:         3384
        .size:           4
        .value_kind:     hidden_block_count_x
      - .offset:         3388
        .size:           4
        .value_kind:     hidden_block_count_y
      - .offset:         3392
        .size:           4
        .value_kind:     hidden_block_count_z
      - .offset:         3396
        .size:           2
        .value_kind:     hidden_group_size_x
      - .offset:         3398
        .size:           2
        .value_kind:     hidden_group_size_y
      - .offset:         3400
        .size:           2
        .value_kind:     hidden_group_size_z
      - .offset:         3402
        .size:           2
        .value_kind:     hidden_remainder_x
      - .offset:         3404
        .size:           2
        .value_kind:     hidden_remainder_y
      - .offset:         3406
        .size:           2
        .value_kind:     hidden_remainder_z
      - .offset:         3424
        .size:           8
        .value_kind:     hidden_global_offset_x
      - .offset:         3432
        .size:           8
        .value_kind:     hidden_global_offset_y
      - .offset:         3440
        .size:           8
        .value_kind:     hidden_global_offset_z
      - .offset:         3448
        .size:           2
        .value_kind:     hidden_grid_dims
    .group_segment_fixed_size: 0
    .kernarg_segment_align: 8
    .kernarg_segment_size: 3640
    .language:       OpenCL C
    .language_version:
      - 2
      - 0
    .max_flat_workgroup_size: 512
    .name:           _ZN2at6native12_GLOBAL__N_125multi_tensor_apply_kernelINS1_18TensorListMetadataILi1EEENS1_21BinaryOpScalarFunctorIdLi1ELi1ELi0EEEJNS1_13power_functorIdEEdEEEvT_T0_DpT1_
    .private_segment_fixed_size: 0
    .sgpr_count:     81
    .sgpr_spill_count: 0
    .symbol:         _ZN2at6native12_GLOBAL__N_125multi_tensor_apply_kernelINS1_18TensorListMetadataILi1EEENS1_21BinaryOpScalarFunctorIdLi1ELi1ELi0EEEJNS1_13power_functorIdEEdEEEvT_T0_DpT1_.kd
    .uniform_work_group_size: 1
    .uses_dynamic_stack: false
    .vgpr_count:     82
    .vgpr_spill_count: 0
    .wavefront_size: 64
  - .agpr_count:     0
    .args:
      - .offset:         0
        .size:           3368
        .value_kind:     by_value
      - .offset:         3368
        .size:           1
        .value_kind:     by_value
      - .offset:         3369
        .size:           1
        .value_kind:     by_value
      - .offset:         3372
        .size:           4
        .value_kind:     by_value
      - .offset:         3376
        .size:           4
        .value_kind:     hidden_block_count_x
      - .offset:         3380
        .size:           4
        .value_kind:     hidden_block_count_y
      - .offset:         3384
        .size:           4
        .value_kind:     hidden_block_count_z
      - .offset:         3388
        .size:           2
        .value_kind:     hidden_group_size_x
      - .offset:         3390
        .size:           2
        .value_kind:     hidden_group_size_y
      - .offset:         3392
        .size:           2
        .value_kind:     hidden_group_size_z
      - .offset:         3394
        .size:           2
        .value_kind:     hidden_remainder_x
      - .offset:         3396
        .size:           2
        .value_kind:     hidden_remainder_y
      - .offset:         3398
        .size:           2
        .value_kind:     hidden_remainder_z
      - .offset:         3416
        .size:           8
        .value_kind:     hidden_global_offset_x
      - .offset:         3424
        .size:           8
        .value_kind:     hidden_global_offset_y
      - .offset:         3432
        .size:           8
        .value_kind:     hidden_global_offset_z
      - .offset:         3440
        .size:           2
        .value_kind:     hidden_grid_dims
    .group_segment_fixed_size: 0
    .kernarg_segment_align: 8
    .kernarg_segment_size: 3632
    .language:       OpenCL C
    .language_version:
      - 2
      - 0
    .max_flat_workgroup_size: 512
    .name:           _ZN2at6native12_GLOBAL__N_125multi_tensor_apply_kernelINS1_18TensorListMetadataILi1EEENS1_21BinaryOpScalarFunctorIfLi1ELi1ELi0EEEJNS1_13power_functorIfEEfEEEvT_T0_DpT1_
    .private_segment_fixed_size: 0
    .sgpr_count:     53
    .sgpr_spill_count: 0
    .symbol:         _ZN2at6native12_GLOBAL__N_125multi_tensor_apply_kernelINS1_18TensorListMetadataILi1EEENS1_21BinaryOpScalarFunctorIfLi1ELi1ELi0EEEJNS1_13power_functorIfEEfEEEvT_T0_DpT1_.kd
    .uniform_work_group_size: 1
    .uses_dynamic_stack: false
    .vgpr_count:     60
    .vgpr_spill_count: 0
    .wavefront_size: 64
  - .agpr_count:     0
    .args:
      - .offset:         0
        .size:           3368
        .value_kind:     by_value
      - .offset:         3368
        .size:           1
        .value_kind:     by_value
      - .offset:         3369
        .size:           1
        .value_kind:     by_value
      - .offset:         3376
        .size:           16
        .value_kind:     by_value
      - .offset:         3392
        .size:           4
        .value_kind:     hidden_block_count_x
      - .offset:         3396
        .size:           4
        .value_kind:     hidden_block_count_y
      - .offset:         3400
        .size:           4
        .value_kind:     hidden_block_count_z
      - .offset:         3404
        .size:           2
        .value_kind:     hidden_group_size_x
      - .offset:         3406
        .size:           2
        .value_kind:     hidden_group_size_y
      - .offset:         3408
        .size:           2
        .value_kind:     hidden_group_size_z
      - .offset:         3410
        .size:           2
        .value_kind:     hidden_remainder_x
      - .offset:         3412
        .size:           2
        .value_kind:     hidden_remainder_y
      - .offset:         3414
        .size:           2
        .value_kind:     hidden_remainder_z
      - .offset:         3432
        .size:           8
        .value_kind:     hidden_global_offset_x
      - .offset:         3440
        .size:           8
        .value_kind:     hidden_global_offset_y
      - .offset:         3448
        .size:           8
        .value_kind:     hidden_global_offset_z
      - .offset:         3456
        .size:           2
        .value_kind:     hidden_grid_dims
    .group_segment_fixed_size: 0
    .kernarg_segment_align: 16
    .kernarg_segment_size: 3648
    .language:       OpenCL C
    .language_version:
      - 2
      - 0
    .max_flat_workgroup_size: 512
    .name:           _ZN2at6native12_GLOBAL__N_125multi_tensor_apply_kernelINS1_18TensorListMetadataILi1EEENS1_21BinaryOpScalarFunctorIN3c107complexIdEELi1ELi1ELi0EEEJNS1_13power_functorIS8_EES8_EEEvT_T0_DpT1_
    .private_segment_fixed_size: 8
    .sgpr_count:     71
    .sgpr_spill_count: 0
    .symbol:         _ZN2at6native12_GLOBAL__N_125multi_tensor_apply_kernelINS1_18TensorListMetadataILi1EEENS1_21BinaryOpScalarFunctorIN3c107complexIdEELi1ELi1ELi0EEEJNS1_13power_functorIS8_EES8_EEEvT_T0_DpT1_.kd
    .uniform_work_group_size: 1
    .uses_dynamic_stack: false
    .vgpr_count:     62
    .vgpr_spill_count: 0
    .wavefront_size: 64
  - .agpr_count:     0
    .args:
      - .offset:         0
        .size:           3368
        .value_kind:     by_value
      - .offset:         3368
        .size:           1
        .value_kind:     by_value
      - .offset:         3369
        .size:           1
        .value_kind:     by_value
      - .offset:         3376
        .size:           8
        .value_kind:     by_value
      - .offset:         3384
        .size:           4
        .value_kind:     hidden_block_count_x
      - .offset:         3388
        .size:           4
        .value_kind:     hidden_block_count_y
      - .offset:         3392
        .size:           4
        .value_kind:     hidden_block_count_z
      - .offset:         3396
        .size:           2
        .value_kind:     hidden_group_size_x
      - .offset:         3398
        .size:           2
        .value_kind:     hidden_group_size_y
      - .offset:         3400
        .size:           2
        .value_kind:     hidden_group_size_z
      - .offset:         3402
        .size:           2
        .value_kind:     hidden_remainder_x
      - .offset:         3404
        .size:           2
        .value_kind:     hidden_remainder_y
      - .offset:         3406
        .size:           2
        .value_kind:     hidden_remainder_z
      - .offset:         3424
        .size:           8
        .value_kind:     hidden_global_offset_x
      - .offset:         3432
        .size:           8
        .value_kind:     hidden_global_offset_y
      - .offset:         3440
        .size:           8
        .value_kind:     hidden_global_offset_z
      - .offset:         3448
        .size:           2
        .value_kind:     hidden_grid_dims
    .group_segment_fixed_size: 4096
    .kernarg_segment_align: 8
    .kernarg_segment_size: 3640
    .language:       OpenCL C
    .language_version:
      - 2
      - 0
    .max_flat_workgroup_size: 512
    .name:           _ZN2at6native12_GLOBAL__N_125multi_tensor_apply_kernelINS1_18TensorListMetadataILi1EEENS1_21BinaryOpScalarFunctorIN3c107complexIfEELi1ELi1ELi0EEEJNS1_13power_functorIS8_EES8_EEEvT_T0_DpT1_
    .private_segment_fixed_size: 0
    .sgpr_count:     65
    .sgpr_spill_count: 0
    .symbol:         _ZN2at6native12_GLOBAL__N_125multi_tensor_apply_kernelINS1_18TensorListMetadataILi1EEENS1_21BinaryOpScalarFunctorIN3c107complexIfEELi1ELi1ELi0EEEJNS1_13power_functorIS8_EES8_EEEvT_T0_DpT1_.kd
    .uniform_work_group_size: 1
    .uses_dynamic_stack: false
    .vgpr_count:     50
    .vgpr_spill_count: 0
    .wavefront_size: 64
  - .agpr_count:     0
    .args:
      - .offset:         0
        .size:           3368
        .value_kind:     by_value
      - .offset:         3368
        .size:           1
        .value_kind:     by_value
      - .offset:         3369
        .size:           1
        .value_kind:     by_value
      - .offset:         3372
        .size:           4
        .value_kind:     by_value
      - .offset:         3376
        .size:           4
        .value_kind:     hidden_block_count_x
      - .offset:         3380
        .size:           4
        .value_kind:     hidden_block_count_y
      - .offset:         3384
        .size:           4
        .value_kind:     hidden_block_count_z
      - .offset:         3388
        .size:           2
        .value_kind:     hidden_group_size_x
      - .offset:         3390
        .size:           2
        .value_kind:     hidden_group_size_y
      - .offset:         3392
        .size:           2
        .value_kind:     hidden_group_size_z
      - .offset:         3394
        .size:           2
        .value_kind:     hidden_remainder_x
      - .offset:         3396
        .size:           2
        .value_kind:     hidden_remainder_y
      - .offset:         3398
        .size:           2
        .value_kind:     hidden_remainder_z
      - .offset:         3416
        .size:           8
        .value_kind:     hidden_global_offset_x
      - .offset:         3424
        .size:           8
        .value_kind:     hidden_global_offset_y
      - .offset:         3432
        .size:           8
        .value_kind:     hidden_global_offset_z
      - .offset:         3440
        .size:           2
        .value_kind:     hidden_grid_dims
    .group_segment_fixed_size: 0
    .kernarg_segment_align: 8
    .kernarg_segment_size: 3632
    .language:       OpenCL C
    .language_version:
      - 2
      - 0
    .max_flat_workgroup_size: 512
    .name:           _ZN2at6native12_GLOBAL__N_125multi_tensor_apply_kernelINS1_18TensorListMetadataILi1EEENS1_21BinaryOpScalarFunctorIN3c104HalfELi1ELi1ELi0EEEJNS1_13power_functorIfEEfEEEvT_T0_DpT1_
    .private_segment_fixed_size: 0
    .sgpr_count:     52
    .sgpr_spill_count: 0
    .symbol:         _ZN2at6native12_GLOBAL__N_125multi_tensor_apply_kernelINS1_18TensorListMetadataILi1EEENS1_21BinaryOpScalarFunctorIN3c104HalfELi1ELi1ELi0EEEJNS1_13power_functorIfEEfEEEvT_T0_DpT1_.kd
    .uniform_work_group_size: 1
    .uses_dynamic_stack: false
    .vgpr_count:     39
    .vgpr_spill_count: 0
    .wavefront_size: 64
  - .agpr_count:     0
    .args:
      - .offset:         0
        .size:           3368
        .value_kind:     by_value
      - .offset:         3368
        .size:           1
        .value_kind:     by_value
      - .offset:         3369
        .size:           1
        .value_kind:     by_value
      - .offset:         3372
        .size:           4
        .value_kind:     by_value
      - .offset:         3376
        .size:           4
        .value_kind:     hidden_block_count_x
      - .offset:         3380
        .size:           4
        .value_kind:     hidden_block_count_y
      - .offset:         3384
        .size:           4
        .value_kind:     hidden_block_count_z
      - .offset:         3388
        .size:           2
        .value_kind:     hidden_group_size_x
      - .offset:         3390
        .size:           2
        .value_kind:     hidden_group_size_y
      - .offset:         3392
        .size:           2
        .value_kind:     hidden_group_size_z
      - .offset:         3394
        .size:           2
        .value_kind:     hidden_remainder_x
      - .offset:         3396
        .size:           2
        .value_kind:     hidden_remainder_y
      - .offset:         3398
        .size:           2
        .value_kind:     hidden_remainder_z
      - .offset:         3416
        .size:           8
        .value_kind:     hidden_global_offset_x
      - .offset:         3424
        .size:           8
        .value_kind:     hidden_global_offset_y
      - .offset:         3432
        .size:           8
        .value_kind:     hidden_global_offset_z
      - .offset:         3440
        .size:           2
        .value_kind:     hidden_grid_dims
    .group_segment_fixed_size: 0
    .kernarg_segment_align: 8
    .kernarg_segment_size: 3632
    .language:       OpenCL C
    .language_version:
      - 2
      - 0
    .max_flat_workgroup_size: 512
    .name:           _ZN2at6native12_GLOBAL__N_125multi_tensor_apply_kernelINS1_18TensorListMetadataILi1EEENS1_21BinaryOpScalarFunctorIN3c108BFloat16ELi1ELi1ELi0EEEJNS1_13power_functorIfEEfEEEvT_T0_DpT1_
    .private_segment_fixed_size: 0
    .sgpr_count:     56
    .sgpr_spill_count: 0
    .symbol:         _ZN2at6native12_GLOBAL__N_125multi_tensor_apply_kernelINS1_18TensorListMetadataILi1EEENS1_21BinaryOpScalarFunctorIN3c108BFloat16ELi1ELi1ELi0EEEJNS1_13power_functorIfEEfEEEvT_T0_DpT1_.kd
    .uniform_work_group_size: 1
    .uses_dynamic_stack: false
    .vgpr_count:     42
    .vgpr_spill_count: 0
    .wavefront_size: 64
  - .agpr_count:     0
    .args:
      - .offset:         0
        .size:           3144
        .value_kind:     by_value
      - .offset:         3144
        .size:           1
        .value_kind:     by_value
      - .offset:         3145
        .size:           1
        .value_kind:     by_value
      - .offset:         3146
        .size:           1
        .value_kind:     by_value
      - .offset:         3152
        .size:           4
        .value_kind:     hidden_block_count_x
      - .offset:         3156
        .size:           4
        .value_kind:     hidden_block_count_y
      - .offset:         3160
        .size:           4
        .value_kind:     hidden_block_count_z
      - .offset:         3164
        .size:           2
        .value_kind:     hidden_group_size_x
      - .offset:         3166
        .size:           2
        .value_kind:     hidden_group_size_y
      - .offset:         3168
        .size:           2
        .value_kind:     hidden_group_size_z
      - .offset:         3170
        .size:           2
        .value_kind:     hidden_remainder_x
      - .offset:         3172
        .size:           2
        .value_kind:     hidden_remainder_y
      - .offset:         3174
        .size:           2
        .value_kind:     hidden_remainder_z
      - .offset:         3192
        .size:           8
        .value_kind:     hidden_global_offset_x
      - .offset:         3200
        .size:           8
        .value_kind:     hidden_global_offset_y
      - .offset:         3208
        .size:           8
        .value_kind:     hidden_global_offset_z
      - .offset:         3216
        .size:           2
        .value_kind:     hidden_grid_dims
    .group_segment_fixed_size: 0
    .kernarg_segment_align: 8
    .kernarg_segment_size: 3408
    .language:       OpenCL C
    .language_version:
      - 2
      - 0
    .max_flat_workgroup_size: 512
    .name:           _ZN2at6native12_GLOBAL__N_125multi_tensor_apply_kernelINS1_18TensorListMetadataILi2EEENS1_21BinaryOpScalarFunctorIhLi2ELi1ELi1EEEJNS1_13power_functorIhEEhEEEvT_T0_DpT1_
    .private_segment_fixed_size: 0
    .sgpr_count:     34
    .sgpr_spill_count: 0
    .symbol:         _ZN2at6native12_GLOBAL__N_125multi_tensor_apply_kernelINS1_18TensorListMetadataILi2EEENS1_21BinaryOpScalarFunctorIhLi2ELi1ELi1EEEJNS1_13power_functorIhEEhEEEvT_T0_DpT1_.kd
    .uniform_work_group_size: 1
    .uses_dynamic_stack: false
    .vgpr_count:     24
    .vgpr_spill_count: 0
    .wavefront_size: 64
  - .agpr_count:     0
    .args:
      - .offset:         0
        .size:           3144
        .value_kind:     by_value
      - .offset:         3144
        .size:           1
        .value_kind:     by_value
      - .offset:         3145
        .size:           1
        .value_kind:     by_value
      - .offset:         3146
        .size:           1
        .value_kind:     by_value
      - .offset:         3152
        .size:           4
        .value_kind:     hidden_block_count_x
      - .offset:         3156
        .size:           4
        .value_kind:     hidden_block_count_y
      - .offset:         3160
        .size:           4
        .value_kind:     hidden_block_count_z
      - .offset:         3164
        .size:           2
        .value_kind:     hidden_group_size_x
      - .offset:         3166
        .size:           2
        .value_kind:     hidden_group_size_y
      - .offset:         3168
        .size:           2
        .value_kind:     hidden_group_size_z
      - .offset:         3170
        .size:           2
        .value_kind:     hidden_remainder_x
      - .offset:         3172
        .size:           2
        .value_kind:     hidden_remainder_y
      - .offset:         3174
        .size:           2
        .value_kind:     hidden_remainder_z
      - .offset:         3192
        .size:           8
        .value_kind:     hidden_global_offset_x
      - .offset:         3200
        .size:           8
        .value_kind:     hidden_global_offset_y
      - .offset:         3208
        .size:           8
        .value_kind:     hidden_global_offset_z
      - .offset:         3216
        .size:           2
        .value_kind:     hidden_grid_dims
    .group_segment_fixed_size: 0
    .kernarg_segment_align: 8
    .kernarg_segment_size: 3408
    .language:       OpenCL C
    .language_version:
      - 2
      - 0
    .max_flat_workgroup_size: 512
    .name:           _ZN2at6native12_GLOBAL__N_125multi_tensor_apply_kernelINS1_18TensorListMetadataILi2EEENS1_21BinaryOpScalarFunctorIaLi2ELi1ELi1EEEJNS1_13power_functorIaEEaEEEvT_T0_DpT1_
    .private_segment_fixed_size: 0
    .sgpr_count:     44
    .sgpr_spill_count: 0
    .symbol:         _ZN2at6native12_GLOBAL__N_125multi_tensor_apply_kernelINS1_18TensorListMetadataILi2EEENS1_21BinaryOpScalarFunctorIaLi2ELi1ELi1EEEJNS1_13power_functorIaEEaEEEvT_T0_DpT1_.kd
    .uniform_work_group_size: 1
    .uses_dynamic_stack: false
    .vgpr_count:     23
    .vgpr_spill_count: 0
    .wavefront_size: 64
  - .agpr_count:     0
    .args:
      - .offset:         0
        .size:           3144
        .value_kind:     by_value
      - .offset:         3144
        .size:           1
        .value_kind:     by_value
      - .offset:         3145
        .size:           1
        .value_kind:     by_value
      - .offset:         3148
        .size:           4
        .value_kind:     by_value
      - .offset:         3152
        .size:           4
        .value_kind:     hidden_block_count_x
      - .offset:         3156
        .size:           4
        .value_kind:     hidden_block_count_y
      - .offset:         3160
        .size:           4
        .value_kind:     hidden_block_count_z
      - .offset:         3164
        .size:           2
        .value_kind:     hidden_group_size_x
      - .offset:         3166
        .size:           2
        .value_kind:     hidden_group_size_y
      - .offset:         3168
        .size:           2
        .value_kind:     hidden_group_size_z
      - .offset:         3170
        .size:           2
        .value_kind:     hidden_remainder_x
      - .offset:         3172
        .size:           2
        .value_kind:     hidden_remainder_y
      - .offset:         3174
        .size:           2
        .value_kind:     hidden_remainder_z
      - .offset:         3192
        .size:           8
        .value_kind:     hidden_global_offset_x
      - .offset:         3200
        .size:           8
        .value_kind:     hidden_global_offset_y
      - .offset:         3208
        .size:           8
        .value_kind:     hidden_global_offset_z
      - .offset:         3216
        .size:           2
        .value_kind:     hidden_grid_dims
    .group_segment_fixed_size: 0
    .kernarg_segment_align: 8
    .kernarg_segment_size: 3408
    .language:       OpenCL C
    .language_version:
      - 2
      - 0
    .max_flat_workgroup_size: 512
    .name:           _ZN2at6native12_GLOBAL__N_125multi_tensor_apply_kernelINS1_18TensorListMetadataILi2EEENS1_21BinaryOpScalarFunctorIiLi2ELi1ELi1EEEJNS1_13power_functorIiEEiEEEvT_T0_DpT1_
    .private_segment_fixed_size: 0
    .sgpr_count:     46
    .sgpr_spill_count: 0
    .symbol:         _ZN2at6native12_GLOBAL__N_125multi_tensor_apply_kernelINS1_18TensorListMetadataILi2EEENS1_21BinaryOpScalarFunctorIiLi2ELi1ELi1EEEJNS1_13power_functorIiEEiEEEvT_T0_DpT1_.kd
    .uniform_work_group_size: 1
    .uses_dynamic_stack: false
    .vgpr_count:     20
    .vgpr_spill_count: 0
    .wavefront_size: 64
  - .agpr_count:     0
    .args:
      - .offset:         0
        .size:           3144
        .value_kind:     by_value
      - .offset:         3144
        .size:           1
        .value_kind:     by_value
      - .offset:         3145
        .size:           1
        .value_kind:     by_value
      - .offset:         3152
        .size:           8
        .value_kind:     by_value
      - .offset:         3160
        .size:           4
        .value_kind:     hidden_block_count_x
      - .offset:         3164
        .size:           4
        .value_kind:     hidden_block_count_y
      - .offset:         3168
        .size:           4
        .value_kind:     hidden_block_count_z
      - .offset:         3172
        .size:           2
        .value_kind:     hidden_group_size_x
      - .offset:         3174
        .size:           2
        .value_kind:     hidden_group_size_y
      - .offset:         3176
        .size:           2
        .value_kind:     hidden_group_size_z
      - .offset:         3178
        .size:           2
        .value_kind:     hidden_remainder_x
      - .offset:         3180
        .size:           2
        .value_kind:     hidden_remainder_y
      - .offset:         3182
        .size:           2
        .value_kind:     hidden_remainder_z
      - .offset:         3200
        .size:           8
        .value_kind:     hidden_global_offset_x
      - .offset:         3208
        .size:           8
        .value_kind:     hidden_global_offset_y
      - .offset:         3216
        .size:           8
        .value_kind:     hidden_global_offset_z
      - .offset:         3224
        .size:           2
        .value_kind:     hidden_grid_dims
    .group_segment_fixed_size: 0
    .kernarg_segment_align: 8
    .kernarg_segment_size: 3416
    .language:       OpenCL C
    .language_version:
      - 2
      - 0
    .max_flat_workgroup_size: 512
    .name:           _ZN2at6native12_GLOBAL__N_125multi_tensor_apply_kernelINS1_18TensorListMetadataILi2EEENS1_21BinaryOpScalarFunctorIlLi2ELi1ELi1EEEJNS1_13power_functorIlEElEEEvT_T0_DpT1_
    .private_segment_fixed_size: 0
    .sgpr_count:     48
    .sgpr_spill_count: 0
    .symbol:         _ZN2at6native12_GLOBAL__N_125multi_tensor_apply_kernelINS1_18TensorListMetadataILi2EEENS1_21BinaryOpScalarFunctorIlLi2ELi1ELi1EEEJNS1_13power_functorIlEElEEEvT_T0_DpT1_.kd
    .uniform_work_group_size: 1
    .uses_dynamic_stack: false
    .vgpr_count:     28
    .vgpr_spill_count: 0
    .wavefront_size: 64
  - .agpr_count:     0
    .args:
      - .offset:         0
        .size:           3144
        .value_kind:     by_value
      - .offset:         3144
        .size:           1
        .value_kind:     by_value
      - .offset:         3145
        .size:           1
        .value_kind:     by_value
      - .offset:         3146
        .size:           2
        .value_kind:     by_value
      - .offset:         3152
        .size:           4
        .value_kind:     hidden_block_count_x
      - .offset:         3156
        .size:           4
        .value_kind:     hidden_block_count_y
      - .offset:         3160
        .size:           4
        .value_kind:     hidden_block_count_z
      - .offset:         3164
        .size:           2
        .value_kind:     hidden_group_size_x
      - .offset:         3166
        .size:           2
        .value_kind:     hidden_group_size_y
      - .offset:         3168
        .size:           2
        .value_kind:     hidden_group_size_z
      - .offset:         3170
        .size:           2
        .value_kind:     hidden_remainder_x
      - .offset:         3172
        .size:           2
        .value_kind:     hidden_remainder_y
      - .offset:         3174
        .size:           2
        .value_kind:     hidden_remainder_z
      - .offset:         3192
        .size:           8
        .value_kind:     hidden_global_offset_x
      - .offset:         3200
        .size:           8
        .value_kind:     hidden_global_offset_y
      - .offset:         3208
        .size:           8
        .value_kind:     hidden_global_offset_z
      - .offset:         3216
        .size:           2
        .value_kind:     hidden_grid_dims
    .group_segment_fixed_size: 0
    .kernarg_segment_align: 8
    .kernarg_segment_size: 3408
    .language:       OpenCL C
    .language_version:
      - 2
      - 0
    .max_flat_workgroup_size: 512
    .name:           _ZN2at6native12_GLOBAL__N_125multi_tensor_apply_kernelINS1_18TensorListMetadataILi2EEENS1_21BinaryOpScalarFunctorIsLi2ELi1ELi1EEEJNS1_13power_functorIsEEsEEEvT_T0_DpT1_
    .private_segment_fixed_size: 0
    .sgpr_count:     46
    .sgpr_spill_count: 0
    .symbol:         _ZN2at6native12_GLOBAL__N_125multi_tensor_apply_kernelINS1_18TensorListMetadataILi2EEENS1_21BinaryOpScalarFunctorIsLi2ELi1ELi1EEEJNS1_13power_functorIsEEsEEEvT_T0_DpT1_.kd
    .uniform_work_group_size: 1
    .uses_dynamic_stack: false
    .vgpr_count:     20
    .vgpr_spill_count: 0
    .wavefront_size: 64
  - .agpr_count:     0
    .args:
      - .offset:         0
        .size:           3144
        .value_kind:     by_value
      - .offset:         3144
        .size:           1
        .value_kind:     by_value
      - .offset:         3145
        .size:           1
        .value_kind:     by_value
      - .offset:         3152
        .size:           8
        .value_kind:     by_value
      - .offset:         3160
        .size:           4
        .value_kind:     hidden_block_count_x
      - .offset:         3164
        .size:           4
        .value_kind:     hidden_block_count_y
      - .offset:         3168
        .size:           4
        .value_kind:     hidden_block_count_z
      - .offset:         3172
        .size:           2
        .value_kind:     hidden_group_size_x
      - .offset:         3174
        .size:           2
        .value_kind:     hidden_group_size_y
      - .offset:         3176
        .size:           2
        .value_kind:     hidden_group_size_z
      - .offset:         3178
        .size:           2
        .value_kind:     hidden_remainder_x
      - .offset:         3180
        .size:           2
        .value_kind:     hidden_remainder_y
      - .offset:         3182
        .size:           2
        .value_kind:     hidden_remainder_z
      - .offset:         3200
        .size:           8
        .value_kind:     hidden_global_offset_x
      - .offset:         3208
        .size:           8
        .value_kind:     hidden_global_offset_y
      - .offset:         3216
        .size:           8
        .value_kind:     hidden_global_offset_z
      - .offset:         3224
        .size:           2
        .value_kind:     hidden_grid_dims
    .group_segment_fixed_size: 0
    .kernarg_segment_align: 8
    .kernarg_segment_size: 3416
    .language:       OpenCL C
    .language_version:
      - 2
      - 0
    .max_flat_workgroup_size: 512
    .name:           _ZN2at6native12_GLOBAL__N_125multi_tensor_apply_kernelINS1_18TensorListMetadataILi2EEENS1_21BinaryOpScalarFunctorIdLi2ELi1ELi1EEEJNS1_13power_functorIdEEdEEEvT_T0_DpT1_
    .private_segment_fixed_size: 0
    .sgpr_count:     100
    .sgpr_spill_count: 0
    .symbol:         _ZN2at6native12_GLOBAL__N_125multi_tensor_apply_kernelINS1_18TensorListMetadataILi2EEENS1_21BinaryOpScalarFunctorIdLi2ELi1ELi1EEEJNS1_13power_functorIdEEdEEEvT_T0_DpT1_.kd
    .uniform_work_group_size: 1
    .uses_dynamic_stack: false
    .vgpr_count:     96
    .vgpr_spill_count: 0
    .wavefront_size: 64
  - .agpr_count:     0
    .args:
      - .offset:         0
        .size:           3144
        .value_kind:     by_value
      - .offset:         3144
        .size:           1
        .value_kind:     by_value
      - .offset:         3145
        .size:           1
        .value_kind:     by_value
      - .offset:         3148
        .size:           4
        .value_kind:     by_value
      - .offset:         3152
        .size:           4
        .value_kind:     hidden_block_count_x
      - .offset:         3156
        .size:           4
        .value_kind:     hidden_block_count_y
      - .offset:         3160
        .size:           4
        .value_kind:     hidden_block_count_z
      - .offset:         3164
        .size:           2
        .value_kind:     hidden_group_size_x
      - .offset:         3166
        .size:           2
        .value_kind:     hidden_group_size_y
      - .offset:         3168
        .size:           2
        .value_kind:     hidden_group_size_z
      - .offset:         3170
        .size:           2
        .value_kind:     hidden_remainder_x
      - .offset:         3172
        .size:           2
        .value_kind:     hidden_remainder_y
      - .offset:         3174
        .size:           2
        .value_kind:     hidden_remainder_z
      - .offset:         3192
        .size:           8
        .value_kind:     hidden_global_offset_x
      - .offset:         3200
        .size:           8
        .value_kind:     hidden_global_offset_y
      - .offset:         3208
        .size:           8
        .value_kind:     hidden_global_offset_z
      - .offset:         3216
        .size:           2
        .value_kind:     hidden_grid_dims
    .group_segment_fixed_size: 0
    .kernarg_segment_align: 8
    .kernarg_segment_size: 3408
    .language:       OpenCL C
    .language_version:
      - 2
      - 0
    .max_flat_workgroup_size: 512
    .name:           _ZN2at6native12_GLOBAL__N_125multi_tensor_apply_kernelINS1_18TensorListMetadataILi2EEENS1_21BinaryOpScalarFunctorIfLi2ELi1ELi1EEEJNS1_13power_functorIfEEfEEEvT_T0_DpT1_
    .private_segment_fixed_size: 0
    .sgpr_count:     51
    .sgpr_spill_count: 0
    .symbol:         _ZN2at6native12_GLOBAL__N_125multi_tensor_apply_kernelINS1_18TensorListMetadataILi2EEENS1_21BinaryOpScalarFunctorIfLi2ELi1ELi1EEEJNS1_13power_functorIfEEfEEEvT_T0_DpT1_.kd
    .uniform_work_group_size: 1
    .uses_dynamic_stack: false
    .vgpr_count:     53
    .vgpr_spill_count: 0
    .wavefront_size: 64
  - .agpr_count:     0
    .args:
      - .offset:         0
        .size:           3144
        .value_kind:     by_value
      - .offset:         3144
        .size:           1
        .value_kind:     by_value
      - .offset:         3145
        .size:           1
        .value_kind:     by_value
      - .offset:         3152
        .size:           16
        .value_kind:     by_value
      - .offset:         3168
        .size:           4
        .value_kind:     hidden_block_count_x
      - .offset:         3172
        .size:           4
        .value_kind:     hidden_block_count_y
      - .offset:         3176
        .size:           4
        .value_kind:     hidden_block_count_z
      - .offset:         3180
        .size:           2
        .value_kind:     hidden_group_size_x
      - .offset:         3182
        .size:           2
        .value_kind:     hidden_group_size_y
      - .offset:         3184
        .size:           2
        .value_kind:     hidden_group_size_z
      - .offset:         3186
        .size:           2
        .value_kind:     hidden_remainder_x
      - .offset:         3188
        .size:           2
        .value_kind:     hidden_remainder_y
      - .offset:         3190
        .size:           2
        .value_kind:     hidden_remainder_z
      - .offset:         3208
        .size:           8
        .value_kind:     hidden_global_offset_x
      - .offset:         3216
        .size:           8
        .value_kind:     hidden_global_offset_y
      - .offset:         3224
        .size:           8
        .value_kind:     hidden_global_offset_z
      - .offset:         3232
        .size:           2
        .value_kind:     hidden_grid_dims
    .group_segment_fixed_size: 0
    .kernarg_segment_align: 16
    .kernarg_segment_size: 3424
    .language:       OpenCL C
    .language_version:
      - 2
      - 0
    .max_flat_workgroup_size: 512
    .name:           _ZN2at6native12_GLOBAL__N_125multi_tensor_apply_kernelINS1_18TensorListMetadataILi2EEENS1_21BinaryOpScalarFunctorIN3c107complexIdEELi2ELi1ELi1EEEJNS1_13power_functorIS8_EES8_EEEvT_T0_DpT1_
    .private_segment_fixed_size: 8
    .sgpr_count:     79
    .sgpr_spill_count: 0
    .symbol:         _ZN2at6native12_GLOBAL__N_125multi_tensor_apply_kernelINS1_18TensorListMetadataILi2EEENS1_21BinaryOpScalarFunctorIN3c107complexIdEELi2ELi1ELi1EEEJNS1_13power_functorIS8_EES8_EEEvT_T0_DpT1_.kd
    .uniform_work_group_size: 1
    .uses_dynamic_stack: false
    .vgpr_count:     70
    .vgpr_spill_count: 0
    .wavefront_size: 64
  - .agpr_count:     0
    .args:
      - .offset:         0
        .size:           3144
        .value_kind:     by_value
      - .offset:         3144
        .size:           1
        .value_kind:     by_value
      - .offset:         3145
        .size:           1
        .value_kind:     by_value
      - .offset:         3152
        .size:           8
        .value_kind:     by_value
      - .offset:         3160
        .size:           4
        .value_kind:     hidden_block_count_x
      - .offset:         3164
        .size:           4
        .value_kind:     hidden_block_count_y
      - .offset:         3168
        .size:           4
        .value_kind:     hidden_block_count_z
      - .offset:         3172
        .size:           2
        .value_kind:     hidden_group_size_x
      - .offset:         3174
        .size:           2
        .value_kind:     hidden_group_size_y
      - .offset:         3176
        .size:           2
        .value_kind:     hidden_group_size_z
      - .offset:         3178
        .size:           2
        .value_kind:     hidden_remainder_x
      - .offset:         3180
        .size:           2
        .value_kind:     hidden_remainder_y
      - .offset:         3182
        .size:           2
        .value_kind:     hidden_remainder_z
      - .offset:         3200
        .size:           8
        .value_kind:     hidden_global_offset_x
      - .offset:         3208
        .size:           8
        .value_kind:     hidden_global_offset_y
      - .offset:         3216
        .size:           8
        .value_kind:     hidden_global_offset_z
      - .offset:         3224
        .size:           2
        .value_kind:     hidden_grid_dims
    .group_segment_fixed_size: 4096
    .kernarg_segment_align: 8
    .kernarg_segment_size: 3416
    .language:       OpenCL C
    .language_version:
      - 2
      - 0
    .max_flat_workgroup_size: 512
    .name:           _ZN2at6native12_GLOBAL__N_125multi_tensor_apply_kernelINS1_18TensorListMetadataILi2EEENS1_21BinaryOpScalarFunctorIN3c107complexIfEELi2ELi1ELi1EEEJNS1_13power_functorIS8_EES8_EEEvT_T0_DpT1_
    .private_segment_fixed_size: 0
    .sgpr_count:     73
    .sgpr_spill_count: 0
    .symbol:         _ZN2at6native12_GLOBAL__N_125multi_tensor_apply_kernelINS1_18TensorListMetadataILi2EEENS1_21BinaryOpScalarFunctorIN3c107complexIfEELi2ELi1ELi1EEEJNS1_13power_functorIS8_EES8_EEEvT_T0_DpT1_.kd
    .uniform_work_group_size: 1
    .uses_dynamic_stack: false
    .vgpr_count:     52
    .vgpr_spill_count: 0
    .wavefront_size: 64
  - .agpr_count:     0
    .args:
      - .offset:         0
        .size:           3144
        .value_kind:     by_value
      - .offset:         3144
        .size:           1
        .value_kind:     by_value
      - .offset:         3145
        .size:           1
        .value_kind:     by_value
      - .offset:         3148
        .size:           4
        .value_kind:     by_value
      - .offset:         3152
        .size:           4
        .value_kind:     hidden_block_count_x
      - .offset:         3156
        .size:           4
        .value_kind:     hidden_block_count_y
      - .offset:         3160
        .size:           4
        .value_kind:     hidden_block_count_z
      - .offset:         3164
        .size:           2
        .value_kind:     hidden_group_size_x
      - .offset:         3166
        .size:           2
        .value_kind:     hidden_group_size_y
      - .offset:         3168
        .size:           2
        .value_kind:     hidden_group_size_z
      - .offset:         3170
        .size:           2
        .value_kind:     hidden_remainder_x
      - .offset:         3172
        .size:           2
        .value_kind:     hidden_remainder_y
      - .offset:         3174
        .size:           2
        .value_kind:     hidden_remainder_z
      - .offset:         3192
        .size:           8
        .value_kind:     hidden_global_offset_x
      - .offset:         3200
        .size:           8
        .value_kind:     hidden_global_offset_y
      - .offset:         3208
        .size:           8
        .value_kind:     hidden_global_offset_z
      - .offset:         3216
        .size:           2
        .value_kind:     hidden_grid_dims
    .group_segment_fixed_size: 0
    .kernarg_segment_align: 8
    .kernarg_segment_size: 3408
    .language:       OpenCL C
    .language_version:
      - 2
      - 0
    .max_flat_workgroup_size: 512
    .name:           _ZN2at6native12_GLOBAL__N_125multi_tensor_apply_kernelINS1_18TensorListMetadataILi2EEENS1_21BinaryOpScalarFunctorIN3c104HalfELi2ELi1ELi1EEEJNS1_13power_functorIfEEfEEEvT_T0_DpT1_
    .private_segment_fixed_size: 0
    .sgpr_count:     75
    .sgpr_spill_count: 0
    .symbol:         _ZN2at6native12_GLOBAL__N_125multi_tensor_apply_kernelINS1_18TensorListMetadataILi2EEENS1_21BinaryOpScalarFunctorIN3c104HalfELi2ELi1ELi1EEEJNS1_13power_functorIfEEfEEEvT_T0_DpT1_.kd
    .uniform_work_group_size: 1
    .uses_dynamic_stack: false
    .vgpr_count:     66
    .vgpr_spill_count: 0
    .wavefront_size: 64
  - .agpr_count:     0
    .args:
      - .offset:         0
        .size:           3144
        .value_kind:     by_value
      - .offset:         3144
        .size:           1
        .value_kind:     by_value
      - .offset:         3145
        .size:           1
        .value_kind:     by_value
      - .offset:         3148
        .size:           4
        .value_kind:     by_value
      - .offset:         3152
        .size:           4
        .value_kind:     hidden_block_count_x
      - .offset:         3156
        .size:           4
        .value_kind:     hidden_block_count_y
      - .offset:         3160
        .size:           4
        .value_kind:     hidden_block_count_z
      - .offset:         3164
        .size:           2
        .value_kind:     hidden_group_size_x
      - .offset:         3166
        .size:           2
        .value_kind:     hidden_group_size_y
      - .offset:         3168
        .size:           2
        .value_kind:     hidden_group_size_z
      - .offset:         3170
        .size:           2
        .value_kind:     hidden_remainder_x
      - .offset:         3172
        .size:           2
        .value_kind:     hidden_remainder_y
      - .offset:         3174
        .size:           2
        .value_kind:     hidden_remainder_z
      - .offset:         3192
        .size:           8
        .value_kind:     hidden_global_offset_x
      - .offset:         3200
        .size:           8
        .value_kind:     hidden_global_offset_y
      - .offset:         3208
        .size:           8
        .value_kind:     hidden_global_offset_z
      - .offset:         3216
        .size:           2
        .value_kind:     hidden_grid_dims
    .group_segment_fixed_size: 0
    .kernarg_segment_align: 8
    .kernarg_segment_size: 3408
    .language:       OpenCL C
    .language_version:
      - 2
      - 0
    .max_flat_workgroup_size: 512
    .name:           _ZN2at6native12_GLOBAL__N_125multi_tensor_apply_kernelINS1_18TensorListMetadataILi2EEENS1_21BinaryOpScalarFunctorIN3c108BFloat16ELi2ELi1ELi1EEEJNS1_13power_functorIfEEfEEEvT_T0_DpT1_
    .private_segment_fixed_size: 0
    .sgpr_count:     74
    .sgpr_spill_count: 0
    .symbol:         _ZN2at6native12_GLOBAL__N_125multi_tensor_apply_kernelINS1_18TensorListMetadataILi2EEENS1_21BinaryOpScalarFunctorIN3c108BFloat16ELi2ELi1ELi1EEEJNS1_13power_functorIfEEfEEEvT_T0_DpT1_.kd
    .uniform_work_group_size: 1
    .uses_dynamic_stack: false
    .vgpr_count:     64
    .vgpr_spill_count: 0
    .wavefront_size: 64
  - .agpr_count:     0
    .args:
      - .offset:         0
        .size:           3144
        .value_kind:     by_value
      - .offset:         3144
        .size:           1
        .value_kind:     by_value
      - .offset:         3145
        .size:           1
        .value_kind:     by_value
      - .offset:         3146
        .size:           1
        .value_kind:     by_value
      - .offset:         3152
        .size:           4
        .value_kind:     hidden_block_count_x
      - .offset:         3156
        .size:           4
        .value_kind:     hidden_block_count_y
      - .offset:         3160
        .size:           4
        .value_kind:     hidden_block_count_z
      - .offset:         3164
        .size:           2
        .value_kind:     hidden_group_size_x
      - .offset:         3166
        .size:           2
        .value_kind:     hidden_group_size_y
      - .offset:         3168
        .size:           2
        .value_kind:     hidden_group_size_z
      - .offset:         3170
        .size:           2
        .value_kind:     hidden_remainder_x
      - .offset:         3172
        .size:           2
        .value_kind:     hidden_remainder_y
      - .offset:         3174
        .size:           2
        .value_kind:     hidden_remainder_z
      - .offset:         3192
        .size:           8
        .value_kind:     hidden_global_offset_x
      - .offset:         3200
        .size:           8
        .value_kind:     hidden_global_offset_y
      - .offset:         3208
        .size:           8
        .value_kind:     hidden_global_offset_z
      - .offset:         3216
        .size:           2
        .value_kind:     hidden_grid_dims
    .group_segment_fixed_size: 0
    .kernarg_segment_align: 8
    .kernarg_segment_size: 3408
    .language:       OpenCL C
    .language_version:
      - 2
      - 0
    .max_flat_workgroup_size: 512
    .name:           _ZN2at6native12_GLOBAL__N_125multi_tensor_apply_kernelINS1_18TensorListMetadataILi2EEENS1_21BinaryOpScalarFunctorIhLi2ELi1ELi1EEEJNS1_21reverse_power_functorIhEEhEEEvT_T0_DpT1_
    .private_segment_fixed_size: 0
    .sgpr_count:     34
    .sgpr_spill_count: 0
    .symbol:         _ZN2at6native12_GLOBAL__N_125multi_tensor_apply_kernelINS1_18TensorListMetadataILi2EEENS1_21BinaryOpScalarFunctorIhLi2ELi1ELi1EEEJNS1_21reverse_power_functorIhEEhEEEvT_T0_DpT1_.kd
    .uniform_work_group_size: 1
    .uses_dynamic_stack: false
    .vgpr_count:     24
    .vgpr_spill_count: 0
    .wavefront_size: 64
  - .agpr_count:     0
    .args:
      - .offset:         0
        .size:           3144
        .value_kind:     by_value
      - .offset:         3144
        .size:           1
        .value_kind:     by_value
      - .offset:         3145
        .size:           1
        .value_kind:     by_value
      - .offset:         3146
        .size:           1
        .value_kind:     by_value
      - .offset:         3152
        .size:           4
        .value_kind:     hidden_block_count_x
      - .offset:         3156
        .size:           4
        .value_kind:     hidden_block_count_y
      - .offset:         3160
        .size:           4
        .value_kind:     hidden_block_count_z
      - .offset:         3164
        .size:           2
        .value_kind:     hidden_group_size_x
      - .offset:         3166
        .size:           2
        .value_kind:     hidden_group_size_y
      - .offset:         3168
        .size:           2
        .value_kind:     hidden_group_size_z
      - .offset:         3170
        .size:           2
        .value_kind:     hidden_remainder_x
      - .offset:         3172
        .size:           2
        .value_kind:     hidden_remainder_y
      - .offset:         3174
        .size:           2
        .value_kind:     hidden_remainder_z
      - .offset:         3192
        .size:           8
        .value_kind:     hidden_global_offset_x
      - .offset:         3200
        .size:           8
        .value_kind:     hidden_global_offset_y
      - .offset:         3208
        .size:           8
        .value_kind:     hidden_global_offset_z
      - .offset:         3216
        .size:           2
        .value_kind:     hidden_grid_dims
    .group_segment_fixed_size: 0
    .kernarg_segment_align: 8
    .kernarg_segment_size: 3408
    .language:       OpenCL C
    .language_version:
      - 2
      - 0
    .max_flat_workgroup_size: 512
    .name:           _ZN2at6native12_GLOBAL__N_125multi_tensor_apply_kernelINS1_18TensorListMetadataILi2EEENS1_21BinaryOpScalarFunctorIaLi2ELi1ELi1EEEJNS1_21reverse_power_functorIaEEaEEEvT_T0_DpT1_
    .private_segment_fixed_size: 0
    .sgpr_count:     42
    .sgpr_spill_count: 0
    .symbol:         _ZN2at6native12_GLOBAL__N_125multi_tensor_apply_kernelINS1_18TensorListMetadataILi2EEENS1_21BinaryOpScalarFunctorIaLi2ELi1ELi1EEEJNS1_21reverse_power_functorIaEEaEEEvT_T0_DpT1_.kd
    .uniform_work_group_size: 1
    .uses_dynamic_stack: false
    .vgpr_count:     23
    .vgpr_spill_count: 0
    .wavefront_size: 64
  - .agpr_count:     0
    .args:
      - .offset:         0
        .size:           3144
        .value_kind:     by_value
      - .offset:         3144
        .size:           1
        .value_kind:     by_value
      - .offset:         3145
        .size:           1
        .value_kind:     by_value
      - .offset:         3148
        .size:           4
        .value_kind:     by_value
      - .offset:         3152
        .size:           4
        .value_kind:     hidden_block_count_x
      - .offset:         3156
        .size:           4
        .value_kind:     hidden_block_count_y
      - .offset:         3160
        .size:           4
        .value_kind:     hidden_block_count_z
      - .offset:         3164
        .size:           2
        .value_kind:     hidden_group_size_x
      - .offset:         3166
        .size:           2
        .value_kind:     hidden_group_size_y
      - .offset:         3168
        .size:           2
        .value_kind:     hidden_group_size_z
      - .offset:         3170
        .size:           2
        .value_kind:     hidden_remainder_x
      - .offset:         3172
        .size:           2
        .value_kind:     hidden_remainder_y
      - .offset:         3174
        .size:           2
        .value_kind:     hidden_remainder_z
      - .offset:         3192
        .size:           8
        .value_kind:     hidden_global_offset_x
      - .offset:         3200
        .size:           8
        .value_kind:     hidden_global_offset_y
      - .offset:         3208
        .size:           8
        .value_kind:     hidden_global_offset_z
      - .offset:         3216
        .size:           2
        .value_kind:     hidden_grid_dims
    .group_segment_fixed_size: 0
    .kernarg_segment_align: 8
    .kernarg_segment_size: 3408
    .language:       OpenCL C
    .language_version:
      - 2
      - 0
    .max_flat_workgroup_size: 512
    .name:           _ZN2at6native12_GLOBAL__N_125multi_tensor_apply_kernelINS1_18TensorListMetadataILi2EEENS1_21BinaryOpScalarFunctorIiLi2ELi1ELi1EEEJNS1_21reverse_power_functorIiEEiEEEvT_T0_DpT1_
    .private_segment_fixed_size: 0
    .sgpr_count:     38
    .sgpr_spill_count: 0
    .symbol:         _ZN2at6native12_GLOBAL__N_125multi_tensor_apply_kernelINS1_18TensorListMetadataILi2EEENS1_21BinaryOpScalarFunctorIiLi2ELi1ELi1EEEJNS1_21reverse_power_functorIiEEiEEEvT_T0_DpT1_.kd
    .uniform_work_group_size: 1
    .uses_dynamic_stack: false
    .vgpr_count:     20
    .vgpr_spill_count: 0
    .wavefront_size: 64
  - .agpr_count:     0
    .args:
      - .offset:         0
        .size:           3144
        .value_kind:     by_value
      - .offset:         3144
        .size:           1
        .value_kind:     by_value
      - .offset:         3145
        .size:           1
        .value_kind:     by_value
      - .offset:         3152
        .size:           8
        .value_kind:     by_value
      - .offset:         3160
        .size:           4
        .value_kind:     hidden_block_count_x
      - .offset:         3164
        .size:           4
        .value_kind:     hidden_block_count_y
      - .offset:         3168
        .size:           4
        .value_kind:     hidden_block_count_z
      - .offset:         3172
        .size:           2
        .value_kind:     hidden_group_size_x
      - .offset:         3174
        .size:           2
        .value_kind:     hidden_group_size_y
      - .offset:         3176
        .size:           2
        .value_kind:     hidden_group_size_z
      - .offset:         3178
        .size:           2
        .value_kind:     hidden_remainder_x
      - .offset:         3180
        .size:           2
        .value_kind:     hidden_remainder_y
      - .offset:         3182
        .size:           2
        .value_kind:     hidden_remainder_z
      - .offset:         3200
        .size:           8
        .value_kind:     hidden_global_offset_x
      - .offset:         3208
        .size:           8
        .value_kind:     hidden_global_offset_y
      - .offset:         3216
        .size:           8
        .value_kind:     hidden_global_offset_z
      - .offset:         3224
        .size:           2
        .value_kind:     hidden_grid_dims
    .group_segment_fixed_size: 0
    .kernarg_segment_align: 8
    .kernarg_segment_size: 3416
    .language:       OpenCL C
    .language_version:
      - 2
      - 0
    .max_flat_workgroup_size: 512
    .name:           _ZN2at6native12_GLOBAL__N_125multi_tensor_apply_kernelINS1_18TensorListMetadataILi2EEENS1_21BinaryOpScalarFunctorIlLi2ELi1ELi1EEEJNS1_21reverse_power_functorIlEElEEEvT_T0_DpT1_
    .private_segment_fixed_size: 0
    .sgpr_count:     44
    .sgpr_spill_count: 0
    .symbol:         _ZN2at6native12_GLOBAL__N_125multi_tensor_apply_kernelINS1_18TensorListMetadataILi2EEENS1_21BinaryOpScalarFunctorIlLi2ELi1ELi1EEEJNS1_21reverse_power_functorIlEElEEEvT_T0_DpT1_.kd
    .uniform_work_group_size: 1
    .uses_dynamic_stack: false
    .vgpr_count:     28
    .vgpr_spill_count: 0
    .wavefront_size: 64
  - .agpr_count:     0
    .args:
      - .offset:         0
        .size:           3144
        .value_kind:     by_value
      - .offset:         3144
        .size:           1
        .value_kind:     by_value
      - .offset:         3145
        .size:           1
        .value_kind:     by_value
      - .offset:         3146
        .size:           2
        .value_kind:     by_value
      - .offset:         3152
        .size:           4
        .value_kind:     hidden_block_count_x
      - .offset:         3156
        .size:           4
        .value_kind:     hidden_block_count_y
      - .offset:         3160
        .size:           4
        .value_kind:     hidden_block_count_z
      - .offset:         3164
        .size:           2
        .value_kind:     hidden_group_size_x
      - .offset:         3166
        .size:           2
        .value_kind:     hidden_group_size_y
      - .offset:         3168
        .size:           2
        .value_kind:     hidden_group_size_z
      - .offset:         3170
        .size:           2
        .value_kind:     hidden_remainder_x
      - .offset:         3172
        .size:           2
        .value_kind:     hidden_remainder_y
      - .offset:         3174
        .size:           2
        .value_kind:     hidden_remainder_z
      - .offset:         3192
        .size:           8
        .value_kind:     hidden_global_offset_x
      - .offset:         3200
        .size:           8
        .value_kind:     hidden_global_offset_y
      - .offset:         3208
        .size:           8
        .value_kind:     hidden_global_offset_z
      - .offset:         3216
        .size:           2
        .value_kind:     hidden_grid_dims
    .group_segment_fixed_size: 0
    .kernarg_segment_align: 8
    .kernarg_segment_size: 3408
    .language:       OpenCL C
    .language_version:
      - 2
      - 0
    .max_flat_workgroup_size: 512
    .name:           _ZN2at6native12_GLOBAL__N_125multi_tensor_apply_kernelINS1_18TensorListMetadataILi2EEENS1_21BinaryOpScalarFunctorIsLi2ELi1ELi1EEEJNS1_21reverse_power_functorIsEEsEEEvT_T0_DpT1_
    .private_segment_fixed_size: 0
    .sgpr_count:     42
    .sgpr_spill_count: 0
    .symbol:         _ZN2at6native12_GLOBAL__N_125multi_tensor_apply_kernelINS1_18TensorListMetadataILi2EEENS1_21BinaryOpScalarFunctorIsLi2ELi1ELi1EEEJNS1_21reverse_power_functorIsEEsEEEvT_T0_DpT1_.kd
    .uniform_work_group_size: 1
    .uses_dynamic_stack: false
    .vgpr_count:     20
    .vgpr_spill_count: 0
    .wavefront_size: 64
  - .agpr_count:     0
    .args:
      - .offset:         0
        .size:           3144
        .value_kind:     by_value
      - .offset:         3144
        .size:           1
        .value_kind:     by_value
      - .offset:         3145
        .size:           1
        .value_kind:     by_value
      - .offset:         3152
        .size:           8
        .value_kind:     by_value
      - .offset:         3160
        .size:           4
        .value_kind:     hidden_block_count_x
      - .offset:         3164
        .size:           4
        .value_kind:     hidden_block_count_y
      - .offset:         3168
        .size:           4
        .value_kind:     hidden_block_count_z
      - .offset:         3172
        .size:           2
        .value_kind:     hidden_group_size_x
      - .offset:         3174
        .size:           2
        .value_kind:     hidden_group_size_y
      - .offset:         3176
        .size:           2
        .value_kind:     hidden_group_size_z
      - .offset:         3178
        .size:           2
        .value_kind:     hidden_remainder_x
      - .offset:         3180
        .size:           2
        .value_kind:     hidden_remainder_y
      - .offset:         3182
        .size:           2
        .value_kind:     hidden_remainder_z
      - .offset:         3200
        .size:           8
        .value_kind:     hidden_global_offset_x
      - .offset:         3208
        .size:           8
        .value_kind:     hidden_global_offset_y
      - .offset:         3216
        .size:           8
        .value_kind:     hidden_global_offset_z
      - .offset:         3224
        .size:           2
        .value_kind:     hidden_grid_dims
    .group_segment_fixed_size: 0
    .kernarg_segment_align: 8
    .kernarg_segment_size: 3416
    .language:       OpenCL C
    .language_version:
      - 2
      - 0
    .max_flat_workgroup_size: 512
    .name:           _ZN2at6native12_GLOBAL__N_125multi_tensor_apply_kernelINS1_18TensorListMetadataILi2EEENS1_21BinaryOpScalarFunctorIdLi2ELi1ELi1EEEJNS1_21reverse_power_functorIdEEdEEEvT_T0_DpT1_
    .private_segment_fixed_size: 0
    .sgpr_count:     100
    .sgpr_spill_count: 0
    .symbol:         _ZN2at6native12_GLOBAL__N_125multi_tensor_apply_kernelINS1_18TensorListMetadataILi2EEENS1_21BinaryOpScalarFunctorIdLi2ELi1ELi1EEEJNS1_21reverse_power_functorIdEEdEEEvT_T0_DpT1_.kd
    .uniform_work_group_size: 1
    .uses_dynamic_stack: false
    .vgpr_count:     96
    .vgpr_spill_count: 0
    .wavefront_size: 64
  - .agpr_count:     0
    .args:
      - .offset:         0
        .size:           3144
        .value_kind:     by_value
      - .offset:         3144
        .size:           1
        .value_kind:     by_value
      - .offset:         3145
        .size:           1
        .value_kind:     by_value
      - .offset:         3148
        .size:           4
        .value_kind:     by_value
      - .offset:         3152
        .size:           4
        .value_kind:     hidden_block_count_x
      - .offset:         3156
        .size:           4
        .value_kind:     hidden_block_count_y
      - .offset:         3160
        .size:           4
        .value_kind:     hidden_block_count_z
      - .offset:         3164
        .size:           2
        .value_kind:     hidden_group_size_x
      - .offset:         3166
        .size:           2
        .value_kind:     hidden_group_size_y
      - .offset:         3168
        .size:           2
        .value_kind:     hidden_group_size_z
      - .offset:         3170
        .size:           2
        .value_kind:     hidden_remainder_x
      - .offset:         3172
        .size:           2
        .value_kind:     hidden_remainder_y
      - .offset:         3174
        .size:           2
        .value_kind:     hidden_remainder_z
      - .offset:         3192
        .size:           8
        .value_kind:     hidden_global_offset_x
      - .offset:         3200
        .size:           8
        .value_kind:     hidden_global_offset_y
      - .offset:         3208
        .size:           8
        .value_kind:     hidden_global_offset_z
      - .offset:         3216
        .size:           2
        .value_kind:     hidden_grid_dims
    .group_segment_fixed_size: 0
    .kernarg_segment_align: 8
    .kernarg_segment_size: 3408
    .language:       OpenCL C
    .language_version:
      - 2
      - 0
    .max_flat_workgroup_size: 512
    .name:           _ZN2at6native12_GLOBAL__N_125multi_tensor_apply_kernelINS1_18TensorListMetadataILi2EEENS1_21BinaryOpScalarFunctorIfLi2ELi1ELi1EEEJNS1_21reverse_power_functorIfEEfEEEvT_T0_DpT1_
    .private_segment_fixed_size: 0
    .sgpr_count:     86
    .sgpr_spill_count: 0
    .symbol:         _ZN2at6native12_GLOBAL__N_125multi_tensor_apply_kernelINS1_18TensorListMetadataILi2EEENS1_21BinaryOpScalarFunctorIfLi2ELi1ELi1EEEJNS1_21reverse_power_functorIfEEfEEEvT_T0_DpT1_.kd
    .uniform_work_group_size: 1
    .uses_dynamic_stack: false
    .vgpr_count:     74
    .vgpr_spill_count: 0
    .wavefront_size: 64
  - .agpr_count:     0
    .args:
      - .offset:         0
        .size:           3144
        .value_kind:     by_value
      - .offset:         3144
        .size:           1
        .value_kind:     by_value
      - .offset:         3145
        .size:           1
        .value_kind:     by_value
      - .offset:         3152
        .size:           16
        .value_kind:     by_value
      - .offset:         3168
        .size:           4
        .value_kind:     hidden_block_count_x
      - .offset:         3172
        .size:           4
        .value_kind:     hidden_block_count_y
      - .offset:         3176
        .size:           4
        .value_kind:     hidden_block_count_z
      - .offset:         3180
        .size:           2
        .value_kind:     hidden_group_size_x
      - .offset:         3182
        .size:           2
        .value_kind:     hidden_group_size_y
      - .offset:         3184
        .size:           2
        .value_kind:     hidden_group_size_z
      - .offset:         3186
        .size:           2
        .value_kind:     hidden_remainder_x
      - .offset:         3188
        .size:           2
        .value_kind:     hidden_remainder_y
      - .offset:         3190
        .size:           2
        .value_kind:     hidden_remainder_z
      - .offset:         3208
        .size:           8
        .value_kind:     hidden_global_offset_x
      - .offset:         3216
        .size:           8
        .value_kind:     hidden_global_offset_y
      - .offset:         3224
        .size:           8
        .value_kind:     hidden_global_offset_z
      - .offset:         3232
        .size:           2
        .value_kind:     hidden_grid_dims
    .group_segment_fixed_size: 0
    .kernarg_segment_align: 16
    .kernarg_segment_size: 3424
    .language:       OpenCL C
    .language_version:
      - 2
      - 0
    .max_flat_workgroup_size: 512
    .name:           _ZN2at6native12_GLOBAL__N_125multi_tensor_apply_kernelINS1_18TensorListMetadataILi2EEENS1_21BinaryOpScalarFunctorIN3c107complexIdEELi2ELi1ELi1EEEJNS1_21reverse_power_functorIS8_EES8_EEEvT_T0_DpT1_
    .private_segment_fixed_size: 8
    .sgpr_count:     79
    .sgpr_spill_count: 0
    .symbol:         _ZN2at6native12_GLOBAL__N_125multi_tensor_apply_kernelINS1_18TensorListMetadataILi2EEENS1_21BinaryOpScalarFunctorIN3c107complexIdEELi2ELi1ELi1EEEJNS1_21reverse_power_functorIS8_EES8_EEEvT_T0_DpT1_.kd
    .uniform_work_group_size: 1
    .uses_dynamic_stack: false
    .vgpr_count:     70
    .vgpr_spill_count: 0
    .wavefront_size: 64
  - .agpr_count:     0
    .args:
      - .offset:         0
        .size:           3144
        .value_kind:     by_value
      - .offset:         3144
        .size:           1
        .value_kind:     by_value
      - .offset:         3145
        .size:           1
        .value_kind:     by_value
      - .offset:         3152
        .size:           8
        .value_kind:     by_value
      - .offset:         3160
        .size:           4
        .value_kind:     hidden_block_count_x
      - .offset:         3164
        .size:           4
        .value_kind:     hidden_block_count_y
      - .offset:         3168
        .size:           4
        .value_kind:     hidden_block_count_z
      - .offset:         3172
        .size:           2
        .value_kind:     hidden_group_size_x
      - .offset:         3174
        .size:           2
        .value_kind:     hidden_group_size_y
      - .offset:         3176
        .size:           2
        .value_kind:     hidden_group_size_z
      - .offset:         3178
        .size:           2
        .value_kind:     hidden_remainder_x
      - .offset:         3180
        .size:           2
        .value_kind:     hidden_remainder_y
      - .offset:         3182
        .size:           2
        .value_kind:     hidden_remainder_z
      - .offset:         3200
        .size:           8
        .value_kind:     hidden_global_offset_x
      - .offset:         3208
        .size:           8
        .value_kind:     hidden_global_offset_y
      - .offset:         3216
        .size:           8
        .value_kind:     hidden_global_offset_z
      - .offset:         3224
        .size:           2
        .value_kind:     hidden_grid_dims
    .group_segment_fixed_size: 4096
    .kernarg_segment_align: 8
    .kernarg_segment_size: 3416
    .language:       OpenCL C
    .language_version:
      - 2
      - 0
    .max_flat_workgroup_size: 512
    .name:           _ZN2at6native12_GLOBAL__N_125multi_tensor_apply_kernelINS1_18TensorListMetadataILi2EEENS1_21BinaryOpScalarFunctorIN3c107complexIfEELi2ELi1ELi1EEEJNS1_21reverse_power_functorIS8_EES8_EEEvT_T0_DpT1_
    .private_segment_fixed_size: 0
    .sgpr_count:     73
    .sgpr_spill_count: 0
    .symbol:         _ZN2at6native12_GLOBAL__N_125multi_tensor_apply_kernelINS1_18TensorListMetadataILi2EEENS1_21BinaryOpScalarFunctorIN3c107complexIfEELi2ELi1ELi1EEEJNS1_21reverse_power_functorIS8_EES8_EEEvT_T0_DpT1_.kd
    .uniform_work_group_size: 1
    .uses_dynamic_stack: false
    .vgpr_count:     52
    .vgpr_spill_count: 0
    .wavefront_size: 64
  - .agpr_count:     0
    .args:
      - .offset:         0
        .size:           3144
        .value_kind:     by_value
      - .offset:         3144
        .size:           1
        .value_kind:     by_value
      - .offset:         3145
        .size:           1
        .value_kind:     by_value
      - .offset:         3148
        .size:           4
        .value_kind:     by_value
      - .offset:         3152
        .size:           4
        .value_kind:     hidden_block_count_x
      - .offset:         3156
        .size:           4
        .value_kind:     hidden_block_count_y
      - .offset:         3160
        .size:           4
        .value_kind:     hidden_block_count_z
      - .offset:         3164
        .size:           2
        .value_kind:     hidden_group_size_x
      - .offset:         3166
        .size:           2
        .value_kind:     hidden_group_size_y
      - .offset:         3168
        .size:           2
        .value_kind:     hidden_group_size_z
      - .offset:         3170
        .size:           2
        .value_kind:     hidden_remainder_x
      - .offset:         3172
        .size:           2
        .value_kind:     hidden_remainder_y
      - .offset:         3174
        .size:           2
        .value_kind:     hidden_remainder_z
      - .offset:         3192
        .size:           8
        .value_kind:     hidden_global_offset_x
      - .offset:         3200
        .size:           8
        .value_kind:     hidden_global_offset_y
      - .offset:         3208
        .size:           8
        .value_kind:     hidden_global_offset_z
      - .offset:         3216
        .size:           2
        .value_kind:     hidden_grid_dims
    .group_segment_fixed_size: 0
    .kernarg_segment_align: 8
    .kernarg_segment_size: 3408
    .language:       OpenCL C
    .language_version:
      - 2
      - 0
    .max_flat_workgroup_size: 512
    .name:           _ZN2at6native12_GLOBAL__N_125multi_tensor_apply_kernelINS1_18TensorListMetadataILi2EEENS1_21BinaryOpScalarFunctorIN3c104HalfELi2ELi1ELi1EEEJNS1_21reverse_power_functorIfEEfEEEvT_T0_DpT1_
    .private_segment_fixed_size: 0
    .sgpr_count:     73
    .sgpr_spill_count: 0
    .symbol:         _ZN2at6native12_GLOBAL__N_125multi_tensor_apply_kernelINS1_18TensorListMetadataILi2EEENS1_21BinaryOpScalarFunctorIN3c104HalfELi2ELi1ELi1EEEJNS1_21reverse_power_functorIfEEfEEEvT_T0_DpT1_.kd
    .uniform_work_group_size: 1
    .uses_dynamic_stack: false
    .vgpr_count:     66
    .vgpr_spill_count: 0
    .wavefront_size: 64
  - .agpr_count:     0
    .args:
      - .offset:         0
        .size:           3144
        .value_kind:     by_value
      - .offset:         3144
        .size:           1
        .value_kind:     by_value
      - .offset:         3145
        .size:           1
        .value_kind:     by_value
      - .offset:         3148
        .size:           4
        .value_kind:     by_value
      - .offset:         3152
        .size:           4
        .value_kind:     hidden_block_count_x
      - .offset:         3156
        .size:           4
        .value_kind:     hidden_block_count_y
      - .offset:         3160
        .size:           4
        .value_kind:     hidden_block_count_z
      - .offset:         3164
        .size:           2
        .value_kind:     hidden_group_size_x
      - .offset:         3166
        .size:           2
        .value_kind:     hidden_group_size_y
      - .offset:         3168
        .size:           2
        .value_kind:     hidden_group_size_z
      - .offset:         3170
        .size:           2
        .value_kind:     hidden_remainder_x
      - .offset:         3172
        .size:           2
        .value_kind:     hidden_remainder_y
      - .offset:         3174
        .size:           2
        .value_kind:     hidden_remainder_z
      - .offset:         3192
        .size:           8
        .value_kind:     hidden_global_offset_x
      - .offset:         3200
        .size:           8
        .value_kind:     hidden_global_offset_y
      - .offset:         3208
        .size:           8
        .value_kind:     hidden_global_offset_z
      - .offset:         3216
        .size:           2
        .value_kind:     hidden_grid_dims
    .group_segment_fixed_size: 0
    .kernarg_segment_align: 8
    .kernarg_segment_size: 3408
    .language:       OpenCL C
    .language_version:
      - 2
      - 0
    .max_flat_workgroup_size: 512
    .name:           _ZN2at6native12_GLOBAL__N_125multi_tensor_apply_kernelINS1_18TensorListMetadataILi2EEENS1_21BinaryOpScalarFunctorIN3c108BFloat16ELi2ELi1ELi1EEEJNS1_21reverse_power_functorIfEEfEEEvT_T0_DpT1_
    .private_segment_fixed_size: 0
    .sgpr_count:     76
    .sgpr_spill_count: 0
    .symbol:         _ZN2at6native12_GLOBAL__N_125multi_tensor_apply_kernelINS1_18TensorListMetadataILi2EEENS1_21BinaryOpScalarFunctorIN3c108BFloat16ELi2ELi1ELi1EEEJNS1_21reverse_power_functorIfEEfEEEvT_T0_DpT1_.kd
    .uniform_work_group_size: 1
    .uses_dynamic_stack: false
    .vgpr_count:     64
    .vgpr_spill_count: 0
    .wavefront_size: 64
  - .agpr_count:     0
    .args:
      - .offset:         0
        .size:           3368
        .value_kind:     by_value
      - .offset:         3368
        .size:           1
        .value_kind:     by_value
      - .offset:         3369
        .size:           1
        .value_kind:     by_value
      - .offset:         3370
        .size:           1
        .value_kind:     by_value
      - .offset:         3376
        .size:           4
        .value_kind:     hidden_block_count_x
      - .offset:         3380
        .size:           4
        .value_kind:     hidden_block_count_y
      - .offset:         3384
        .size:           4
        .value_kind:     hidden_block_count_z
      - .offset:         3388
        .size:           2
        .value_kind:     hidden_group_size_x
      - .offset:         3390
        .size:           2
        .value_kind:     hidden_group_size_y
      - .offset:         3392
        .size:           2
        .value_kind:     hidden_group_size_z
      - .offset:         3394
        .size:           2
        .value_kind:     hidden_remainder_x
      - .offset:         3396
        .size:           2
        .value_kind:     hidden_remainder_y
      - .offset:         3398
        .size:           2
        .value_kind:     hidden_remainder_z
      - .offset:         3416
        .size:           8
        .value_kind:     hidden_global_offset_x
      - .offset:         3424
        .size:           8
        .value_kind:     hidden_global_offset_y
      - .offset:         3432
        .size:           8
        .value_kind:     hidden_global_offset_z
      - .offset:         3440
        .size:           2
        .value_kind:     hidden_grid_dims
    .group_segment_fixed_size: 0
    .kernarg_segment_align: 8
    .kernarg_segment_size: 3632
    .language:       OpenCL C
    .language_version:
      - 2
      - 0
    .max_flat_workgroup_size: 512
    .name:           _ZN2at6native12_GLOBAL__N_125multi_tensor_apply_kernelINS1_18TensorListMetadataILi1EEENS1_21BinaryOpScalarFunctorIhLi1ELi1ELi0EEEJSt5minusIhEhEEEvT_T0_DpT1_
    .private_segment_fixed_size: 0
    .sgpr_count:     27
    .sgpr_spill_count: 0
    .symbol:         _ZN2at6native12_GLOBAL__N_125multi_tensor_apply_kernelINS1_18TensorListMetadataILi1EEENS1_21BinaryOpScalarFunctorIhLi1ELi1ELi0EEEJSt5minusIhEhEEEvT_T0_DpT1_.kd
    .uniform_work_group_size: 1
    .uses_dynamic_stack: false
    .vgpr_count:     26
    .vgpr_spill_count: 0
    .wavefront_size: 64
  - .agpr_count:     0
    .args:
      - .offset:         0
        .size:           3368
        .value_kind:     by_value
      - .offset:         3368
        .size:           1
        .value_kind:     by_value
      - .offset:         3369
        .size:           1
        .value_kind:     by_value
      - .offset:         3370
        .size:           1
        .value_kind:     by_value
      - .offset:         3376
        .size:           4
        .value_kind:     hidden_block_count_x
      - .offset:         3380
        .size:           4
        .value_kind:     hidden_block_count_y
      - .offset:         3384
        .size:           4
        .value_kind:     hidden_block_count_z
      - .offset:         3388
        .size:           2
        .value_kind:     hidden_group_size_x
      - .offset:         3390
        .size:           2
        .value_kind:     hidden_group_size_y
      - .offset:         3392
        .size:           2
        .value_kind:     hidden_group_size_z
      - .offset:         3394
        .size:           2
        .value_kind:     hidden_remainder_x
      - .offset:         3396
        .size:           2
        .value_kind:     hidden_remainder_y
      - .offset:         3398
        .size:           2
        .value_kind:     hidden_remainder_z
      - .offset:         3416
        .size:           8
        .value_kind:     hidden_global_offset_x
      - .offset:         3424
        .size:           8
        .value_kind:     hidden_global_offset_y
      - .offset:         3432
        .size:           8
        .value_kind:     hidden_global_offset_z
      - .offset:         3440
        .size:           2
        .value_kind:     hidden_grid_dims
    .group_segment_fixed_size: 0
    .kernarg_segment_align: 8
    .kernarg_segment_size: 3632
    .language:       OpenCL C
    .language_version:
      - 2
      - 0
    .max_flat_workgroup_size: 512
    .name:           _ZN2at6native12_GLOBAL__N_125multi_tensor_apply_kernelINS1_18TensorListMetadataILi1EEENS1_21BinaryOpScalarFunctorIaLi1ELi1ELi0EEEJSt5minusIaEaEEEvT_T0_DpT1_
    .private_segment_fixed_size: 0
    .sgpr_count:     27
    .sgpr_spill_count: 0
    .symbol:         _ZN2at6native12_GLOBAL__N_125multi_tensor_apply_kernelINS1_18TensorListMetadataILi1EEENS1_21BinaryOpScalarFunctorIaLi1ELi1ELi0EEEJSt5minusIaEaEEEvT_T0_DpT1_.kd
    .uniform_work_group_size: 1
    .uses_dynamic_stack: false
    .vgpr_count:     26
    .vgpr_spill_count: 0
    .wavefront_size: 64
  - .agpr_count:     0
    .args:
      - .offset:         0
        .size:           3368
        .value_kind:     by_value
      - .offset:         3368
        .size:           1
        .value_kind:     by_value
      - .offset:         3369
        .size:           1
        .value_kind:     by_value
      - .offset:         3372
        .size:           4
        .value_kind:     by_value
      - .offset:         3376
        .size:           4
        .value_kind:     hidden_block_count_x
      - .offset:         3380
        .size:           4
        .value_kind:     hidden_block_count_y
      - .offset:         3384
        .size:           4
        .value_kind:     hidden_block_count_z
      - .offset:         3388
        .size:           2
        .value_kind:     hidden_group_size_x
      - .offset:         3390
        .size:           2
        .value_kind:     hidden_group_size_y
      - .offset:         3392
        .size:           2
        .value_kind:     hidden_group_size_z
      - .offset:         3394
        .size:           2
        .value_kind:     hidden_remainder_x
      - .offset:         3396
        .size:           2
        .value_kind:     hidden_remainder_y
      - .offset:         3398
        .size:           2
        .value_kind:     hidden_remainder_z
      - .offset:         3416
        .size:           8
        .value_kind:     hidden_global_offset_x
      - .offset:         3424
        .size:           8
        .value_kind:     hidden_global_offset_y
      - .offset:         3432
        .size:           8
        .value_kind:     hidden_global_offset_z
      - .offset:         3440
        .size:           2
        .value_kind:     hidden_grid_dims
    .group_segment_fixed_size: 0
    .kernarg_segment_align: 8
    .kernarg_segment_size: 3632
    .language:       OpenCL C
    .language_version:
      - 2
      - 0
    .max_flat_workgroup_size: 512
    .name:           _ZN2at6native12_GLOBAL__N_125multi_tensor_apply_kernelINS1_18TensorListMetadataILi1EEENS1_21BinaryOpScalarFunctorIiLi1ELi1ELi0EEEJSt5minusIiEiEEEvT_T0_DpT1_
    .private_segment_fixed_size: 0
    .sgpr_count:     33
    .sgpr_spill_count: 0
    .symbol:         _ZN2at6native12_GLOBAL__N_125multi_tensor_apply_kernelINS1_18TensorListMetadataILi1EEENS1_21BinaryOpScalarFunctorIiLi1ELi1ELi0EEEJSt5minusIiEiEEEvT_T0_DpT1_.kd
    .uniform_work_group_size: 1
    .uses_dynamic_stack: false
    .vgpr_count:     22
    .vgpr_spill_count: 0
    .wavefront_size: 64
  - .agpr_count:     0
    .args:
      - .offset:         0
        .size:           3368
        .value_kind:     by_value
      - .offset:         3368
        .size:           1
        .value_kind:     by_value
      - .offset:         3369
        .size:           1
        .value_kind:     by_value
      - .offset:         3376
        .size:           8
        .value_kind:     by_value
      - .offset:         3384
        .size:           4
        .value_kind:     hidden_block_count_x
      - .offset:         3388
        .size:           4
        .value_kind:     hidden_block_count_y
      - .offset:         3392
        .size:           4
        .value_kind:     hidden_block_count_z
      - .offset:         3396
        .size:           2
        .value_kind:     hidden_group_size_x
      - .offset:         3398
        .size:           2
        .value_kind:     hidden_group_size_y
      - .offset:         3400
        .size:           2
        .value_kind:     hidden_group_size_z
      - .offset:         3402
        .size:           2
        .value_kind:     hidden_remainder_x
      - .offset:         3404
        .size:           2
        .value_kind:     hidden_remainder_y
      - .offset:         3406
        .size:           2
        .value_kind:     hidden_remainder_z
      - .offset:         3424
        .size:           8
        .value_kind:     hidden_global_offset_x
      - .offset:         3432
        .size:           8
        .value_kind:     hidden_global_offset_y
      - .offset:         3440
        .size:           8
        .value_kind:     hidden_global_offset_z
      - .offset:         3448
        .size:           2
        .value_kind:     hidden_grid_dims
    .group_segment_fixed_size: 0
    .kernarg_segment_align: 8
    .kernarg_segment_size: 3640
    .language:       OpenCL C
    .language_version:
      - 2
      - 0
    .max_flat_workgroup_size: 512
    .name:           _ZN2at6native12_GLOBAL__N_125multi_tensor_apply_kernelINS1_18TensorListMetadataILi1EEENS1_21BinaryOpScalarFunctorIlLi1ELi1ELi0EEEJSt5minusIlElEEEvT_T0_DpT1_
    .private_segment_fixed_size: 0
    .sgpr_count:     34
    .sgpr_spill_count: 0
    .symbol:         _ZN2at6native12_GLOBAL__N_125multi_tensor_apply_kernelINS1_18TensorListMetadataILi1EEENS1_21BinaryOpScalarFunctorIlLi1ELi1ELi0EEEJSt5minusIlElEEEvT_T0_DpT1_.kd
    .uniform_work_group_size: 1
    .uses_dynamic_stack: false
    .vgpr_count:     24
    .vgpr_spill_count: 0
    .wavefront_size: 64
  - .agpr_count:     0
    .args:
      - .offset:         0
        .size:           3368
        .value_kind:     by_value
      - .offset:         3368
        .size:           1
        .value_kind:     by_value
      - .offset:         3369
        .size:           1
        .value_kind:     by_value
      - .offset:         3370
        .size:           2
        .value_kind:     by_value
      - .offset:         3376
        .size:           4
        .value_kind:     hidden_block_count_x
      - .offset:         3380
        .size:           4
        .value_kind:     hidden_block_count_y
      - .offset:         3384
        .size:           4
        .value_kind:     hidden_block_count_z
      - .offset:         3388
        .size:           2
        .value_kind:     hidden_group_size_x
      - .offset:         3390
        .size:           2
        .value_kind:     hidden_group_size_y
      - .offset:         3392
        .size:           2
        .value_kind:     hidden_group_size_z
      - .offset:         3394
        .size:           2
        .value_kind:     hidden_remainder_x
      - .offset:         3396
        .size:           2
        .value_kind:     hidden_remainder_y
      - .offset:         3398
        .size:           2
        .value_kind:     hidden_remainder_z
      - .offset:         3416
        .size:           8
        .value_kind:     hidden_global_offset_x
      - .offset:         3424
        .size:           8
        .value_kind:     hidden_global_offset_y
      - .offset:         3432
        .size:           8
        .value_kind:     hidden_global_offset_z
      - .offset:         3440
        .size:           2
        .value_kind:     hidden_grid_dims
    .group_segment_fixed_size: 0
    .kernarg_segment_align: 8
    .kernarg_segment_size: 3632
    .language:       OpenCL C
    .language_version:
      - 2
      - 0
    .max_flat_workgroup_size: 512
    .name:           _ZN2at6native12_GLOBAL__N_125multi_tensor_apply_kernelINS1_18TensorListMetadataILi1EEENS1_21BinaryOpScalarFunctorIsLi1ELi1ELi0EEEJSt5minusIsEsEEEvT_T0_DpT1_
    .private_segment_fixed_size: 0
    .sgpr_count:     32
    .sgpr_spill_count: 0
    .symbol:         _ZN2at6native12_GLOBAL__N_125multi_tensor_apply_kernelINS1_18TensorListMetadataILi1EEENS1_21BinaryOpScalarFunctorIsLi1ELi1ELi0EEEJSt5minusIsEsEEEvT_T0_DpT1_.kd
    .uniform_work_group_size: 1
    .uses_dynamic_stack: false
    .vgpr_count:     22
    .vgpr_spill_count: 0
    .wavefront_size: 64
  - .agpr_count:     0
    .args:
      - .offset:         0
        .size:           3368
        .value_kind:     by_value
      - .offset:         3368
        .size:           1
        .value_kind:     by_value
      - .offset:         3369
        .size:           1
        .value_kind:     by_value
      - .offset:         3376
        .size:           8
        .value_kind:     by_value
      - .offset:         3384
        .size:           4
        .value_kind:     hidden_block_count_x
      - .offset:         3388
        .size:           4
        .value_kind:     hidden_block_count_y
      - .offset:         3392
        .size:           4
        .value_kind:     hidden_block_count_z
      - .offset:         3396
        .size:           2
        .value_kind:     hidden_group_size_x
      - .offset:         3398
        .size:           2
        .value_kind:     hidden_group_size_y
      - .offset:         3400
        .size:           2
        .value_kind:     hidden_group_size_z
      - .offset:         3402
        .size:           2
        .value_kind:     hidden_remainder_x
      - .offset:         3404
        .size:           2
        .value_kind:     hidden_remainder_y
      - .offset:         3406
        .size:           2
        .value_kind:     hidden_remainder_z
      - .offset:         3424
        .size:           8
        .value_kind:     hidden_global_offset_x
      - .offset:         3432
        .size:           8
        .value_kind:     hidden_global_offset_y
      - .offset:         3440
        .size:           8
        .value_kind:     hidden_global_offset_z
      - .offset:         3448
        .size:           2
        .value_kind:     hidden_grid_dims
    .group_segment_fixed_size: 0
    .kernarg_segment_align: 8
    .kernarg_segment_size: 3640
    .language:       OpenCL C
    .language_version:
      - 2
      - 0
    .max_flat_workgroup_size: 512
    .name:           _ZN2at6native12_GLOBAL__N_125multi_tensor_apply_kernelINS1_18TensorListMetadataILi1EEENS1_21BinaryOpScalarFunctorIdLi1ELi1ELi0EEEJSt5minusIdEdEEEvT_T0_DpT1_
    .private_segment_fixed_size: 0
    .sgpr_count:     34
    .sgpr_spill_count: 0
    .symbol:         _ZN2at6native12_GLOBAL__N_125multi_tensor_apply_kernelINS1_18TensorListMetadataILi1EEENS1_21BinaryOpScalarFunctorIdLi1ELi1ELi0EEEJSt5minusIdEdEEEvT_T0_DpT1_.kd
    .uniform_work_group_size: 1
    .uses_dynamic_stack: false
    .vgpr_count:     26
    .vgpr_spill_count: 0
    .wavefront_size: 64
  - .agpr_count:     0
    .args:
      - .offset:         0
        .size:           3368
        .value_kind:     by_value
      - .offset:         3368
        .size:           1
        .value_kind:     by_value
      - .offset:         3369
        .size:           1
        .value_kind:     by_value
      - .offset:         3372
        .size:           4
        .value_kind:     by_value
      - .offset:         3376
        .size:           4
        .value_kind:     hidden_block_count_x
      - .offset:         3380
        .size:           4
        .value_kind:     hidden_block_count_y
      - .offset:         3384
        .size:           4
        .value_kind:     hidden_block_count_z
      - .offset:         3388
        .size:           2
        .value_kind:     hidden_group_size_x
      - .offset:         3390
        .size:           2
        .value_kind:     hidden_group_size_y
      - .offset:         3392
        .size:           2
        .value_kind:     hidden_group_size_z
      - .offset:         3394
        .size:           2
        .value_kind:     hidden_remainder_x
      - .offset:         3396
        .size:           2
        .value_kind:     hidden_remainder_y
      - .offset:         3398
        .size:           2
        .value_kind:     hidden_remainder_z
      - .offset:         3416
        .size:           8
        .value_kind:     hidden_global_offset_x
      - .offset:         3424
        .size:           8
        .value_kind:     hidden_global_offset_y
      - .offset:         3432
        .size:           8
        .value_kind:     hidden_global_offset_z
      - .offset:         3440
        .size:           2
        .value_kind:     hidden_grid_dims
    .group_segment_fixed_size: 0
    .kernarg_segment_align: 8
    .kernarg_segment_size: 3632
    .language:       OpenCL C
    .language_version:
      - 2
      - 0
    .max_flat_workgroup_size: 512
    .name:           _ZN2at6native12_GLOBAL__N_125multi_tensor_apply_kernelINS1_18TensorListMetadataILi1EEENS1_21BinaryOpScalarFunctorIfLi1ELi1ELi0EEEJSt5minusIfEfEEEvT_T0_DpT1_
    .private_segment_fixed_size: 0
    .sgpr_count:     33
    .sgpr_spill_count: 0
    .symbol:         _ZN2at6native12_GLOBAL__N_125multi_tensor_apply_kernelINS1_18TensorListMetadataILi1EEENS1_21BinaryOpScalarFunctorIfLi1ELi1ELi0EEEJSt5minusIfEfEEEvT_T0_DpT1_.kd
    .uniform_work_group_size: 1
    .uses_dynamic_stack: false
    .vgpr_count:     22
    .vgpr_spill_count: 0
    .wavefront_size: 64
  - .agpr_count:     0
    .args:
      - .offset:         0
        .size:           3368
        .value_kind:     by_value
      - .offset:         3368
        .size:           1
        .value_kind:     by_value
      - .offset:         3369
        .size:           1
        .value_kind:     by_value
      - .offset:         3376
        .size:           16
        .value_kind:     by_value
      - .offset:         3392
        .size:           4
        .value_kind:     hidden_block_count_x
      - .offset:         3396
        .size:           4
        .value_kind:     hidden_block_count_y
      - .offset:         3400
        .size:           4
        .value_kind:     hidden_block_count_z
      - .offset:         3404
        .size:           2
        .value_kind:     hidden_group_size_x
      - .offset:         3406
        .size:           2
        .value_kind:     hidden_group_size_y
      - .offset:         3408
        .size:           2
        .value_kind:     hidden_group_size_z
      - .offset:         3410
        .size:           2
        .value_kind:     hidden_remainder_x
      - .offset:         3412
        .size:           2
        .value_kind:     hidden_remainder_y
      - .offset:         3414
        .size:           2
        .value_kind:     hidden_remainder_z
      - .offset:         3432
        .size:           8
        .value_kind:     hidden_global_offset_x
      - .offset:         3440
        .size:           8
        .value_kind:     hidden_global_offset_y
      - .offset:         3448
        .size:           8
        .value_kind:     hidden_global_offset_z
      - .offset:         3456
        .size:           2
        .value_kind:     hidden_grid_dims
    .group_segment_fixed_size: 0
    .kernarg_segment_align: 16
    .kernarg_segment_size: 3648
    .language:       OpenCL C
    .language_version:
      - 2
      - 0
    .max_flat_workgroup_size: 512
    .name:           _ZN2at6native12_GLOBAL__N_125multi_tensor_apply_kernelINS1_18TensorListMetadataILi1EEENS1_21BinaryOpScalarFunctorIN3c107complexIdEELi1ELi1ELi0EEEJSt5minusIS8_ES8_EEEvT_T0_DpT1_
    .private_segment_fixed_size: 0
    .sgpr_count:     34
    .sgpr_spill_count: 0
    .symbol:         _ZN2at6native12_GLOBAL__N_125multi_tensor_apply_kernelINS1_18TensorListMetadataILi1EEENS1_21BinaryOpScalarFunctorIN3c107complexIdEELi1ELi1ELi0EEEJSt5minusIS8_ES8_EEEvT_T0_DpT1_.kd
    .uniform_work_group_size: 1
    .uses_dynamic_stack: false
    .vgpr_count:     32
    .vgpr_spill_count: 0
    .wavefront_size: 64
  - .agpr_count:     0
    .args:
      - .offset:         0
        .size:           3368
        .value_kind:     by_value
      - .offset:         3368
        .size:           1
        .value_kind:     by_value
      - .offset:         3369
        .size:           1
        .value_kind:     by_value
      - .offset:         3376
        .size:           8
        .value_kind:     by_value
      - .offset:         3384
        .size:           4
        .value_kind:     hidden_block_count_x
      - .offset:         3388
        .size:           4
        .value_kind:     hidden_block_count_y
      - .offset:         3392
        .size:           4
        .value_kind:     hidden_block_count_z
      - .offset:         3396
        .size:           2
        .value_kind:     hidden_group_size_x
      - .offset:         3398
        .size:           2
        .value_kind:     hidden_group_size_y
      - .offset:         3400
        .size:           2
        .value_kind:     hidden_group_size_z
      - .offset:         3402
        .size:           2
        .value_kind:     hidden_remainder_x
      - .offset:         3404
        .size:           2
        .value_kind:     hidden_remainder_y
      - .offset:         3406
        .size:           2
        .value_kind:     hidden_remainder_z
      - .offset:         3424
        .size:           8
        .value_kind:     hidden_global_offset_x
      - .offset:         3432
        .size:           8
        .value_kind:     hidden_global_offset_y
      - .offset:         3440
        .size:           8
        .value_kind:     hidden_global_offset_z
      - .offset:         3448
        .size:           2
        .value_kind:     hidden_grid_dims
    .group_segment_fixed_size: 4096
    .kernarg_segment_align: 8
    .kernarg_segment_size: 3640
    .language:       OpenCL C
    .language_version:
      - 2
      - 0
    .max_flat_workgroup_size: 512
    .name:           _ZN2at6native12_GLOBAL__N_125multi_tensor_apply_kernelINS1_18TensorListMetadataILi1EEENS1_21BinaryOpScalarFunctorIN3c107complexIfEELi1ELi1ELi0EEEJSt5minusIS8_ES8_EEEvT_T0_DpT1_
    .private_segment_fixed_size: 0
    .sgpr_count:     30
    .sgpr_spill_count: 0
    .symbol:         _ZN2at6native12_GLOBAL__N_125multi_tensor_apply_kernelINS1_18TensorListMetadataILi1EEENS1_21BinaryOpScalarFunctorIN3c107complexIfEELi1ELi1ELi0EEEJSt5minusIS8_ES8_EEEvT_T0_DpT1_.kd
    .uniform_work_group_size: 1
    .uses_dynamic_stack: false
    .vgpr_count:     32
    .vgpr_spill_count: 0
    .wavefront_size: 64
  - .agpr_count:     0
    .args:
      - .offset:         0
        .size:           3368
        .value_kind:     by_value
      - .offset:         3368
        .size:           1
        .value_kind:     by_value
      - .offset:         3369
        .size:           1
        .value_kind:     by_value
      - .offset:         3370
        .size:           1
        .value_kind:     by_value
      - .offset:         3376
        .size:           4
        .value_kind:     hidden_block_count_x
      - .offset:         3380
        .size:           4
        .value_kind:     hidden_block_count_y
      - .offset:         3384
        .size:           4
        .value_kind:     hidden_block_count_z
      - .offset:         3388
        .size:           2
        .value_kind:     hidden_group_size_x
      - .offset:         3390
        .size:           2
        .value_kind:     hidden_group_size_y
      - .offset:         3392
        .size:           2
        .value_kind:     hidden_group_size_z
      - .offset:         3394
        .size:           2
        .value_kind:     hidden_remainder_x
      - .offset:         3396
        .size:           2
        .value_kind:     hidden_remainder_y
      - .offset:         3398
        .size:           2
        .value_kind:     hidden_remainder_z
      - .offset:         3416
        .size:           8
        .value_kind:     hidden_global_offset_x
      - .offset:         3424
        .size:           8
        .value_kind:     hidden_global_offset_y
      - .offset:         3432
        .size:           8
        .value_kind:     hidden_global_offset_z
      - .offset:         3440
        .size:           2
        .value_kind:     hidden_grid_dims
    .group_segment_fixed_size: 0
    .kernarg_segment_align: 8
    .kernarg_segment_size: 3632
    .language:       OpenCL C
    .language_version:
      - 2
      - 0
    .max_flat_workgroup_size: 512
    .name:           _ZN2at6native12_GLOBAL__N_125multi_tensor_apply_kernelINS1_18TensorListMetadataILi1EEENS1_21BinaryOpScalarFunctorIbLi1ELi1ELi0EEEJSt5minusIbEbEEEvT_T0_DpT1_
    .private_segment_fixed_size: 0
    .sgpr_count:     25
    .sgpr_spill_count: 0
    .symbol:         _ZN2at6native12_GLOBAL__N_125multi_tensor_apply_kernelINS1_18TensorListMetadataILi1EEENS1_21BinaryOpScalarFunctorIbLi1ELi1ELi0EEEJSt5minusIbEbEEEvT_T0_DpT1_.kd
    .uniform_work_group_size: 1
    .uses_dynamic_stack: false
    .vgpr_count:     26
    .vgpr_spill_count: 0
    .wavefront_size: 64
  - .agpr_count:     0
    .args:
      - .offset:         0
        .size:           3368
        .value_kind:     by_value
      - .offset:         3368
        .size:           1
        .value_kind:     by_value
      - .offset:         3369
        .size:           1
        .value_kind:     by_value
      - .offset:         3372
        .size:           4
        .value_kind:     by_value
      - .offset:         3376
        .size:           4
        .value_kind:     hidden_block_count_x
      - .offset:         3380
        .size:           4
        .value_kind:     hidden_block_count_y
      - .offset:         3384
        .size:           4
        .value_kind:     hidden_block_count_z
      - .offset:         3388
        .size:           2
        .value_kind:     hidden_group_size_x
      - .offset:         3390
        .size:           2
        .value_kind:     hidden_group_size_y
      - .offset:         3392
        .size:           2
        .value_kind:     hidden_group_size_z
      - .offset:         3394
        .size:           2
        .value_kind:     hidden_remainder_x
      - .offset:         3396
        .size:           2
        .value_kind:     hidden_remainder_y
      - .offset:         3398
        .size:           2
        .value_kind:     hidden_remainder_z
      - .offset:         3416
        .size:           8
        .value_kind:     hidden_global_offset_x
      - .offset:         3424
        .size:           8
        .value_kind:     hidden_global_offset_y
      - .offset:         3432
        .size:           8
        .value_kind:     hidden_global_offset_z
      - .offset:         3440
        .size:           2
        .value_kind:     hidden_grid_dims
    .group_segment_fixed_size: 0
    .kernarg_segment_align: 8
    .kernarg_segment_size: 3632
    .language:       OpenCL C
    .language_version:
      - 2
      - 0
    .max_flat_workgroup_size: 512
    .name:           _ZN2at6native12_GLOBAL__N_125multi_tensor_apply_kernelINS1_18TensorListMetadataILi1EEENS1_21BinaryOpScalarFunctorIN3c104HalfELi1ELi1ELi0EEEJSt5minusIfEfEEEvT_T0_DpT1_
    .private_segment_fixed_size: 0
    .sgpr_count:     32
    .sgpr_spill_count: 0
    .symbol:         _ZN2at6native12_GLOBAL__N_125multi_tensor_apply_kernelINS1_18TensorListMetadataILi1EEENS1_21BinaryOpScalarFunctorIN3c104HalfELi1ELi1ELi0EEEJSt5minusIfEfEEEvT_T0_DpT1_.kd
    .uniform_work_group_size: 1
    .uses_dynamic_stack: false
    .vgpr_count:     22
    .vgpr_spill_count: 0
    .wavefront_size: 64
  - .agpr_count:     0
    .args:
      - .offset:         0
        .size:           3368
        .value_kind:     by_value
      - .offset:         3368
        .size:           1
        .value_kind:     by_value
      - .offset:         3369
        .size:           1
        .value_kind:     by_value
      - .offset:         3372
        .size:           4
        .value_kind:     by_value
      - .offset:         3376
        .size:           4
        .value_kind:     hidden_block_count_x
      - .offset:         3380
        .size:           4
        .value_kind:     hidden_block_count_y
      - .offset:         3384
        .size:           4
        .value_kind:     hidden_block_count_z
      - .offset:         3388
        .size:           2
        .value_kind:     hidden_group_size_x
      - .offset:         3390
        .size:           2
        .value_kind:     hidden_group_size_y
      - .offset:         3392
        .size:           2
        .value_kind:     hidden_group_size_z
      - .offset:         3394
        .size:           2
        .value_kind:     hidden_remainder_x
      - .offset:         3396
        .size:           2
        .value_kind:     hidden_remainder_y
      - .offset:         3398
        .size:           2
        .value_kind:     hidden_remainder_z
      - .offset:         3416
        .size:           8
        .value_kind:     hidden_global_offset_x
      - .offset:         3424
        .size:           8
        .value_kind:     hidden_global_offset_y
      - .offset:         3432
        .size:           8
        .value_kind:     hidden_global_offset_z
      - .offset:         3440
        .size:           2
        .value_kind:     hidden_grid_dims
    .group_segment_fixed_size: 0
    .kernarg_segment_align: 8
    .kernarg_segment_size: 3632
    .language:       OpenCL C
    .language_version:
      - 2
      - 0
    .max_flat_workgroup_size: 512
    .name:           _ZN2at6native12_GLOBAL__N_125multi_tensor_apply_kernelINS1_18TensorListMetadataILi1EEENS1_21BinaryOpScalarFunctorIN3c108BFloat16ELi1ELi1ELi0EEEJSt5minusIfEfEEEvT_T0_DpT1_
    .private_segment_fixed_size: 0
    .sgpr_count:     33
    .sgpr_spill_count: 0
    .symbol:         _ZN2at6native12_GLOBAL__N_125multi_tensor_apply_kernelINS1_18TensorListMetadataILi1EEENS1_21BinaryOpScalarFunctorIN3c108BFloat16ELi1ELi1ELi0EEEJSt5minusIfEfEEEvT_T0_DpT1_.kd
    .uniform_work_group_size: 1
    .uses_dynamic_stack: false
    .vgpr_count:     24
    .vgpr_spill_count: 0
    .wavefront_size: 64
  - .agpr_count:     0
    .args:
      - .offset:         0
        .size:           3144
        .value_kind:     by_value
      - .offset:         3144
        .size:           1
        .value_kind:     by_value
      - .offset:         3145
        .size:           1
        .value_kind:     by_value
      - .offset:         3146
        .size:           1
        .value_kind:     by_value
      - .offset:         3152
        .size:           4
        .value_kind:     hidden_block_count_x
      - .offset:         3156
        .size:           4
        .value_kind:     hidden_block_count_y
      - .offset:         3160
        .size:           4
        .value_kind:     hidden_block_count_z
      - .offset:         3164
        .size:           2
        .value_kind:     hidden_group_size_x
      - .offset:         3166
        .size:           2
        .value_kind:     hidden_group_size_y
      - .offset:         3168
        .size:           2
        .value_kind:     hidden_group_size_z
      - .offset:         3170
        .size:           2
        .value_kind:     hidden_remainder_x
      - .offset:         3172
        .size:           2
        .value_kind:     hidden_remainder_y
      - .offset:         3174
        .size:           2
        .value_kind:     hidden_remainder_z
      - .offset:         3192
        .size:           8
        .value_kind:     hidden_global_offset_x
      - .offset:         3200
        .size:           8
        .value_kind:     hidden_global_offset_y
      - .offset:         3208
        .size:           8
        .value_kind:     hidden_global_offset_z
      - .offset:         3216
        .size:           2
        .value_kind:     hidden_grid_dims
    .group_segment_fixed_size: 0
    .kernarg_segment_align: 8
    .kernarg_segment_size: 3408
    .language:       OpenCL C
    .language_version:
      - 2
      - 0
    .max_flat_workgroup_size: 512
    .name:           _ZN2at6native12_GLOBAL__N_125multi_tensor_apply_kernelINS1_18TensorListMetadataILi2EEENS1_21BinaryOpScalarFunctorIhLi2ELi1ELi1EEEJSt5minusIhEhEEEvT_T0_DpT1_
    .private_segment_fixed_size: 0
    .sgpr_count:     29
    .sgpr_spill_count: 0
    .symbol:         _ZN2at6native12_GLOBAL__N_125multi_tensor_apply_kernelINS1_18TensorListMetadataILi2EEENS1_21BinaryOpScalarFunctorIhLi2ELi1ELi1EEEJSt5minusIhEhEEEvT_T0_DpT1_.kd
    .uniform_work_group_size: 1
    .uses_dynamic_stack: false
    .vgpr_count:     32
    .vgpr_spill_count: 0
    .wavefront_size: 64
  - .agpr_count:     0
    .args:
      - .offset:         0
        .size:           3144
        .value_kind:     by_value
      - .offset:         3144
        .size:           1
        .value_kind:     by_value
      - .offset:         3145
        .size:           1
        .value_kind:     by_value
      - .offset:         3146
        .size:           1
        .value_kind:     by_value
      - .offset:         3152
        .size:           4
        .value_kind:     hidden_block_count_x
      - .offset:         3156
        .size:           4
        .value_kind:     hidden_block_count_y
      - .offset:         3160
        .size:           4
        .value_kind:     hidden_block_count_z
      - .offset:         3164
        .size:           2
        .value_kind:     hidden_group_size_x
      - .offset:         3166
        .size:           2
        .value_kind:     hidden_group_size_y
      - .offset:         3168
        .size:           2
        .value_kind:     hidden_group_size_z
      - .offset:         3170
        .size:           2
        .value_kind:     hidden_remainder_x
      - .offset:         3172
        .size:           2
        .value_kind:     hidden_remainder_y
      - .offset:         3174
        .size:           2
        .value_kind:     hidden_remainder_z
      - .offset:         3192
        .size:           8
        .value_kind:     hidden_global_offset_x
      - .offset:         3200
        .size:           8
        .value_kind:     hidden_global_offset_y
      - .offset:         3208
        .size:           8
        .value_kind:     hidden_global_offset_z
      - .offset:         3216
        .size:           2
        .value_kind:     hidden_grid_dims
    .group_segment_fixed_size: 0
    .kernarg_segment_align: 8
    .kernarg_segment_size: 3408
    .language:       OpenCL C
    .language_version:
      - 2
      - 0
    .max_flat_workgroup_size: 512
    .name:           _ZN2at6native12_GLOBAL__N_125multi_tensor_apply_kernelINS1_18TensorListMetadataILi2EEENS1_21BinaryOpScalarFunctorIaLi2ELi1ELi1EEEJSt5minusIaEaEEEvT_T0_DpT1_
    .private_segment_fixed_size: 0
    .sgpr_count:     29
    .sgpr_spill_count: 0
    .symbol:         _ZN2at6native12_GLOBAL__N_125multi_tensor_apply_kernelINS1_18TensorListMetadataILi2EEENS1_21BinaryOpScalarFunctorIaLi2ELi1ELi1EEEJSt5minusIaEaEEEvT_T0_DpT1_.kd
    .uniform_work_group_size: 1
    .uses_dynamic_stack: false
    .vgpr_count:     32
    .vgpr_spill_count: 0
    .wavefront_size: 64
  - .agpr_count:     0
    .args:
      - .offset:         0
        .size:           3144
        .value_kind:     by_value
      - .offset:         3144
        .size:           1
        .value_kind:     by_value
      - .offset:         3145
        .size:           1
        .value_kind:     by_value
      - .offset:         3148
        .size:           4
        .value_kind:     by_value
      - .offset:         3152
        .size:           4
        .value_kind:     hidden_block_count_x
      - .offset:         3156
        .size:           4
        .value_kind:     hidden_block_count_y
      - .offset:         3160
        .size:           4
        .value_kind:     hidden_block_count_z
      - .offset:         3164
        .size:           2
        .value_kind:     hidden_group_size_x
      - .offset:         3166
        .size:           2
        .value_kind:     hidden_group_size_y
      - .offset:         3168
        .size:           2
        .value_kind:     hidden_group_size_z
      - .offset:         3170
        .size:           2
        .value_kind:     hidden_remainder_x
      - .offset:         3172
        .size:           2
        .value_kind:     hidden_remainder_y
      - .offset:         3174
        .size:           2
        .value_kind:     hidden_remainder_z
      - .offset:         3192
        .size:           8
        .value_kind:     hidden_global_offset_x
      - .offset:         3200
        .size:           8
        .value_kind:     hidden_global_offset_y
      - .offset:         3208
        .size:           8
        .value_kind:     hidden_global_offset_z
      - .offset:         3216
        .size:           2
        .value_kind:     hidden_grid_dims
    .group_segment_fixed_size: 0
    .kernarg_segment_align: 8
    .kernarg_segment_size: 3408
    .language:       OpenCL C
    .language_version:
      - 2
      - 0
    .max_flat_workgroup_size: 512
    .name:           _ZN2at6native12_GLOBAL__N_125multi_tensor_apply_kernelINS1_18TensorListMetadataILi2EEENS1_21BinaryOpScalarFunctorIiLi2ELi1ELi1EEEJSt5minusIiEiEEEvT_T0_DpT1_
    .private_segment_fixed_size: 0
    .sgpr_count:     32
    .sgpr_spill_count: 0
    .symbol:         _ZN2at6native12_GLOBAL__N_125multi_tensor_apply_kernelINS1_18TensorListMetadataILi2EEENS1_21BinaryOpScalarFunctorIiLi2ELi1ELi1EEEJSt5minusIiEiEEEvT_T0_DpT1_.kd
    .uniform_work_group_size: 1
    .uses_dynamic_stack: false
    .vgpr_count:     30
    .vgpr_spill_count: 0
    .wavefront_size: 64
  - .agpr_count:     0
    .args:
      - .offset:         0
        .size:           3144
        .value_kind:     by_value
      - .offset:         3144
        .size:           1
        .value_kind:     by_value
      - .offset:         3145
        .size:           1
        .value_kind:     by_value
      - .offset:         3152
        .size:           8
        .value_kind:     by_value
      - .offset:         3160
        .size:           4
        .value_kind:     hidden_block_count_x
      - .offset:         3164
        .size:           4
        .value_kind:     hidden_block_count_y
      - .offset:         3168
        .size:           4
        .value_kind:     hidden_block_count_z
      - .offset:         3172
        .size:           2
        .value_kind:     hidden_group_size_x
      - .offset:         3174
        .size:           2
        .value_kind:     hidden_group_size_y
      - .offset:         3176
        .size:           2
        .value_kind:     hidden_group_size_z
      - .offset:         3178
        .size:           2
        .value_kind:     hidden_remainder_x
      - .offset:         3180
        .size:           2
        .value_kind:     hidden_remainder_y
      - .offset:         3182
        .size:           2
        .value_kind:     hidden_remainder_z
      - .offset:         3200
        .size:           8
        .value_kind:     hidden_global_offset_x
      - .offset:         3208
        .size:           8
        .value_kind:     hidden_global_offset_y
      - .offset:         3216
        .size:           8
        .value_kind:     hidden_global_offset_z
      - .offset:         3224
        .size:           2
        .value_kind:     hidden_grid_dims
    .group_segment_fixed_size: 0
    .kernarg_segment_align: 8
    .kernarg_segment_size: 3416
    .language:       OpenCL C
    .language_version:
      - 2
      - 0
    .max_flat_workgroup_size: 512
    .name:           _ZN2at6native12_GLOBAL__N_125multi_tensor_apply_kernelINS1_18TensorListMetadataILi2EEENS1_21BinaryOpScalarFunctorIlLi2ELi1ELi1EEEJSt5minusIlElEEEvT_T0_DpT1_
    .private_segment_fixed_size: 0
    .sgpr_count:     33
    .sgpr_spill_count: 0
    .symbol:         _ZN2at6native12_GLOBAL__N_125multi_tensor_apply_kernelINS1_18TensorListMetadataILi2EEENS1_21BinaryOpScalarFunctorIlLi2ELi1ELi1EEEJSt5minusIlElEEEvT_T0_DpT1_.kd
    .uniform_work_group_size: 1
    .uses_dynamic_stack: false
    .vgpr_count:     34
    .vgpr_spill_count: 0
    .wavefront_size: 64
  - .agpr_count:     0
    .args:
      - .offset:         0
        .size:           3144
        .value_kind:     by_value
      - .offset:         3144
        .size:           1
        .value_kind:     by_value
      - .offset:         3145
        .size:           1
        .value_kind:     by_value
      - .offset:         3146
        .size:           2
        .value_kind:     by_value
      - .offset:         3152
        .size:           4
        .value_kind:     hidden_block_count_x
      - .offset:         3156
        .size:           4
        .value_kind:     hidden_block_count_y
      - .offset:         3160
        .size:           4
        .value_kind:     hidden_block_count_z
      - .offset:         3164
        .size:           2
        .value_kind:     hidden_group_size_x
      - .offset:         3166
        .size:           2
        .value_kind:     hidden_group_size_y
      - .offset:         3168
        .size:           2
        .value_kind:     hidden_group_size_z
      - .offset:         3170
        .size:           2
        .value_kind:     hidden_remainder_x
      - .offset:         3172
        .size:           2
        .value_kind:     hidden_remainder_y
      - .offset:         3174
        .size:           2
        .value_kind:     hidden_remainder_z
      - .offset:         3192
        .size:           8
        .value_kind:     hidden_global_offset_x
      - .offset:         3200
        .size:           8
        .value_kind:     hidden_global_offset_y
      - .offset:         3208
        .size:           8
        .value_kind:     hidden_global_offset_z
      - .offset:         3216
        .size:           2
        .value_kind:     hidden_grid_dims
    .group_segment_fixed_size: 0
    .kernarg_segment_align: 8
    .kernarg_segment_size: 3408
    .language:       OpenCL C
    .language_version:
      - 2
      - 0
    .max_flat_workgroup_size: 512
    .name:           _ZN2at6native12_GLOBAL__N_125multi_tensor_apply_kernelINS1_18TensorListMetadataILi2EEENS1_21BinaryOpScalarFunctorIsLi2ELi1ELi1EEEJSt5minusIsEsEEEvT_T0_DpT1_
    .private_segment_fixed_size: 0
    .sgpr_count:     32
    .sgpr_spill_count: 0
    .symbol:         _ZN2at6native12_GLOBAL__N_125multi_tensor_apply_kernelINS1_18TensorListMetadataILi2EEENS1_21BinaryOpScalarFunctorIsLi2ELi1ELi1EEEJSt5minusIsEsEEEvT_T0_DpT1_.kd
    .uniform_work_group_size: 1
    .uses_dynamic_stack: false
    .vgpr_count:     30
    .vgpr_spill_count: 0
    .wavefront_size: 64
  - .agpr_count:     0
    .args:
      - .offset:         0
        .size:           3144
        .value_kind:     by_value
      - .offset:         3144
        .size:           1
        .value_kind:     by_value
      - .offset:         3145
        .size:           1
        .value_kind:     by_value
      - .offset:         3152
        .size:           8
        .value_kind:     by_value
      - .offset:         3160
        .size:           4
        .value_kind:     hidden_block_count_x
      - .offset:         3164
        .size:           4
        .value_kind:     hidden_block_count_y
      - .offset:         3168
        .size:           4
        .value_kind:     hidden_block_count_z
      - .offset:         3172
        .size:           2
        .value_kind:     hidden_group_size_x
      - .offset:         3174
        .size:           2
        .value_kind:     hidden_group_size_y
      - .offset:         3176
        .size:           2
        .value_kind:     hidden_group_size_z
      - .offset:         3178
        .size:           2
        .value_kind:     hidden_remainder_x
      - .offset:         3180
        .size:           2
        .value_kind:     hidden_remainder_y
      - .offset:         3182
        .size:           2
        .value_kind:     hidden_remainder_z
      - .offset:         3200
        .size:           8
        .value_kind:     hidden_global_offset_x
      - .offset:         3208
        .size:           8
        .value_kind:     hidden_global_offset_y
      - .offset:         3216
        .size:           8
        .value_kind:     hidden_global_offset_z
      - .offset:         3224
        .size:           2
        .value_kind:     hidden_grid_dims
    .group_segment_fixed_size: 0
    .kernarg_segment_align: 8
    .kernarg_segment_size: 3416
    .language:       OpenCL C
    .language_version:
      - 2
      - 0
    .max_flat_workgroup_size: 512
    .name:           _ZN2at6native12_GLOBAL__N_125multi_tensor_apply_kernelINS1_18TensorListMetadataILi2EEENS1_21BinaryOpScalarFunctorIdLi2ELi1ELi1EEEJSt5minusIdEdEEEvT_T0_DpT1_
    .private_segment_fixed_size: 0
    .sgpr_count:     33
    .sgpr_spill_count: 0
    .symbol:         _ZN2at6native12_GLOBAL__N_125multi_tensor_apply_kernelINS1_18TensorListMetadataILi2EEENS1_21BinaryOpScalarFunctorIdLi2ELi1ELi1EEEJSt5minusIdEdEEEvT_T0_DpT1_.kd
    .uniform_work_group_size: 1
    .uses_dynamic_stack: false
    .vgpr_count:     34
    .vgpr_spill_count: 0
    .wavefront_size: 64
  - .agpr_count:     0
    .args:
      - .offset:         0
        .size:           3144
        .value_kind:     by_value
      - .offset:         3144
        .size:           1
        .value_kind:     by_value
      - .offset:         3145
        .size:           1
        .value_kind:     by_value
      - .offset:         3148
        .size:           4
        .value_kind:     by_value
      - .offset:         3152
        .size:           4
        .value_kind:     hidden_block_count_x
      - .offset:         3156
        .size:           4
        .value_kind:     hidden_block_count_y
      - .offset:         3160
        .size:           4
        .value_kind:     hidden_block_count_z
      - .offset:         3164
        .size:           2
        .value_kind:     hidden_group_size_x
      - .offset:         3166
        .size:           2
        .value_kind:     hidden_group_size_y
      - .offset:         3168
        .size:           2
        .value_kind:     hidden_group_size_z
      - .offset:         3170
        .size:           2
        .value_kind:     hidden_remainder_x
      - .offset:         3172
        .size:           2
        .value_kind:     hidden_remainder_y
      - .offset:         3174
        .size:           2
        .value_kind:     hidden_remainder_z
      - .offset:         3192
        .size:           8
        .value_kind:     hidden_global_offset_x
      - .offset:         3200
        .size:           8
        .value_kind:     hidden_global_offset_y
      - .offset:         3208
        .size:           8
        .value_kind:     hidden_global_offset_z
      - .offset:         3216
        .size:           2
        .value_kind:     hidden_grid_dims
    .group_segment_fixed_size: 0
    .kernarg_segment_align: 8
    .kernarg_segment_size: 3408
    .language:       OpenCL C
    .language_version:
      - 2
      - 0
    .max_flat_workgroup_size: 512
    .name:           _ZN2at6native12_GLOBAL__N_125multi_tensor_apply_kernelINS1_18TensorListMetadataILi2EEENS1_21BinaryOpScalarFunctorIfLi2ELi1ELi1EEEJSt5minusIfEfEEEvT_T0_DpT1_
    .private_segment_fixed_size: 0
    .sgpr_count:     32
    .sgpr_spill_count: 0
    .symbol:         _ZN2at6native12_GLOBAL__N_125multi_tensor_apply_kernelINS1_18TensorListMetadataILi2EEENS1_21BinaryOpScalarFunctorIfLi2ELi1ELi1EEEJSt5minusIfEfEEEvT_T0_DpT1_.kd
    .uniform_work_group_size: 1
    .uses_dynamic_stack: false
    .vgpr_count:     30
    .vgpr_spill_count: 0
    .wavefront_size: 64
  - .agpr_count:     0
    .args:
      - .offset:         0
        .size:           3144
        .value_kind:     by_value
      - .offset:         3144
        .size:           1
        .value_kind:     by_value
      - .offset:         3145
        .size:           1
        .value_kind:     by_value
      - .offset:         3152
        .size:           16
        .value_kind:     by_value
      - .offset:         3168
        .size:           4
        .value_kind:     hidden_block_count_x
      - .offset:         3172
        .size:           4
        .value_kind:     hidden_block_count_y
      - .offset:         3176
        .size:           4
        .value_kind:     hidden_block_count_z
      - .offset:         3180
        .size:           2
        .value_kind:     hidden_group_size_x
      - .offset:         3182
        .size:           2
        .value_kind:     hidden_group_size_y
      - .offset:         3184
        .size:           2
        .value_kind:     hidden_group_size_z
      - .offset:         3186
        .size:           2
        .value_kind:     hidden_remainder_x
      - .offset:         3188
        .size:           2
        .value_kind:     hidden_remainder_y
      - .offset:         3190
        .size:           2
        .value_kind:     hidden_remainder_z
      - .offset:         3208
        .size:           8
        .value_kind:     hidden_global_offset_x
      - .offset:         3216
        .size:           8
        .value_kind:     hidden_global_offset_y
      - .offset:         3224
        .size:           8
        .value_kind:     hidden_global_offset_z
      - .offset:         3232
        .size:           2
        .value_kind:     hidden_grid_dims
    .group_segment_fixed_size: 0
    .kernarg_segment_align: 16
    .kernarg_segment_size: 3424
    .language:       OpenCL C
    .language_version:
      - 2
      - 0
    .max_flat_workgroup_size: 512
    .name:           _ZN2at6native12_GLOBAL__N_125multi_tensor_apply_kernelINS1_18TensorListMetadataILi2EEENS1_21BinaryOpScalarFunctorIN3c107complexIdEELi2ELi1ELi1EEEJSt5minusIS8_ES8_EEEvT_T0_DpT1_
    .private_segment_fixed_size: 0
    .sgpr_count:     43
    .sgpr_spill_count: 0
    .symbol:         _ZN2at6native12_GLOBAL__N_125multi_tensor_apply_kernelINS1_18TensorListMetadataILi2EEENS1_21BinaryOpScalarFunctorIN3c107complexIdEELi2ELi1ELi1EEEJSt5minusIS8_ES8_EEEvT_T0_DpT1_.kd
    .uniform_work_group_size: 1
    .uses_dynamic_stack: false
    .vgpr_count:     38
    .vgpr_spill_count: 0
    .wavefront_size: 64
  - .agpr_count:     0
    .args:
      - .offset:         0
        .size:           3144
        .value_kind:     by_value
      - .offset:         3144
        .size:           1
        .value_kind:     by_value
      - .offset:         3145
        .size:           1
        .value_kind:     by_value
      - .offset:         3152
        .size:           8
        .value_kind:     by_value
      - .offset:         3160
        .size:           4
        .value_kind:     hidden_block_count_x
      - .offset:         3164
        .size:           4
        .value_kind:     hidden_block_count_y
      - .offset:         3168
        .size:           4
        .value_kind:     hidden_block_count_z
      - .offset:         3172
        .size:           2
        .value_kind:     hidden_group_size_x
      - .offset:         3174
        .size:           2
        .value_kind:     hidden_group_size_y
      - .offset:         3176
        .size:           2
        .value_kind:     hidden_group_size_z
      - .offset:         3178
        .size:           2
        .value_kind:     hidden_remainder_x
      - .offset:         3180
        .size:           2
        .value_kind:     hidden_remainder_y
      - .offset:         3182
        .size:           2
        .value_kind:     hidden_remainder_z
      - .offset:         3200
        .size:           8
        .value_kind:     hidden_global_offset_x
      - .offset:         3208
        .size:           8
        .value_kind:     hidden_global_offset_y
      - .offset:         3216
        .size:           8
        .value_kind:     hidden_global_offset_z
      - .offset:         3224
        .size:           2
        .value_kind:     hidden_grid_dims
    .group_segment_fixed_size: 4096
    .kernarg_segment_align: 8
    .kernarg_segment_size: 3416
    .language:       OpenCL C
    .language_version:
      - 2
      - 0
    .max_flat_workgroup_size: 512
    .name:           _ZN2at6native12_GLOBAL__N_125multi_tensor_apply_kernelINS1_18TensorListMetadataILi2EEENS1_21BinaryOpScalarFunctorIN3c107complexIfEELi2ELi1ELi1EEEJSt5minusIS8_ES8_EEEvT_T0_DpT1_
    .private_segment_fixed_size: 0
    .sgpr_count:     31
    .sgpr_spill_count: 0
    .symbol:         _ZN2at6native12_GLOBAL__N_125multi_tensor_apply_kernelINS1_18TensorListMetadataILi2EEENS1_21BinaryOpScalarFunctorIN3c107complexIfEELi2ELi1ELi1EEEJSt5minusIS8_ES8_EEEvT_T0_DpT1_.kd
    .uniform_work_group_size: 1
    .uses_dynamic_stack: false
    .vgpr_count:     38
    .vgpr_spill_count: 0
    .wavefront_size: 64
  - .agpr_count:     0
    .args:
      - .offset:         0
        .size:           3144
        .value_kind:     by_value
      - .offset:         3144
        .size:           1
        .value_kind:     by_value
      - .offset:         3145
        .size:           1
        .value_kind:     by_value
      - .offset:         3146
        .size:           1
        .value_kind:     by_value
      - .offset:         3152
        .size:           4
        .value_kind:     hidden_block_count_x
      - .offset:         3156
        .size:           4
        .value_kind:     hidden_block_count_y
      - .offset:         3160
        .size:           4
        .value_kind:     hidden_block_count_z
      - .offset:         3164
        .size:           2
        .value_kind:     hidden_group_size_x
      - .offset:         3166
        .size:           2
        .value_kind:     hidden_group_size_y
      - .offset:         3168
        .size:           2
        .value_kind:     hidden_group_size_z
      - .offset:         3170
        .size:           2
        .value_kind:     hidden_remainder_x
      - .offset:         3172
        .size:           2
        .value_kind:     hidden_remainder_y
      - .offset:         3174
        .size:           2
        .value_kind:     hidden_remainder_z
      - .offset:         3192
        .size:           8
        .value_kind:     hidden_global_offset_x
      - .offset:         3200
        .size:           8
        .value_kind:     hidden_global_offset_y
      - .offset:         3208
        .size:           8
        .value_kind:     hidden_global_offset_z
      - .offset:         3216
        .size:           2
        .value_kind:     hidden_grid_dims
    .group_segment_fixed_size: 0
    .kernarg_segment_align: 8
    .kernarg_segment_size: 3408
    .language:       OpenCL C
    .language_version:
      - 2
      - 0
    .max_flat_workgroup_size: 512
    .name:           _ZN2at6native12_GLOBAL__N_125multi_tensor_apply_kernelINS1_18TensorListMetadataILi2EEENS1_21BinaryOpScalarFunctorIbLi2ELi1ELi1EEEJSt5minusIbEbEEEvT_T0_DpT1_
    .private_segment_fixed_size: 0
    .sgpr_count:     27
    .sgpr_spill_count: 0
    .symbol:         _ZN2at6native12_GLOBAL__N_125multi_tensor_apply_kernelINS1_18TensorListMetadataILi2EEENS1_21BinaryOpScalarFunctorIbLi2ELi1ELi1EEEJSt5minusIbEbEEEvT_T0_DpT1_.kd
    .uniform_work_group_size: 1
    .uses_dynamic_stack: false
    .vgpr_count:     32
    .vgpr_spill_count: 0
    .wavefront_size: 64
  - .agpr_count:     0
    .args:
      - .offset:         0
        .size:           3144
        .value_kind:     by_value
      - .offset:         3144
        .size:           1
        .value_kind:     by_value
      - .offset:         3145
        .size:           1
        .value_kind:     by_value
      - .offset:         3148
        .size:           4
        .value_kind:     by_value
      - .offset:         3152
        .size:           4
        .value_kind:     hidden_block_count_x
      - .offset:         3156
        .size:           4
        .value_kind:     hidden_block_count_y
      - .offset:         3160
        .size:           4
        .value_kind:     hidden_block_count_z
      - .offset:         3164
        .size:           2
        .value_kind:     hidden_group_size_x
      - .offset:         3166
        .size:           2
        .value_kind:     hidden_group_size_y
      - .offset:         3168
        .size:           2
        .value_kind:     hidden_group_size_z
      - .offset:         3170
        .size:           2
        .value_kind:     hidden_remainder_x
      - .offset:         3172
        .size:           2
        .value_kind:     hidden_remainder_y
      - .offset:         3174
        .size:           2
        .value_kind:     hidden_remainder_z
      - .offset:         3192
        .size:           8
        .value_kind:     hidden_global_offset_x
      - .offset:         3200
        .size:           8
        .value_kind:     hidden_global_offset_y
      - .offset:         3208
        .size:           8
        .value_kind:     hidden_global_offset_z
      - .offset:         3216
        .size:           2
        .value_kind:     hidden_grid_dims
    .group_segment_fixed_size: 0
    .kernarg_segment_align: 8
    .kernarg_segment_size: 3408
    .language:       OpenCL C
    .language_version:
      - 2
      - 0
    .max_flat_workgroup_size: 512
    .name:           _ZN2at6native12_GLOBAL__N_125multi_tensor_apply_kernelINS1_18TensorListMetadataILi2EEENS1_21BinaryOpScalarFunctorIN3c104HalfELi2ELi1ELi1EEEJSt5minusIfEfEEEvT_T0_DpT1_
    .private_segment_fixed_size: 0
    .sgpr_count:     32
    .sgpr_spill_count: 0
    .symbol:         _ZN2at6native12_GLOBAL__N_125multi_tensor_apply_kernelINS1_18TensorListMetadataILi2EEENS1_21BinaryOpScalarFunctorIN3c104HalfELi2ELi1ELi1EEEJSt5minusIfEfEEEvT_T0_DpT1_.kd
    .uniform_work_group_size: 1
    .uses_dynamic_stack: false
    .vgpr_count:     30
    .vgpr_spill_count: 0
    .wavefront_size: 64
  - .agpr_count:     0
    .args:
      - .offset:         0
        .size:           3144
        .value_kind:     by_value
      - .offset:         3144
        .size:           1
        .value_kind:     by_value
      - .offset:         3145
        .size:           1
        .value_kind:     by_value
      - .offset:         3148
        .size:           4
        .value_kind:     by_value
      - .offset:         3152
        .size:           4
        .value_kind:     hidden_block_count_x
      - .offset:         3156
        .size:           4
        .value_kind:     hidden_block_count_y
      - .offset:         3160
        .size:           4
        .value_kind:     hidden_block_count_z
      - .offset:         3164
        .size:           2
        .value_kind:     hidden_group_size_x
      - .offset:         3166
        .size:           2
        .value_kind:     hidden_group_size_y
      - .offset:         3168
        .size:           2
        .value_kind:     hidden_group_size_z
      - .offset:         3170
        .size:           2
        .value_kind:     hidden_remainder_x
      - .offset:         3172
        .size:           2
        .value_kind:     hidden_remainder_y
      - .offset:         3174
        .size:           2
        .value_kind:     hidden_remainder_z
      - .offset:         3192
        .size:           8
        .value_kind:     hidden_global_offset_x
      - .offset:         3200
        .size:           8
        .value_kind:     hidden_global_offset_y
      - .offset:         3208
        .size:           8
        .value_kind:     hidden_global_offset_z
      - .offset:         3216
        .size:           2
        .value_kind:     hidden_grid_dims
    .group_segment_fixed_size: 0
    .kernarg_segment_align: 8
    .kernarg_segment_size: 3408
    .language:       OpenCL C
    .language_version:
      - 2
      - 0
    .max_flat_workgroup_size: 512
    .name:           _ZN2at6native12_GLOBAL__N_125multi_tensor_apply_kernelINS1_18TensorListMetadataILi2EEENS1_21BinaryOpScalarFunctorIN3c108BFloat16ELi2ELi1ELi1EEEJSt5minusIfEfEEEvT_T0_DpT1_
    .private_segment_fixed_size: 0
    .sgpr_count:     33
    .sgpr_spill_count: 0
    .symbol:         _ZN2at6native12_GLOBAL__N_125multi_tensor_apply_kernelINS1_18TensorListMetadataILi2EEENS1_21BinaryOpScalarFunctorIN3c108BFloat16ELi2ELi1ELi1EEEJSt5minusIfEfEEEvT_T0_DpT1_.kd
    .uniform_work_group_size: 1
    .uses_dynamic_stack: false
    .vgpr_count:     31
    .vgpr_spill_count: 0
    .wavefront_size: 64
  - .agpr_count:     0
    .args:
      - .offset:         0
        .size:           3368
        .value_kind:     by_value
      - .offset:         3368
        .size:           1
        .value_kind:     by_value
      - .offset:         3369
        .size:           1
        .value_kind:     by_value
      - .offset:         3370
        .size:           1
        .value_kind:     by_value
      - .offset:         3376
        .size:           4
        .value_kind:     hidden_block_count_x
      - .offset:         3380
        .size:           4
        .value_kind:     hidden_block_count_y
      - .offset:         3384
        .size:           4
        .value_kind:     hidden_block_count_z
      - .offset:         3388
        .size:           2
        .value_kind:     hidden_group_size_x
      - .offset:         3390
        .size:           2
        .value_kind:     hidden_group_size_y
      - .offset:         3392
        .size:           2
        .value_kind:     hidden_group_size_z
      - .offset:         3394
        .size:           2
        .value_kind:     hidden_remainder_x
      - .offset:         3396
        .size:           2
        .value_kind:     hidden_remainder_y
      - .offset:         3398
        .size:           2
        .value_kind:     hidden_remainder_z
      - .offset:         3416
        .size:           8
        .value_kind:     hidden_global_offset_x
      - .offset:         3424
        .size:           8
        .value_kind:     hidden_global_offset_y
      - .offset:         3432
        .size:           8
        .value_kind:     hidden_global_offset_z
      - .offset:         3440
        .size:           2
        .value_kind:     hidden_grid_dims
    .group_segment_fixed_size: 0
    .kernarg_segment_align: 8
    .kernarg_segment_size: 3632
    .language:       OpenCL C
    .language_version:
      - 2
      - 0
    .max_flat_workgroup_size: 512
    .name:           _ZN2at6native12_GLOBAL__N_125multi_tensor_apply_kernelINS1_18TensorListMetadataILi1EEENS1_21BinaryOpScalarFunctorIhLi1ELi1ELi0EEEJNS0_7minimumIhEEhEEEvT_T0_DpT1_
    .private_segment_fixed_size: 0
    .sgpr_count:     26
    .sgpr_spill_count: 0
    .symbol:         _ZN2at6native12_GLOBAL__N_125multi_tensor_apply_kernelINS1_18TensorListMetadataILi1EEENS1_21BinaryOpScalarFunctorIhLi1ELi1ELi0EEEJNS0_7minimumIhEEhEEEvT_T0_DpT1_.kd
    .uniform_work_group_size: 1
    .uses_dynamic_stack: false
    .vgpr_count:     26
    .vgpr_spill_count: 0
    .wavefront_size: 64
  - .agpr_count:     0
    .args:
      - .offset:         0
        .size:           3368
        .value_kind:     by_value
      - .offset:         3368
        .size:           1
        .value_kind:     by_value
      - .offset:         3369
        .size:           1
        .value_kind:     by_value
      - .offset:         3370
        .size:           1
        .value_kind:     by_value
      - .offset:         3376
        .size:           4
        .value_kind:     hidden_block_count_x
      - .offset:         3380
        .size:           4
        .value_kind:     hidden_block_count_y
      - .offset:         3384
        .size:           4
        .value_kind:     hidden_block_count_z
      - .offset:         3388
        .size:           2
        .value_kind:     hidden_group_size_x
      - .offset:         3390
        .size:           2
        .value_kind:     hidden_group_size_y
      - .offset:         3392
        .size:           2
        .value_kind:     hidden_group_size_z
      - .offset:         3394
        .size:           2
        .value_kind:     hidden_remainder_x
      - .offset:         3396
        .size:           2
        .value_kind:     hidden_remainder_y
      - .offset:         3398
        .size:           2
        .value_kind:     hidden_remainder_z
      - .offset:         3416
        .size:           8
        .value_kind:     hidden_global_offset_x
      - .offset:         3424
        .size:           8
        .value_kind:     hidden_global_offset_y
      - .offset:         3432
        .size:           8
        .value_kind:     hidden_global_offset_z
      - .offset:         3440
        .size:           2
        .value_kind:     hidden_grid_dims
    .group_segment_fixed_size: 0
    .kernarg_segment_align: 8
    .kernarg_segment_size: 3632
    .language:       OpenCL C
    .language_version:
      - 2
      - 0
    .max_flat_workgroup_size: 512
    .name:           _ZN2at6native12_GLOBAL__N_125multi_tensor_apply_kernelINS1_18TensorListMetadataILi1EEENS1_21BinaryOpScalarFunctorIaLi1ELi1ELi0EEEJNS0_7minimumIaEEaEEEvT_T0_DpT1_
    .private_segment_fixed_size: 0
    .sgpr_count:     27
    .sgpr_spill_count: 0
    .symbol:         _ZN2at6native12_GLOBAL__N_125multi_tensor_apply_kernelINS1_18TensorListMetadataILi1EEENS1_21BinaryOpScalarFunctorIaLi1ELi1ELi0EEEJNS0_7minimumIaEEaEEEvT_T0_DpT1_.kd
    .uniform_work_group_size: 1
    .uses_dynamic_stack: false
    .vgpr_count:     26
    .vgpr_spill_count: 0
    .wavefront_size: 64
  - .agpr_count:     0
    .args:
      - .offset:         0
        .size:           3368
        .value_kind:     by_value
      - .offset:         3368
        .size:           1
        .value_kind:     by_value
      - .offset:         3369
        .size:           1
        .value_kind:     by_value
      - .offset:         3372
        .size:           4
        .value_kind:     by_value
      - .offset:         3376
        .size:           4
        .value_kind:     hidden_block_count_x
      - .offset:         3380
        .size:           4
        .value_kind:     hidden_block_count_y
      - .offset:         3384
        .size:           4
        .value_kind:     hidden_block_count_z
      - .offset:         3388
        .size:           2
        .value_kind:     hidden_group_size_x
      - .offset:         3390
        .size:           2
        .value_kind:     hidden_group_size_y
      - .offset:         3392
        .size:           2
        .value_kind:     hidden_group_size_z
      - .offset:         3394
        .size:           2
        .value_kind:     hidden_remainder_x
      - .offset:         3396
        .size:           2
        .value_kind:     hidden_remainder_y
      - .offset:         3398
        .size:           2
        .value_kind:     hidden_remainder_z
      - .offset:         3416
        .size:           8
        .value_kind:     hidden_global_offset_x
      - .offset:         3424
        .size:           8
        .value_kind:     hidden_global_offset_y
      - .offset:         3432
        .size:           8
        .value_kind:     hidden_global_offset_z
      - .offset:         3440
        .size:           2
        .value_kind:     hidden_grid_dims
    .group_segment_fixed_size: 0
    .kernarg_segment_align: 8
    .kernarg_segment_size: 3632
    .language:       OpenCL C
    .language_version:
      - 2
      - 0
    .max_flat_workgroup_size: 512
    .name:           _ZN2at6native12_GLOBAL__N_125multi_tensor_apply_kernelINS1_18TensorListMetadataILi1EEENS1_21BinaryOpScalarFunctorIiLi1ELi1ELi0EEEJNS0_7minimumIiEEiEEEvT_T0_DpT1_
    .private_segment_fixed_size: 0
    .sgpr_count:     33
    .sgpr_spill_count: 0
    .symbol:         _ZN2at6native12_GLOBAL__N_125multi_tensor_apply_kernelINS1_18TensorListMetadataILi1EEENS1_21BinaryOpScalarFunctorIiLi1ELi1ELi0EEEJNS0_7minimumIiEEiEEEvT_T0_DpT1_.kd
    .uniform_work_group_size: 1
    .uses_dynamic_stack: false
    .vgpr_count:     22
    .vgpr_spill_count: 0
    .wavefront_size: 64
  - .agpr_count:     0
    .args:
      - .offset:         0
        .size:           3368
        .value_kind:     by_value
      - .offset:         3368
        .size:           1
        .value_kind:     by_value
      - .offset:         3369
        .size:           1
        .value_kind:     by_value
      - .offset:         3376
        .size:           8
        .value_kind:     by_value
      - .offset:         3384
        .size:           4
        .value_kind:     hidden_block_count_x
      - .offset:         3388
        .size:           4
        .value_kind:     hidden_block_count_y
      - .offset:         3392
        .size:           4
        .value_kind:     hidden_block_count_z
      - .offset:         3396
        .size:           2
        .value_kind:     hidden_group_size_x
      - .offset:         3398
        .size:           2
        .value_kind:     hidden_group_size_y
      - .offset:         3400
        .size:           2
        .value_kind:     hidden_group_size_z
      - .offset:         3402
        .size:           2
        .value_kind:     hidden_remainder_x
      - .offset:         3404
        .size:           2
        .value_kind:     hidden_remainder_y
      - .offset:         3406
        .size:           2
        .value_kind:     hidden_remainder_z
      - .offset:         3424
        .size:           8
        .value_kind:     hidden_global_offset_x
      - .offset:         3432
        .size:           8
        .value_kind:     hidden_global_offset_y
      - .offset:         3440
        .size:           8
        .value_kind:     hidden_global_offset_z
      - .offset:         3448
        .size:           2
        .value_kind:     hidden_grid_dims
    .group_segment_fixed_size: 0
    .kernarg_segment_align: 8
    .kernarg_segment_size: 3640
    .language:       OpenCL C
    .language_version:
      - 2
      - 0
    .max_flat_workgroup_size: 512
    .name:           _ZN2at6native12_GLOBAL__N_125multi_tensor_apply_kernelINS1_18TensorListMetadataILi1EEENS1_21BinaryOpScalarFunctorIlLi1ELi1ELi0EEEJNS0_7minimumIlEElEEEvT_T0_DpT1_
    .private_segment_fixed_size: 0
    .sgpr_count:     34
    .sgpr_spill_count: 0
    .symbol:         _ZN2at6native12_GLOBAL__N_125multi_tensor_apply_kernelINS1_18TensorListMetadataILi1EEENS1_21BinaryOpScalarFunctorIlLi1ELi1ELi0EEEJNS0_7minimumIlEElEEEvT_T0_DpT1_.kd
    .uniform_work_group_size: 1
    .uses_dynamic_stack: false
    .vgpr_count:     24
    .vgpr_spill_count: 0
    .wavefront_size: 64
  - .agpr_count:     0
    .args:
      - .offset:         0
        .size:           3368
        .value_kind:     by_value
      - .offset:         3368
        .size:           1
        .value_kind:     by_value
      - .offset:         3369
        .size:           1
        .value_kind:     by_value
      - .offset:         3370
        .size:           2
        .value_kind:     by_value
      - .offset:         3376
        .size:           4
        .value_kind:     hidden_block_count_x
      - .offset:         3380
        .size:           4
        .value_kind:     hidden_block_count_y
      - .offset:         3384
        .size:           4
        .value_kind:     hidden_block_count_z
      - .offset:         3388
        .size:           2
        .value_kind:     hidden_group_size_x
      - .offset:         3390
        .size:           2
        .value_kind:     hidden_group_size_y
      - .offset:         3392
        .size:           2
        .value_kind:     hidden_group_size_z
      - .offset:         3394
        .size:           2
        .value_kind:     hidden_remainder_x
      - .offset:         3396
        .size:           2
        .value_kind:     hidden_remainder_y
      - .offset:         3398
        .size:           2
        .value_kind:     hidden_remainder_z
      - .offset:         3416
        .size:           8
        .value_kind:     hidden_global_offset_x
      - .offset:         3424
        .size:           8
        .value_kind:     hidden_global_offset_y
      - .offset:         3432
        .size:           8
        .value_kind:     hidden_global_offset_z
      - .offset:         3440
        .size:           2
        .value_kind:     hidden_grid_dims
    .group_segment_fixed_size: 0
    .kernarg_segment_align: 8
    .kernarg_segment_size: 3632
    .language:       OpenCL C
    .language_version:
      - 2
      - 0
    .max_flat_workgroup_size: 512
    .name:           _ZN2at6native12_GLOBAL__N_125multi_tensor_apply_kernelINS1_18TensorListMetadataILi1EEENS1_21BinaryOpScalarFunctorIsLi1ELi1ELi0EEEJNS0_7minimumIsEEsEEEvT_T0_DpT1_
    .private_segment_fixed_size: 0
    .sgpr_count:     32
    .sgpr_spill_count: 0
    .symbol:         _ZN2at6native12_GLOBAL__N_125multi_tensor_apply_kernelINS1_18TensorListMetadataILi1EEENS1_21BinaryOpScalarFunctorIsLi1ELi1ELi0EEEJNS0_7minimumIsEEsEEEvT_T0_DpT1_.kd
    .uniform_work_group_size: 1
    .uses_dynamic_stack: false
    .vgpr_count:     22
    .vgpr_spill_count: 0
    .wavefront_size: 64
  - .agpr_count:     0
    .args:
      - .offset:         0
        .size:           3368
        .value_kind:     by_value
      - .offset:         3368
        .size:           1
        .value_kind:     by_value
      - .offset:         3369
        .size:           1
        .value_kind:     by_value
      - .offset:         3376
        .size:           8
        .value_kind:     by_value
      - .offset:         3384
        .size:           4
        .value_kind:     hidden_block_count_x
      - .offset:         3388
        .size:           4
        .value_kind:     hidden_block_count_y
      - .offset:         3392
        .size:           4
        .value_kind:     hidden_block_count_z
      - .offset:         3396
        .size:           2
        .value_kind:     hidden_group_size_x
      - .offset:         3398
        .size:           2
        .value_kind:     hidden_group_size_y
      - .offset:         3400
        .size:           2
        .value_kind:     hidden_group_size_z
      - .offset:         3402
        .size:           2
        .value_kind:     hidden_remainder_x
      - .offset:         3404
        .size:           2
        .value_kind:     hidden_remainder_y
      - .offset:         3406
        .size:           2
        .value_kind:     hidden_remainder_z
      - .offset:         3424
        .size:           8
        .value_kind:     hidden_global_offset_x
      - .offset:         3432
        .size:           8
        .value_kind:     hidden_global_offset_y
      - .offset:         3440
        .size:           8
        .value_kind:     hidden_global_offset_z
      - .offset:         3448
        .size:           2
        .value_kind:     hidden_grid_dims
    .group_segment_fixed_size: 0
    .kernarg_segment_align: 8
    .kernarg_segment_size: 3640
    .language:       OpenCL C
    .language_version:
      - 2
      - 0
    .max_flat_workgroup_size: 512
    .name:           _ZN2at6native12_GLOBAL__N_125multi_tensor_apply_kernelINS1_18TensorListMetadataILi1EEENS1_21BinaryOpScalarFunctorIdLi1ELi1ELi0EEEJNS0_7minimumIdEEdEEEvT_T0_DpT1_
    .private_segment_fixed_size: 0
    .sgpr_count:     34
    .sgpr_spill_count: 0
    .symbol:         _ZN2at6native12_GLOBAL__N_125multi_tensor_apply_kernelINS1_18TensorListMetadataILi1EEENS1_21BinaryOpScalarFunctorIdLi1ELi1ELi0EEEJNS0_7minimumIdEEdEEEvT_T0_DpT1_.kd
    .uniform_work_group_size: 1
    .uses_dynamic_stack: false
    .vgpr_count:     24
    .vgpr_spill_count: 0
    .wavefront_size: 64
  - .agpr_count:     0
    .args:
      - .offset:         0
        .size:           3368
        .value_kind:     by_value
      - .offset:         3368
        .size:           1
        .value_kind:     by_value
      - .offset:         3369
        .size:           1
        .value_kind:     by_value
      - .offset:         3372
        .size:           4
        .value_kind:     by_value
      - .offset:         3376
        .size:           4
        .value_kind:     hidden_block_count_x
      - .offset:         3380
        .size:           4
        .value_kind:     hidden_block_count_y
      - .offset:         3384
        .size:           4
        .value_kind:     hidden_block_count_z
      - .offset:         3388
        .size:           2
        .value_kind:     hidden_group_size_x
      - .offset:         3390
        .size:           2
        .value_kind:     hidden_group_size_y
      - .offset:         3392
        .size:           2
        .value_kind:     hidden_group_size_z
      - .offset:         3394
        .size:           2
        .value_kind:     hidden_remainder_x
      - .offset:         3396
        .size:           2
        .value_kind:     hidden_remainder_y
      - .offset:         3398
        .size:           2
        .value_kind:     hidden_remainder_z
      - .offset:         3416
        .size:           8
        .value_kind:     hidden_global_offset_x
      - .offset:         3424
        .size:           8
        .value_kind:     hidden_global_offset_y
      - .offset:         3432
        .size:           8
        .value_kind:     hidden_global_offset_z
      - .offset:         3440
        .size:           2
        .value_kind:     hidden_grid_dims
    .group_segment_fixed_size: 0
    .kernarg_segment_align: 8
    .kernarg_segment_size: 3632
    .language:       OpenCL C
    .language_version:
      - 2
      - 0
    .max_flat_workgroup_size: 512
    .name:           _ZN2at6native12_GLOBAL__N_125multi_tensor_apply_kernelINS1_18TensorListMetadataILi1EEENS1_21BinaryOpScalarFunctorIfLi1ELi1ELi0EEEJNS0_7minimumIfEEfEEEvT_T0_DpT1_
    .private_segment_fixed_size: 0
    .sgpr_count:     33
    .sgpr_spill_count: 0
    .symbol:         _ZN2at6native12_GLOBAL__N_125multi_tensor_apply_kernelINS1_18TensorListMetadataILi1EEENS1_21BinaryOpScalarFunctorIfLi1ELi1ELi0EEEJNS0_7minimumIfEEfEEEvT_T0_DpT1_.kd
    .uniform_work_group_size: 1
    .uses_dynamic_stack: false
    .vgpr_count:     22
    .vgpr_spill_count: 0
    .wavefront_size: 64
  - .agpr_count:     0
    .args:
      - .offset:         0
        .size:           3368
        .value_kind:     by_value
      - .offset:         3368
        .size:           1
        .value_kind:     by_value
      - .offset:         3369
        .size:           1
        .value_kind:     by_value
      - .offset:         3372
        .size:           4
        .value_kind:     by_value
      - .offset:         3376
        .size:           4
        .value_kind:     hidden_block_count_x
      - .offset:         3380
        .size:           4
        .value_kind:     hidden_block_count_y
      - .offset:         3384
        .size:           4
        .value_kind:     hidden_block_count_z
      - .offset:         3388
        .size:           2
        .value_kind:     hidden_group_size_x
      - .offset:         3390
        .size:           2
        .value_kind:     hidden_group_size_y
      - .offset:         3392
        .size:           2
        .value_kind:     hidden_group_size_z
      - .offset:         3394
        .size:           2
        .value_kind:     hidden_remainder_x
      - .offset:         3396
        .size:           2
        .value_kind:     hidden_remainder_y
      - .offset:         3398
        .size:           2
        .value_kind:     hidden_remainder_z
      - .offset:         3416
        .size:           8
        .value_kind:     hidden_global_offset_x
      - .offset:         3424
        .size:           8
        .value_kind:     hidden_global_offset_y
      - .offset:         3432
        .size:           8
        .value_kind:     hidden_global_offset_z
      - .offset:         3440
        .size:           2
        .value_kind:     hidden_grid_dims
    .group_segment_fixed_size: 0
    .kernarg_segment_align: 8
    .kernarg_segment_size: 3632
    .language:       OpenCL C
    .language_version:
      - 2
      - 0
    .max_flat_workgroup_size: 512
    .name:           _ZN2at6native12_GLOBAL__N_125multi_tensor_apply_kernelINS1_18TensorListMetadataILi1EEENS1_21BinaryOpScalarFunctorIN3c104HalfELi1ELi1ELi0EEEJNS0_7minimumIfEEfEEEvT_T0_DpT1_
    .private_segment_fixed_size: 0
    .sgpr_count:     34
    .sgpr_spill_count: 0
    .symbol:         _ZN2at6native12_GLOBAL__N_125multi_tensor_apply_kernelINS1_18TensorListMetadataILi1EEENS1_21BinaryOpScalarFunctorIN3c104HalfELi1ELi1ELi0EEEJNS0_7minimumIfEEfEEEvT_T0_DpT1_.kd
    .uniform_work_group_size: 1
    .uses_dynamic_stack: false
    .vgpr_count:     24
    .vgpr_spill_count: 0
    .wavefront_size: 64
  - .agpr_count:     0
    .args:
      - .offset:         0
        .size:           3368
        .value_kind:     by_value
      - .offset:         3368
        .size:           1
        .value_kind:     by_value
      - .offset:         3369
        .size:           1
        .value_kind:     by_value
      - .offset:         3372
        .size:           4
        .value_kind:     by_value
      - .offset:         3376
        .size:           4
        .value_kind:     hidden_block_count_x
      - .offset:         3380
        .size:           4
        .value_kind:     hidden_block_count_y
      - .offset:         3384
        .size:           4
        .value_kind:     hidden_block_count_z
      - .offset:         3388
        .size:           2
        .value_kind:     hidden_group_size_x
      - .offset:         3390
        .size:           2
        .value_kind:     hidden_group_size_y
      - .offset:         3392
        .size:           2
        .value_kind:     hidden_group_size_z
      - .offset:         3394
        .size:           2
        .value_kind:     hidden_remainder_x
      - .offset:         3396
        .size:           2
        .value_kind:     hidden_remainder_y
      - .offset:         3398
        .size:           2
        .value_kind:     hidden_remainder_z
      - .offset:         3416
        .size:           8
        .value_kind:     hidden_global_offset_x
      - .offset:         3424
        .size:           8
        .value_kind:     hidden_global_offset_y
      - .offset:         3432
        .size:           8
        .value_kind:     hidden_global_offset_z
      - .offset:         3440
        .size:           2
        .value_kind:     hidden_grid_dims
    .group_segment_fixed_size: 0
    .kernarg_segment_align: 8
    .kernarg_segment_size: 3632
    .language:       OpenCL C
    .language_version:
      - 2
      - 0
    .max_flat_workgroup_size: 512
    .name:           _ZN2at6native12_GLOBAL__N_125multi_tensor_apply_kernelINS1_18TensorListMetadataILi1EEENS1_21BinaryOpScalarFunctorIN3c108BFloat16ELi1ELi1ELi0EEEJNS0_7minimumIfEEfEEEvT_T0_DpT1_
    .private_segment_fixed_size: 0
    .sgpr_count:     33
    .sgpr_spill_count: 0
    .symbol:         _ZN2at6native12_GLOBAL__N_125multi_tensor_apply_kernelINS1_18TensorListMetadataILi1EEENS1_21BinaryOpScalarFunctorIN3c108BFloat16ELi1ELi1ELi0EEEJNS0_7minimumIfEEfEEEvT_T0_DpT1_.kd
    .uniform_work_group_size: 1
    .uses_dynamic_stack: false
    .vgpr_count:     24
    .vgpr_spill_count: 0
    .wavefront_size: 64
  - .agpr_count:     0
    .args:
      - .offset:         0
        .size:           3144
        .value_kind:     by_value
      - .offset:         3144
        .size:           1
        .value_kind:     by_value
      - .offset:         3145
        .size:           1
        .value_kind:     by_value
      - .offset:         3146
        .size:           1
        .value_kind:     by_value
      - .offset:         3152
        .size:           4
        .value_kind:     hidden_block_count_x
      - .offset:         3156
        .size:           4
        .value_kind:     hidden_block_count_y
      - .offset:         3160
        .size:           4
        .value_kind:     hidden_block_count_z
      - .offset:         3164
        .size:           2
        .value_kind:     hidden_group_size_x
      - .offset:         3166
        .size:           2
        .value_kind:     hidden_group_size_y
      - .offset:         3168
        .size:           2
        .value_kind:     hidden_group_size_z
      - .offset:         3170
        .size:           2
        .value_kind:     hidden_remainder_x
      - .offset:         3172
        .size:           2
        .value_kind:     hidden_remainder_y
      - .offset:         3174
        .size:           2
        .value_kind:     hidden_remainder_z
      - .offset:         3192
        .size:           8
        .value_kind:     hidden_global_offset_x
      - .offset:         3200
        .size:           8
        .value_kind:     hidden_global_offset_y
      - .offset:         3208
        .size:           8
        .value_kind:     hidden_global_offset_z
      - .offset:         3216
        .size:           2
        .value_kind:     hidden_grid_dims
    .group_segment_fixed_size: 0
    .kernarg_segment_align: 8
    .kernarg_segment_size: 3408
    .language:       OpenCL C
    .language_version:
      - 2
      - 0
    .max_flat_workgroup_size: 512
    .name:           _ZN2at6native12_GLOBAL__N_125multi_tensor_apply_kernelINS1_18TensorListMetadataILi2EEENS1_21BinaryOpScalarFunctorIhLi2ELi1ELi1EEEJNS0_7minimumIhEEhEEEvT_T0_DpT1_
    .private_segment_fixed_size: 0
    .sgpr_count:     28
    .sgpr_spill_count: 0
    .symbol:         _ZN2at6native12_GLOBAL__N_125multi_tensor_apply_kernelINS1_18TensorListMetadataILi2EEENS1_21BinaryOpScalarFunctorIhLi2ELi1ELi1EEEJNS0_7minimumIhEEhEEEvT_T0_DpT1_.kd
    .uniform_work_group_size: 1
    .uses_dynamic_stack: false
    .vgpr_count:     32
    .vgpr_spill_count: 0
    .wavefront_size: 64
  - .agpr_count:     0
    .args:
      - .offset:         0
        .size:           3144
        .value_kind:     by_value
      - .offset:         3144
        .size:           1
        .value_kind:     by_value
      - .offset:         3145
        .size:           1
        .value_kind:     by_value
      - .offset:         3146
        .size:           1
        .value_kind:     by_value
      - .offset:         3152
        .size:           4
        .value_kind:     hidden_block_count_x
      - .offset:         3156
        .size:           4
        .value_kind:     hidden_block_count_y
      - .offset:         3160
        .size:           4
        .value_kind:     hidden_block_count_z
      - .offset:         3164
        .size:           2
        .value_kind:     hidden_group_size_x
      - .offset:         3166
        .size:           2
        .value_kind:     hidden_group_size_y
      - .offset:         3168
        .size:           2
        .value_kind:     hidden_group_size_z
      - .offset:         3170
        .size:           2
        .value_kind:     hidden_remainder_x
      - .offset:         3172
        .size:           2
        .value_kind:     hidden_remainder_y
      - .offset:         3174
        .size:           2
        .value_kind:     hidden_remainder_z
      - .offset:         3192
        .size:           8
        .value_kind:     hidden_global_offset_x
      - .offset:         3200
        .size:           8
        .value_kind:     hidden_global_offset_y
      - .offset:         3208
        .size:           8
        .value_kind:     hidden_global_offset_z
      - .offset:         3216
        .size:           2
        .value_kind:     hidden_grid_dims
    .group_segment_fixed_size: 0
    .kernarg_segment_align: 8
    .kernarg_segment_size: 3408
    .language:       OpenCL C
    .language_version:
      - 2
      - 0
    .max_flat_workgroup_size: 512
    .name:           _ZN2at6native12_GLOBAL__N_125multi_tensor_apply_kernelINS1_18TensorListMetadataILi2EEENS1_21BinaryOpScalarFunctorIaLi2ELi1ELi1EEEJNS0_7minimumIaEEaEEEvT_T0_DpT1_
    .private_segment_fixed_size: 0
    .sgpr_count:     28
    .sgpr_spill_count: 0
    .symbol:         _ZN2at6native12_GLOBAL__N_125multi_tensor_apply_kernelINS1_18TensorListMetadataILi2EEENS1_21BinaryOpScalarFunctorIaLi2ELi1ELi1EEEJNS0_7minimumIaEEaEEEvT_T0_DpT1_.kd
    .uniform_work_group_size: 1
    .uses_dynamic_stack: false
    .vgpr_count:     32
    .vgpr_spill_count: 0
    .wavefront_size: 64
  - .agpr_count:     0
    .args:
      - .offset:         0
        .size:           3144
        .value_kind:     by_value
      - .offset:         3144
        .size:           1
        .value_kind:     by_value
      - .offset:         3145
        .size:           1
        .value_kind:     by_value
      - .offset:         3148
        .size:           4
        .value_kind:     by_value
      - .offset:         3152
        .size:           4
        .value_kind:     hidden_block_count_x
      - .offset:         3156
        .size:           4
        .value_kind:     hidden_block_count_y
      - .offset:         3160
        .size:           4
        .value_kind:     hidden_block_count_z
      - .offset:         3164
        .size:           2
        .value_kind:     hidden_group_size_x
      - .offset:         3166
        .size:           2
        .value_kind:     hidden_group_size_y
      - .offset:         3168
        .size:           2
        .value_kind:     hidden_group_size_z
      - .offset:         3170
        .size:           2
        .value_kind:     hidden_remainder_x
      - .offset:         3172
        .size:           2
        .value_kind:     hidden_remainder_y
      - .offset:         3174
        .size:           2
        .value_kind:     hidden_remainder_z
      - .offset:         3192
        .size:           8
        .value_kind:     hidden_global_offset_x
      - .offset:         3200
        .size:           8
        .value_kind:     hidden_global_offset_y
      - .offset:         3208
        .size:           8
        .value_kind:     hidden_global_offset_z
      - .offset:         3216
        .size:           2
        .value_kind:     hidden_grid_dims
    .group_segment_fixed_size: 0
    .kernarg_segment_align: 8
    .kernarg_segment_size: 3408
    .language:       OpenCL C
    .language_version:
      - 2
      - 0
    .max_flat_workgroup_size: 512
    .name:           _ZN2at6native12_GLOBAL__N_125multi_tensor_apply_kernelINS1_18TensorListMetadataILi2EEENS1_21BinaryOpScalarFunctorIiLi2ELi1ELi1EEEJNS0_7minimumIiEEiEEEvT_T0_DpT1_
    .private_segment_fixed_size: 0
    .sgpr_count:     32
    .sgpr_spill_count: 0
    .symbol:         _ZN2at6native12_GLOBAL__N_125multi_tensor_apply_kernelINS1_18TensorListMetadataILi2EEENS1_21BinaryOpScalarFunctorIiLi2ELi1ELi1EEEJNS0_7minimumIiEEiEEEvT_T0_DpT1_.kd
    .uniform_work_group_size: 1
    .uses_dynamic_stack: false
    .vgpr_count:     30
    .vgpr_spill_count: 0
    .wavefront_size: 64
  - .agpr_count:     0
    .args:
      - .offset:         0
        .size:           3144
        .value_kind:     by_value
      - .offset:         3144
        .size:           1
        .value_kind:     by_value
      - .offset:         3145
        .size:           1
        .value_kind:     by_value
      - .offset:         3152
        .size:           8
        .value_kind:     by_value
      - .offset:         3160
        .size:           4
        .value_kind:     hidden_block_count_x
      - .offset:         3164
        .size:           4
        .value_kind:     hidden_block_count_y
      - .offset:         3168
        .size:           4
        .value_kind:     hidden_block_count_z
      - .offset:         3172
        .size:           2
        .value_kind:     hidden_group_size_x
      - .offset:         3174
        .size:           2
        .value_kind:     hidden_group_size_y
      - .offset:         3176
        .size:           2
        .value_kind:     hidden_group_size_z
      - .offset:         3178
        .size:           2
        .value_kind:     hidden_remainder_x
      - .offset:         3180
        .size:           2
        .value_kind:     hidden_remainder_y
      - .offset:         3182
        .size:           2
        .value_kind:     hidden_remainder_z
      - .offset:         3200
        .size:           8
        .value_kind:     hidden_global_offset_x
      - .offset:         3208
        .size:           8
        .value_kind:     hidden_global_offset_y
      - .offset:         3216
        .size:           8
        .value_kind:     hidden_global_offset_z
      - .offset:         3224
        .size:           2
        .value_kind:     hidden_grid_dims
    .group_segment_fixed_size: 0
    .kernarg_segment_align: 8
    .kernarg_segment_size: 3416
    .language:       OpenCL C
    .language_version:
      - 2
      - 0
    .max_flat_workgroup_size: 512
    .name:           _ZN2at6native12_GLOBAL__N_125multi_tensor_apply_kernelINS1_18TensorListMetadataILi2EEENS1_21BinaryOpScalarFunctorIlLi2ELi1ELi1EEEJNS0_7minimumIlEElEEEvT_T0_DpT1_
    .private_segment_fixed_size: 0
    .sgpr_count:     33
    .sgpr_spill_count: 0
    .symbol:         _ZN2at6native12_GLOBAL__N_125multi_tensor_apply_kernelINS1_18TensorListMetadataILi2EEENS1_21BinaryOpScalarFunctorIlLi2ELi1ELi1EEEJNS0_7minimumIlEElEEEvT_T0_DpT1_.kd
    .uniform_work_group_size: 1
    .uses_dynamic_stack: false
    .vgpr_count:     34
    .vgpr_spill_count: 0
    .wavefront_size: 64
  - .agpr_count:     0
    .args:
      - .offset:         0
        .size:           3144
        .value_kind:     by_value
      - .offset:         3144
        .size:           1
        .value_kind:     by_value
      - .offset:         3145
        .size:           1
        .value_kind:     by_value
      - .offset:         3146
        .size:           2
        .value_kind:     by_value
      - .offset:         3152
        .size:           4
        .value_kind:     hidden_block_count_x
      - .offset:         3156
        .size:           4
        .value_kind:     hidden_block_count_y
      - .offset:         3160
        .size:           4
        .value_kind:     hidden_block_count_z
      - .offset:         3164
        .size:           2
        .value_kind:     hidden_group_size_x
      - .offset:         3166
        .size:           2
        .value_kind:     hidden_group_size_y
      - .offset:         3168
        .size:           2
        .value_kind:     hidden_group_size_z
      - .offset:         3170
        .size:           2
        .value_kind:     hidden_remainder_x
      - .offset:         3172
        .size:           2
        .value_kind:     hidden_remainder_y
      - .offset:         3174
        .size:           2
        .value_kind:     hidden_remainder_z
      - .offset:         3192
        .size:           8
        .value_kind:     hidden_global_offset_x
      - .offset:         3200
        .size:           8
        .value_kind:     hidden_global_offset_y
      - .offset:         3208
        .size:           8
        .value_kind:     hidden_global_offset_z
      - .offset:         3216
        .size:           2
        .value_kind:     hidden_grid_dims
    .group_segment_fixed_size: 0
    .kernarg_segment_align: 8
    .kernarg_segment_size: 3408
    .language:       OpenCL C
    .language_version:
      - 2
      - 0
    .max_flat_workgroup_size: 512
    .name:           _ZN2at6native12_GLOBAL__N_125multi_tensor_apply_kernelINS1_18TensorListMetadataILi2EEENS1_21BinaryOpScalarFunctorIsLi2ELi1ELi1EEEJNS0_7minimumIsEEsEEEvT_T0_DpT1_
    .private_segment_fixed_size: 0
    .sgpr_count:     32
    .sgpr_spill_count: 0
    .symbol:         _ZN2at6native12_GLOBAL__N_125multi_tensor_apply_kernelINS1_18TensorListMetadataILi2EEENS1_21BinaryOpScalarFunctorIsLi2ELi1ELi1EEEJNS0_7minimumIsEEsEEEvT_T0_DpT1_.kd
    .uniform_work_group_size: 1
    .uses_dynamic_stack: false
    .vgpr_count:     30
    .vgpr_spill_count: 0
    .wavefront_size: 64
  - .agpr_count:     0
    .args:
      - .offset:         0
        .size:           3144
        .value_kind:     by_value
      - .offset:         3144
        .size:           1
        .value_kind:     by_value
      - .offset:         3145
        .size:           1
        .value_kind:     by_value
      - .offset:         3152
        .size:           8
        .value_kind:     by_value
      - .offset:         3160
        .size:           4
        .value_kind:     hidden_block_count_x
      - .offset:         3164
        .size:           4
        .value_kind:     hidden_block_count_y
      - .offset:         3168
        .size:           4
        .value_kind:     hidden_block_count_z
      - .offset:         3172
        .size:           2
        .value_kind:     hidden_group_size_x
      - .offset:         3174
        .size:           2
        .value_kind:     hidden_group_size_y
      - .offset:         3176
        .size:           2
        .value_kind:     hidden_group_size_z
      - .offset:         3178
        .size:           2
        .value_kind:     hidden_remainder_x
      - .offset:         3180
        .size:           2
        .value_kind:     hidden_remainder_y
      - .offset:         3182
        .size:           2
        .value_kind:     hidden_remainder_z
      - .offset:         3200
        .size:           8
        .value_kind:     hidden_global_offset_x
      - .offset:         3208
        .size:           8
        .value_kind:     hidden_global_offset_y
      - .offset:         3216
        .size:           8
        .value_kind:     hidden_global_offset_z
      - .offset:         3224
        .size:           2
        .value_kind:     hidden_grid_dims
    .group_segment_fixed_size: 0
    .kernarg_segment_align: 8
    .kernarg_segment_size: 3416
    .language:       OpenCL C
    .language_version:
      - 2
      - 0
    .max_flat_workgroup_size: 512
    .name:           _ZN2at6native12_GLOBAL__N_125multi_tensor_apply_kernelINS1_18TensorListMetadataILi2EEENS1_21BinaryOpScalarFunctorIdLi2ELi1ELi1EEEJNS0_7minimumIdEEdEEEvT_T0_DpT1_
    .private_segment_fixed_size: 0
    .sgpr_count:     34
    .sgpr_spill_count: 0
    .symbol:         _ZN2at6native12_GLOBAL__N_125multi_tensor_apply_kernelINS1_18TensorListMetadataILi2EEENS1_21BinaryOpScalarFunctorIdLi2ELi1ELi1EEEJNS0_7minimumIdEEdEEEvT_T0_DpT1_.kd
    .uniform_work_group_size: 1
    .uses_dynamic_stack: false
    .vgpr_count:     34
    .vgpr_spill_count: 0
    .wavefront_size: 64
  - .agpr_count:     0
    .args:
      - .offset:         0
        .size:           3144
        .value_kind:     by_value
      - .offset:         3144
        .size:           1
        .value_kind:     by_value
      - .offset:         3145
        .size:           1
        .value_kind:     by_value
      - .offset:         3148
        .size:           4
        .value_kind:     by_value
      - .offset:         3152
        .size:           4
        .value_kind:     hidden_block_count_x
      - .offset:         3156
        .size:           4
        .value_kind:     hidden_block_count_y
      - .offset:         3160
        .size:           4
        .value_kind:     hidden_block_count_z
      - .offset:         3164
        .size:           2
        .value_kind:     hidden_group_size_x
      - .offset:         3166
        .size:           2
        .value_kind:     hidden_group_size_y
      - .offset:         3168
        .size:           2
        .value_kind:     hidden_group_size_z
      - .offset:         3170
        .size:           2
        .value_kind:     hidden_remainder_x
      - .offset:         3172
        .size:           2
        .value_kind:     hidden_remainder_y
      - .offset:         3174
        .size:           2
        .value_kind:     hidden_remainder_z
      - .offset:         3192
        .size:           8
        .value_kind:     hidden_global_offset_x
      - .offset:         3200
        .size:           8
        .value_kind:     hidden_global_offset_y
      - .offset:         3208
        .size:           8
        .value_kind:     hidden_global_offset_z
      - .offset:         3216
        .size:           2
        .value_kind:     hidden_grid_dims
    .group_segment_fixed_size: 0
    .kernarg_segment_align: 8
    .kernarg_segment_size: 3408
    .language:       OpenCL C
    .language_version:
      - 2
      - 0
    .max_flat_workgroup_size: 512
    .name:           _ZN2at6native12_GLOBAL__N_125multi_tensor_apply_kernelINS1_18TensorListMetadataILi2EEENS1_21BinaryOpScalarFunctorIfLi2ELi1ELi1EEEJNS0_7minimumIfEEfEEEvT_T0_DpT1_
    .private_segment_fixed_size: 0
    .sgpr_count:     34
    .sgpr_spill_count: 0
    .symbol:         _ZN2at6native12_GLOBAL__N_125multi_tensor_apply_kernelINS1_18TensorListMetadataILi2EEENS1_21BinaryOpScalarFunctorIfLi2ELi1ELi1EEEJNS0_7minimumIfEEfEEEvT_T0_DpT1_.kd
    .uniform_work_group_size: 1
    .uses_dynamic_stack: false
    .vgpr_count:     30
    .vgpr_spill_count: 0
    .wavefront_size: 64
  - .agpr_count:     0
    .args:
      - .offset:         0
        .size:           3144
        .value_kind:     by_value
      - .offset:         3144
        .size:           1
        .value_kind:     by_value
      - .offset:         3145
        .size:           1
        .value_kind:     by_value
      - .offset:         3148
        .size:           4
        .value_kind:     by_value
      - .offset:         3152
        .size:           4
        .value_kind:     hidden_block_count_x
      - .offset:         3156
        .size:           4
        .value_kind:     hidden_block_count_y
      - .offset:         3160
        .size:           4
        .value_kind:     hidden_block_count_z
      - .offset:         3164
        .size:           2
        .value_kind:     hidden_group_size_x
      - .offset:         3166
        .size:           2
        .value_kind:     hidden_group_size_y
      - .offset:         3168
        .size:           2
        .value_kind:     hidden_group_size_z
      - .offset:         3170
        .size:           2
        .value_kind:     hidden_remainder_x
      - .offset:         3172
        .size:           2
        .value_kind:     hidden_remainder_y
      - .offset:         3174
        .size:           2
        .value_kind:     hidden_remainder_z
      - .offset:         3192
        .size:           8
        .value_kind:     hidden_global_offset_x
      - .offset:         3200
        .size:           8
        .value_kind:     hidden_global_offset_y
      - .offset:         3208
        .size:           8
        .value_kind:     hidden_global_offset_z
      - .offset:         3216
        .size:           2
        .value_kind:     hidden_grid_dims
    .group_segment_fixed_size: 0
    .kernarg_segment_align: 8
    .kernarg_segment_size: 3408
    .language:       OpenCL C
    .language_version:
      - 2
      - 0
    .max_flat_workgroup_size: 512
    .name:           _ZN2at6native12_GLOBAL__N_125multi_tensor_apply_kernelINS1_18TensorListMetadataILi2EEENS1_21BinaryOpScalarFunctorIN3c104HalfELi2ELi1ELi1EEEJNS0_7minimumIfEEfEEEvT_T0_DpT1_
    .private_segment_fixed_size: 0
    .sgpr_count:     36
    .sgpr_spill_count: 0
    .symbol:         _ZN2at6native12_GLOBAL__N_125multi_tensor_apply_kernelINS1_18TensorListMetadataILi2EEENS1_21BinaryOpScalarFunctorIN3c104HalfELi2ELi1ELi1EEEJNS0_7minimumIfEEfEEEvT_T0_DpT1_.kd
    .uniform_work_group_size: 1
    .uses_dynamic_stack: false
    .vgpr_count:     30
    .vgpr_spill_count: 0
    .wavefront_size: 64
  - .agpr_count:     0
    .args:
      - .offset:         0
        .size:           3144
        .value_kind:     by_value
      - .offset:         3144
        .size:           1
        .value_kind:     by_value
      - .offset:         3145
        .size:           1
        .value_kind:     by_value
      - .offset:         3148
        .size:           4
        .value_kind:     by_value
      - .offset:         3152
        .size:           4
        .value_kind:     hidden_block_count_x
      - .offset:         3156
        .size:           4
        .value_kind:     hidden_block_count_y
      - .offset:         3160
        .size:           4
        .value_kind:     hidden_block_count_z
      - .offset:         3164
        .size:           2
        .value_kind:     hidden_group_size_x
      - .offset:         3166
        .size:           2
        .value_kind:     hidden_group_size_y
      - .offset:         3168
        .size:           2
        .value_kind:     hidden_group_size_z
      - .offset:         3170
        .size:           2
        .value_kind:     hidden_remainder_x
      - .offset:         3172
        .size:           2
        .value_kind:     hidden_remainder_y
      - .offset:         3174
        .size:           2
        .value_kind:     hidden_remainder_z
      - .offset:         3192
        .size:           8
        .value_kind:     hidden_global_offset_x
      - .offset:         3200
        .size:           8
        .value_kind:     hidden_global_offset_y
      - .offset:         3208
        .size:           8
        .value_kind:     hidden_global_offset_z
      - .offset:         3216
        .size:           2
        .value_kind:     hidden_grid_dims
    .group_segment_fixed_size: 0
    .kernarg_segment_align: 8
    .kernarg_segment_size: 3408
    .language:       OpenCL C
    .language_version:
      - 2
      - 0
    .max_flat_workgroup_size: 512
    .name:           _ZN2at6native12_GLOBAL__N_125multi_tensor_apply_kernelINS1_18TensorListMetadataILi2EEENS1_21BinaryOpScalarFunctorIN3c108BFloat16ELi2ELi1ELi1EEEJNS0_7minimumIfEEfEEEvT_T0_DpT1_
    .private_segment_fixed_size: 0
    .sgpr_count:     33
    .sgpr_spill_count: 0
    .symbol:         _ZN2at6native12_GLOBAL__N_125multi_tensor_apply_kernelINS1_18TensorListMetadataILi2EEENS1_21BinaryOpScalarFunctorIN3c108BFloat16ELi2ELi1ELi1EEEJNS0_7minimumIfEEfEEEvT_T0_DpT1_.kd
    .uniform_work_group_size: 1
    .uses_dynamic_stack: false
    .vgpr_count:     31
    .vgpr_spill_count: 0
    .wavefront_size: 64
  - .agpr_count:     0
    .args:
      - .offset:         0
        .size:           3368
        .value_kind:     by_value
      - .offset:         3368
        .size:           1
        .value_kind:     by_value
      - .offset:         3369
        .size:           1
        .value_kind:     by_value
      - .offset:         3370
        .size:           1
        .value_kind:     by_value
      - .offset:         3376
        .size:           4
        .value_kind:     hidden_block_count_x
      - .offset:         3380
        .size:           4
        .value_kind:     hidden_block_count_y
      - .offset:         3384
        .size:           4
        .value_kind:     hidden_block_count_z
      - .offset:         3388
        .size:           2
        .value_kind:     hidden_group_size_x
      - .offset:         3390
        .size:           2
        .value_kind:     hidden_group_size_y
      - .offset:         3392
        .size:           2
        .value_kind:     hidden_group_size_z
      - .offset:         3394
        .size:           2
        .value_kind:     hidden_remainder_x
      - .offset:         3396
        .size:           2
        .value_kind:     hidden_remainder_y
      - .offset:         3398
        .size:           2
        .value_kind:     hidden_remainder_z
      - .offset:         3416
        .size:           8
        .value_kind:     hidden_global_offset_x
      - .offset:         3424
        .size:           8
        .value_kind:     hidden_global_offset_y
      - .offset:         3432
        .size:           8
        .value_kind:     hidden_global_offset_z
      - .offset:         3440
        .size:           2
        .value_kind:     hidden_grid_dims
    .group_segment_fixed_size: 0
    .kernarg_segment_align: 8
    .kernarg_segment_size: 3632
    .language:       OpenCL C
    .language_version:
      - 2
      - 0
    .max_flat_workgroup_size: 512
    .name:           _ZN2at6native12_GLOBAL__N_125multi_tensor_apply_kernelINS1_18TensorListMetadataILi1EEENS1_21BinaryOpScalarFunctorIhLi1ELi1ELi0EEEJNS0_7maximumIhEEhEEEvT_T0_DpT1_
    .private_segment_fixed_size: 0
    .sgpr_count:     26
    .sgpr_spill_count: 0
    .symbol:         _ZN2at6native12_GLOBAL__N_125multi_tensor_apply_kernelINS1_18TensorListMetadataILi1EEENS1_21BinaryOpScalarFunctorIhLi1ELi1ELi0EEEJNS0_7maximumIhEEhEEEvT_T0_DpT1_.kd
    .uniform_work_group_size: 1
    .uses_dynamic_stack: false
    .vgpr_count:     26
    .vgpr_spill_count: 0
    .wavefront_size: 64
  - .agpr_count:     0
    .args:
      - .offset:         0
        .size:           3368
        .value_kind:     by_value
      - .offset:         3368
        .size:           1
        .value_kind:     by_value
      - .offset:         3369
        .size:           1
        .value_kind:     by_value
      - .offset:         3370
        .size:           1
        .value_kind:     by_value
      - .offset:         3376
        .size:           4
        .value_kind:     hidden_block_count_x
      - .offset:         3380
        .size:           4
        .value_kind:     hidden_block_count_y
      - .offset:         3384
        .size:           4
        .value_kind:     hidden_block_count_z
      - .offset:         3388
        .size:           2
        .value_kind:     hidden_group_size_x
      - .offset:         3390
        .size:           2
        .value_kind:     hidden_group_size_y
      - .offset:         3392
        .size:           2
        .value_kind:     hidden_group_size_z
      - .offset:         3394
        .size:           2
        .value_kind:     hidden_remainder_x
      - .offset:         3396
        .size:           2
        .value_kind:     hidden_remainder_y
      - .offset:         3398
        .size:           2
        .value_kind:     hidden_remainder_z
      - .offset:         3416
        .size:           8
        .value_kind:     hidden_global_offset_x
      - .offset:         3424
        .size:           8
        .value_kind:     hidden_global_offset_y
      - .offset:         3432
        .size:           8
        .value_kind:     hidden_global_offset_z
      - .offset:         3440
        .size:           2
        .value_kind:     hidden_grid_dims
    .group_segment_fixed_size: 0
    .kernarg_segment_align: 8
    .kernarg_segment_size: 3632
    .language:       OpenCL C
    .language_version:
      - 2
      - 0
    .max_flat_workgroup_size: 512
    .name:           _ZN2at6native12_GLOBAL__N_125multi_tensor_apply_kernelINS1_18TensorListMetadataILi1EEENS1_21BinaryOpScalarFunctorIaLi1ELi1ELi0EEEJNS0_7maximumIaEEaEEEvT_T0_DpT1_
    .private_segment_fixed_size: 0
    .sgpr_count:     27
    .sgpr_spill_count: 0
    .symbol:         _ZN2at6native12_GLOBAL__N_125multi_tensor_apply_kernelINS1_18TensorListMetadataILi1EEENS1_21BinaryOpScalarFunctorIaLi1ELi1ELi0EEEJNS0_7maximumIaEEaEEEvT_T0_DpT1_.kd
    .uniform_work_group_size: 1
    .uses_dynamic_stack: false
    .vgpr_count:     26
    .vgpr_spill_count: 0
    .wavefront_size: 64
  - .agpr_count:     0
    .args:
      - .offset:         0
        .size:           3368
        .value_kind:     by_value
      - .offset:         3368
        .size:           1
        .value_kind:     by_value
      - .offset:         3369
        .size:           1
        .value_kind:     by_value
      - .offset:         3372
        .size:           4
        .value_kind:     by_value
      - .offset:         3376
        .size:           4
        .value_kind:     hidden_block_count_x
      - .offset:         3380
        .size:           4
        .value_kind:     hidden_block_count_y
      - .offset:         3384
        .size:           4
        .value_kind:     hidden_block_count_z
      - .offset:         3388
        .size:           2
        .value_kind:     hidden_group_size_x
      - .offset:         3390
        .size:           2
        .value_kind:     hidden_group_size_y
      - .offset:         3392
        .size:           2
        .value_kind:     hidden_group_size_z
      - .offset:         3394
        .size:           2
        .value_kind:     hidden_remainder_x
      - .offset:         3396
        .size:           2
        .value_kind:     hidden_remainder_y
      - .offset:         3398
        .size:           2
        .value_kind:     hidden_remainder_z
      - .offset:         3416
        .size:           8
        .value_kind:     hidden_global_offset_x
      - .offset:         3424
        .size:           8
        .value_kind:     hidden_global_offset_y
      - .offset:         3432
        .size:           8
        .value_kind:     hidden_global_offset_z
      - .offset:         3440
        .size:           2
        .value_kind:     hidden_grid_dims
    .group_segment_fixed_size: 0
    .kernarg_segment_align: 8
    .kernarg_segment_size: 3632
    .language:       OpenCL C
    .language_version:
      - 2
      - 0
    .max_flat_workgroup_size: 512
    .name:           _ZN2at6native12_GLOBAL__N_125multi_tensor_apply_kernelINS1_18TensorListMetadataILi1EEENS1_21BinaryOpScalarFunctorIiLi1ELi1ELi0EEEJNS0_7maximumIiEEiEEEvT_T0_DpT1_
    .private_segment_fixed_size: 0
    .sgpr_count:     33
    .sgpr_spill_count: 0
    .symbol:         _ZN2at6native12_GLOBAL__N_125multi_tensor_apply_kernelINS1_18TensorListMetadataILi1EEENS1_21BinaryOpScalarFunctorIiLi1ELi1ELi0EEEJNS0_7maximumIiEEiEEEvT_T0_DpT1_.kd
    .uniform_work_group_size: 1
    .uses_dynamic_stack: false
    .vgpr_count:     22
    .vgpr_spill_count: 0
    .wavefront_size: 64
  - .agpr_count:     0
    .args:
      - .offset:         0
        .size:           3368
        .value_kind:     by_value
      - .offset:         3368
        .size:           1
        .value_kind:     by_value
      - .offset:         3369
        .size:           1
        .value_kind:     by_value
      - .offset:         3376
        .size:           8
        .value_kind:     by_value
      - .offset:         3384
        .size:           4
        .value_kind:     hidden_block_count_x
      - .offset:         3388
        .size:           4
        .value_kind:     hidden_block_count_y
      - .offset:         3392
        .size:           4
        .value_kind:     hidden_block_count_z
      - .offset:         3396
        .size:           2
        .value_kind:     hidden_group_size_x
      - .offset:         3398
        .size:           2
        .value_kind:     hidden_group_size_y
      - .offset:         3400
        .size:           2
        .value_kind:     hidden_group_size_z
      - .offset:         3402
        .size:           2
        .value_kind:     hidden_remainder_x
      - .offset:         3404
        .size:           2
        .value_kind:     hidden_remainder_y
      - .offset:         3406
        .size:           2
        .value_kind:     hidden_remainder_z
      - .offset:         3424
        .size:           8
        .value_kind:     hidden_global_offset_x
      - .offset:         3432
        .size:           8
        .value_kind:     hidden_global_offset_y
      - .offset:         3440
        .size:           8
        .value_kind:     hidden_global_offset_z
      - .offset:         3448
        .size:           2
        .value_kind:     hidden_grid_dims
    .group_segment_fixed_size: 0
    .kernarg_segment_align: 8
    .kernarg_segment_size: 3640
    .language:       OpenCL C
    .language_version:
      - 2
      - 0
    .max_flat_workgroup_size: 512
    .name:           _ZN2at6native12_GLOBAL__N_125multi_tensor_apply_kernelINS1_18TensorListMetadataILi1EEENS1_21BinaryOpScalarFunctorIlLi1ELi1ELi0EEEJNS0_7maximumIlEElEEEvT_T0_DpT1_
    .private_segment_fixed_size: 0
    .sgpr_count:     34
    .sgpr_spill_count: 0
    .symbol:         _ZN2at6native12_GLOBAL__N_125multi_tensor_apply_kernelINS1_18TensorListMetadataILi1EEENS1_21BinaryOpScalarFunctorIlLi1ELi1ELi0EEEJNS0_7maximumIlEElEEEvT_T0_DpT1_.kd
    .uniform_work_group_size: 1
    .uses_dynamic_stack: false
    .vgpr_count:     24
    .vgpr_spill_count: 0
    .wavefront_size: 64
  - .agpr_count:     0
    .args:
      - .offset:         0
        .size:           3368
        .value_kind:     by_value
      - .offset:         3368
        .size:           1
        .value_kind:     by_value
      - .offset:         3369
        .size:           1
        .value_kind:     by_value
      - .offset:         3370
        .size:           2
        .value_kind:     by_value
      - .offset:         3376
        .size:           4
        .value_kind:     hidden_block_count_x
      - .offset:         3380
        .size:           4
        .value_kind:     hidden_block_count_y
      - .offset:         3384
        .size:           4
        .value_kind:     hidden_block_count_z
      - .offset:         3388
        .size:           2
        .value_kind:     hidden_group_size_x
      - .offset:         3390
        .size:           2
        .value_kind:     hidden_group_size_y
      - .offset:         3392
        .size:           2
        .value_kind:     hidden_group_size_z
      - .offset:         3394
        .size:           2
        .value_kind:     hidden_remainder_x
      - .offset:         3396
        .size:           2
        .value_kind:     hidden_remainder_y
      - .offset:         3398
        .size:           2
        .value_kind:     hidden_remainder_z
      - .offset:         3416
        .size:           8
        .value_kind:     hidden_global_offset_x
      - .offset:         3424
        .size:           8
        .value_kind:     hidden_global_offset_y
      - .offset:         3432
        .size:           8
        .value_kind:     hidden_global_offset_z
      - .offset:         3440
        .size:           2
        .value_kind:     hidden_grid_dims
    .group_segment_fixed_size: 0
    .kernarg_segment_align: 8
    .kernarg_segment_size: 3632
    .language:       OpenCL C
    .language_version:
      - 2
      - 0
    .max_flat_workgroup_size: 512
    .name:           _ZN2at6native12_GLOBAL__N_125multi_tensor_apply_kernelINS1_18TensorListMetadataILi1EEENS1_21BinaryOpScalarFunctorIsLi1ELi1ELi0EEEJNS0_7maximumIsEEsEEEvT_T0_DpT1_
    .private_segment_fixed_size: 0
    .sgpr_count:     32
    .sgpr_spill_count: 0
    .symbol:         _ZN2at6native12_GLOBAL__N_125multi_tensor_apply_kernelINS1_18TensorListMetadataILi1EEENS1_21BinaryOpScalarFunctorIsLi1ELi1ELi0EEEJNS0_7maximumIsEEsEEEvT_T0_DpT1_.kd
    .uniform_work_group_size: 1
    .uses_dynamic_stack: false
    .vgpr_count:     22
    .vgpr_spill_count: 0
    .wavefront_size: 64
  - .agpr_count:     0
    .args:
      - .offset:         0
        .size:           3368
        .value_kind:     by_value
      - .offset:         3368
        .size:           1
        .value_kind:     by_value
      - .offset:         3369
        .size:           1
        .value_kind:     by_value
      - .offset:         3376
        .size:           8
        .value_kind:     by_value
      - .offset:         3384
        .size:           4
        .value_kind:     hidden_block_count_x
      - .offset:         3388
        .size:           4
        .value_kind:     hidden_block_count_y
      - .offset:         3392
        .size:           4
        .value_kind:     hidden_block_count_z
      - .offset:         3396
        .size:           2
        .value_kind:     hidden_group_size_x
      - .offset:         3398
        .size:           2
        .value_kind:     hidden_group_size_y
      - .offset:         3400
        .size:           2
        .value_kind:     hidden_group_size_z
      - .offset:         3402
        .size:           2
        .value_kind:     hidden_remainder_x
      - .offset:         3404
        .size:           2
        .value_kind:     hidden_remainder_y
      - .offset:         3406
        .size:           2
        .value_kind:     hidden_remainder_z
      - .offset:         3424
        .size:           8
        .value_kind:     hidden_global_offset_x
      - .offset:         3432
        .size:           8
        .value_kind:     hidden_global_offset_y
      - .offset:         3440
        .size:           8
        .value_kind:     hidden_global_offset_z
      - .offset:         3448
        .size:           2
        .value_kind:     hidden_grid_dims
    .group_segment_fixed_size: 0
    .kernarg_segment_align: 8
    .kernarg_segment_size: 3640
    .language:       OpenCL C
    .language_version:
      - 2
      - 0
    .max_flat_workgroup_size: 512
    .name:           _ZN2at6native12_GLOBAL__N_125multi_tensor_apply_kernelINS1_18TensorListMetadataILi1EEENS1_21BinaryOpScalarFunctorIdLi1ELi1ELi0EEEJNS0_7maximumIdEEdEEEvT_T0_DpT1_
    .private_segment_fixed_size: 0
    .sgpr_count:     34
    .sgpr_spill_count: 0
    .symbol:         _ZN2at6native12_GLOBAL__N_125multi_tensor_apply_kernelINS1_18TensorListMetadataILi1EEENS1_21BinaryOpScalarFunctorIdLi1ELi1ELi0EEEJNS0_7maximumIdEEdEEEvT_T0_DpT1_.kd
    .uniform_work_group_size: 1
    .uses_dynamic_stack: false
    .vgpr_count:     24
    .vgpr_spill_count: 0
    .wavefront_size: 64
  - .agpr_count:     0
    .args:
      - .offset:         0
        .size:           3368
        .value_kind:     by_value
      - .offset:         3368
        .size:           1
        .value_kind:     by_value
      - .offset:         3369
        .size:           1
        .value_kind:     by_value
      - .offset:         3372
        .size:           4
        .value_kind:     by_value
      - .offset:         3376
        .size:           4
        .value_kind:     hidden_block_count_x
      - .offset:         3380
        .size:           4
        .value_kind:     hidden_block_count_y
      - .offset:         3384
        .size:           4
        .value_kind:     hidden_block_count_z
      - .offset:         3388
        .size:           2
        .value_kind:     hidden_group_size_x
      - .offset:         3390
        .size:           2
        .value_kind:     hidden_group_size_y
      - .offset:         3392
        .size:           2
        .value_kind:     hidden_group_size_z
      - .offset:         3394
        .size:           2
        .value_kind:     hidden_remainder_x
      - .offset:         3396
        .size:           2
        .value_kind:     hidden_remainder_y
      - .offset:         3398
        .size:           2
        .value_kind:     hidden_remainder_z
      - .offset:         3416
        .size:           8
        .value_kind:     hidden_global_offset_x
      - .offset:         3424
        .size:           8
        .value_kind:     hidden_global_offset_y
      - .offset:         3432
        .size:           8
        .value_kind:     hidden_global_offset_z
      - .offset:         3440
        .size:           2
        .value_kind:     hidden_grid_dims
    .group_segment_fixed_size: 0
    .kernarg_segment_align: 8
    .kernarg_segment_size: 3632
    .language:       OpenCL C
    .language_version:
      - 2
      - 0
    .max_flat_workgroup_size: 512
    .name:           _ZN2at6native12_GLOBAL__N_125multi_tensor_apply_kernelINS1_18TensorListMetadataILi1EEENS1_21BinaryOpScalarFunctorIfLi1ELi1ELi0EEEJNS0_7maximumIfEEfEEEvT_T0_DpT1_
    .private_segment_fixed_size: 0
    .sgpr_count:     33
    .sgpr_spill_count: 0
    .symbol:         _ZN2at6native12_GLOBAL__N_125multi_tensor_apply_kernelINS1_18TensorListMetadataILi1EEENS1_21BinaryOpScalarFunctorIfLi1ELi1ELi0EEEJNS0_7maximumIfEEfEEEvT_T0_DpT1_.kd
    .uniform_work_group_size: 1
    .uses_dynamic_stack: false
    .vgpr_count:     22
    .vgpr_spill_count: 0
    .wavefront_size: 64
  - .agpr_count:     0
    .args:
      - .offset:         0
        .size:           3368
        .value_kind:     by_value
      - .offset:         3368
        .size:           1
        .value_kind:     by_value
      - .offset:         3369
        .size:           1
        .value_kind:     by_value
      - .offset:         3372
        .size:           4
        .value_kind:     by_value
      - .offset:         3376
        .size:           4
        .value_kind:     hidden_block_count_x
      - .offset:         3380
        .size:           4
        .value_kind:     hidden_block_count_y
      - .offset:         3384
        .size:           4
        .value_kind:     hidden_block_count_z
      - .offset:         3388
        .size:           2
        .value_kind:     hidden_group_size_x
      - .offset:         3390
        .size:           2
        .value_kind:     hidden_group_size_y
      - .offset:         3392
        .size:           2
        .value_kind:     hidden_group_size_z
      - .offset:         3394
        .size:           2
        .value_kind:     hidden_remainder_x
      - .offset:         3396
        .size:           2
        .value_kind:     hidden_remainder_y
      - .offset:         3398
        .size:           2
        .value_kind:     hidden_remainder_z
      - .offset:         3416
        .size:           8
        .value_kind:     hidden_global_offset_x
      - .offset:         3424
        .size:           8
        .value_kind:     hidden_global_offset_y
      - .offset:         3432
        .size:           8
        .value_kind:     hidden_global_offset_z
      - .offset:         3440
        .size:           2
        .value_kind:     hidden_grid_dims
    .group_segment_fixed_size: 0
    .kernarg_segment_align: 8
    .kernarg_segment_size: 3632
    .language:       OpenCL C
    .language_version:
      - 2
      - 0
    .max_flat_workgroup_size: 512
    .name:           _ZN2at6native12_GLOBAL__N_125multi_tensor_apply_kernelINS1_18TensorListMetadataILi1EEENS1_21BinaryOpScalarFunctorIN3c104HalfELi1ELi1ELi0EEEJNS0_7maximumIfEEfEEEvT_T0_DpT1_
    .private_segment_fixed_size: 0
    .sgpr_count:     34
    .sgpr_spill_count: 0
    .symbol:         _ZN2at6native12_GLOBAL__N_125multi_tensor_apply_kernelINS1_18TensorListMetadataILi1EEENS1_21BinaryOpScalarFunctorIN3c104HalfELi1ELi1ELi0EEEJNS0_7maximumIfEEfEEEvT_T0_DpT1_.kd
    .uniform_work_group_size: 1
    .uses_dynamic_stack: false
    .vgpr_count:     24
    .vgpr_spill_count: 0
    .wavefront_size: 64
  - .agpr_count:     0
    .args:
      - .offset:         0
        .size:           3368
        .value_kind:     by_value
      - .offset:         3368
        .size:           1
        .value_kind:     by_value
      - .offset:         3369
        .size:           1
        .value_kind:     by_value
      - .offset:         3372
        .size:           4
        .value_kind:     by_value
      - .offset:         3376
        .size:           4
        .value_kind:     hidden_block_count_x
      - .offset:         3380
        .size:           4
        .value_kind:     hidden_block_count_y
      - .offset:         3384
        .size:           4
        .value_kind:     hidden_block_count_z
      - .offset:         3388
        .size:           2
        .value_kind:     hidden_group_size_x
      - .offset:         3390
        .size:           2
        .value_kind:     hidden_group_size_y
      - .offset:         3392
        .size:           2
        .value_kind:     hidden_group_size_z
      - .offset:         3394
        .size:           2
        .value_kind:     hidden_remainder_x
      - .offset:         3396
        .size:           2
        .value_kind:     hidden_remainder_y
      - .offset:         3398
        .size:           2
        .value_kind:     hidden_remainder_z
      - .offset:         3416
        .size:           8
        .value_kind:     hidden_global_offset_x
      - .offset:         3424
        .size:           8
        .value_kind:     hidden_global_offset_y
      - .offset:         3432
        .size:           8
        .value_kind:     hidden_global_offset_z
      - .offset:         3440
        .size:           2
        .value_kind:     hidden_grid_dims
    .group_segment_fixed_size: 0
    .kernarg_segment_align: 8
    .kernarg_segment_size: 3632
    .language:       OpenCL C
    .language_version:
      - 2
      - 0
    .max_flat_workgroup_size: 512
    .name:           _ZN2at6native12_GLOBAL__N_125multi_tensor_apply_kernelINS1_18TensorListMetadataILi1EEENS1_21BinaryOpScalarFunctorIN3c108BFloat16ELi1ELi1ELi0EEEJNS0_7maximumIfEEfEEEvT_T0_DpT1_
    .private_segment_fixed_size: 0
    .sgpr_count:     33
    .sgpr_spill_count: 0
    .symbol:         _ZN2at6native12_GLOBAL__N_125multi_tensor_apply_kernelINS1_18TensorListMetadataILi1EEENS1_21BinaryOpScalarFunctorIN3c108BFloat16ELi1ELi1ELi0EEEJNS0_7maximumIfEEfEEEvT_T0_DpT1_.kd
    .uniform_work_group_size: 1
    .uses_dynamic_stack: false
    .vgpr_count:     24
    .vgpr_spill_count: 0
    .wavefront_size: 64
  - .agpr_count:     0
    .args:
      - .offset:         0
        .size:           3144
        .value_kind:     by_value
      - .offset:         3144
        .size:           1
        .value_kind:     by_value
      - .offset:         3145
        .size:           1
        .value_kind:     by_value
      - .offset:         3146
        .size:           1
        .value_kind:     by_value
      - .offset:         3152
        .size:           4
        .value_kind:     hidden_block_count_x
      - .offset:         3156
        .size:           4
        .value_kind:     hidden_block_count_y
      - .offset:         3160
        .size:           4
        .value_kind:     hidden_block_count_z
      - .offset:         3164
        .size:           2
        .value_kind:     hidden_group_size_x
      - .offset:         3166
        .size:           2
        .value_kind:     hidden_group_size_y
      - .offset:         3168
        .size:           2
        .value_kind:     hidden_group_size_z
      - .offset:         3170
        .size:           2
        .value_kind:     hidden_remainder_x
      - .offset:         3172
        .size:           2
        .value_kind:     hidden_remainder_y
      - .offset:         3174
        .size:           2
        .value_kind:     hidden_remainder_z
      - .offset:         3192
        .size:           8
        .value_kind:     hidden_global_offset_x
      - .offset:         3200
        .size:           8
        .value_kind:     hidden_global_offset_y
      - .offset:         3208
        .size:           8
        .value_kind:     hidden_global_offset_z
      - .offset:         3216
        .size:           2
        .value_kind:     hidden_grid_dims
    .group_segment_fixed_size: 0
    .kernarg_segment_align: 8
    .kernarg_segment_size: 3408
    .language:       OpenCL C
    .language_version:
      - 2
      - 0
    .max_flat_workgroup_size: 512
    .name:           _ZN2at6native12_GLOBAL__N_125multi_tensor_apply_kernelINS1_18TensorListMetadataILi2EEENS1_21BinaryOpScalarFunctorIhLi2ELi1ELi1EEEJNS0_7maximumIhEEhEEEvT_T0_DpT1_
    .private_segment_fixed_size: 0
    .sgpr_count:     28
    .sgpr_spill_count: 0
    .symbol:         _ZN2at6native12_GLOBAL__N_125multi_tensor_apply_kernelINS1_18TensorListMetadataILi2EEENS1_21BinaryOpScalarFunctorIhLi2ELi1ELi1EEEJNS0_7maximumIhEEhEEEvT_T0_DpT1_.kd
    .uniform_work_group_size: 1
    .uses_dynamic_stack: false
    .vgpr_count:     32
    .vgpr_spill_count: 0
    .wavefront_size: 64
  - .agpr_count:     0
    .args:
      - .offset:         0
        .size:           3144
        .value_kind:     by_value
      - .offset:         3144
        .size:           1
        .value_kind:     by_value
      - .offset:         3145
        .size:           1
        .value_kind:     by_value
      - .offset:         3146
        .size:           1
        .value_kind:     by_value
      - .offset:         3152
        .size:           4
        .value_kind:     hidden_block_count_x
      - .offset:         3156
        .size:           4
        .value_kind:     hidden_block_count_y
      - .offset:         3160
        .size:           4
        .value_kind:     hidden_block_count_z
      - .offset:         3164
        .size:           2
        .value_kind:     hidden_group_size_x
      - .offset:         3166
        .size:           2
        .value_kind:     hidden_group_size_y
      - .offset:         3168
        .size:           2
        .value_kind:     hidden_group_size_z
      - .offset:         3170
        .size:           2
        .value_kind:     hidden_remainder_x
      - .offset:         3172
        .size:           2
        .value_kind:     hidden_remainder_y
      - .offset:         3174
        .size:           2
        .value_kind:     hidden_remainder_z
      - .offset:         3192
        .size:           8
        .value_kind:     hidden_global_offset_x
      - .offset:         3200
        .size:           8
        .value_kind:     hidden_global_offset_y
      - .offset:         3208
        .size:           8
        .value_kind:     hidden_global_offset_z
      - .offset:         3216
        .size:           2
        .value_kind:     hidden_grid_dims
    .group_segment_fixed_size: 0
    .kernarg_segment_align: 8
    .kernarg_segment_size: 3408
    .language:       OpenCL C
    .language_version:
      - 2
      - 0
    .max_flat_workgroup_size: 512
    .name:           _ZN2at6native12_GLOBAL__N_125multi_tensor_apply_kernelINS1_18TensorListMetadataILi2EEENS1_21BinaryOpScalarFunctorIaLi2ELi1ELi1EEEJNS0_7maximumIaEEaEEEvT_T0_DpT1_
    .private_segment_fixed_size: 0
    .sgpr_count:     28
    .sgpr_spill_count: 0
    .symbol:         _ZN2at6native12_GLOBAL__N_125multi_tensor_apply_kernelINS1_18TensorListMetadataILi2EEENS1_21BinaryOpScalarFunctorIaLi2ELi1ELi1EEEJNS0_7maximumIaEEaEEEvT_T0_DpT1_.kd
    .uniform_work_group_size: 1
    .uses_dynamic_stack: false
    .vgpr_count:     32
    .vgpr_spill_count: 0
    .wavefront_size: 64
  - .agpr_count:     0
    .args:
      - .offset:         0
        .size:           3144
        .value_kind:     by_value
      - .offset:         3144
        .size:           1
        .value_kind:     by_value
      - .offset:         3145
        .size:           1
        .value_kind:     by_value
      - .offset:         3148
        .size:           4
        .value_kind:     by_value
      - .offset:         3152
        .size:           4
        .value_kind:     hidden_block_count_x
      - .offset:         3156
        .size:           4
        .value_kind:     hidden_block_count_y
      - .offset:         3160
        .size:           4
        .value_kind:     hidden_block_count_z
      - .offset:         3164
        .size:           2
        .value_kind:     hidden_group_size_x
      - .offset:         3166
        .size:           2
        .value_kind:     hidden_group_size_y
      - .offset:         3168
        .size:           2
        .value_kind:     hidden_group_size_z
      - .offset:         3170
        .size:           2
        .value_kind:     hidden_remainder_x
      - .offset:         3172
        .size:           2
        .value_kind:     hidden_remainder_y
      - .offset:         3174
        .size:           2
        .value_kind:     hidden_remainder_z
      - .offset:         3192
        .size:           8
        .value_kind:     hidden_global_offset_x
      - .offset:         3200
        .size:           8
        .value_kind:     hidden_global_offset_y
      - .offset:         3208
        .size:           8
        .value_kind:     hidden_global_offset_z
      - .offset:         3216
        .size:           2
        .value_kind:     hidden_grid_dims
    .group_segment_fixed_size: 0
    .kernarg_segment_align: 8
    .kernarg_segment_size: 3408
    .language:       OpenCL C
    .language_version:
      - 2
      - 0
    .max_flat_workgroup_size: 512
    .name:           _ZN2at6native12_GLOBAL__N_125multi_tensor_apply_kernelINS1_18TensorListMetadataILi2EEENS1_21BinaryOpScalarFunctorIiLi2ELi1ELi1EEEJNS0_7maximumIiEEiEEEvT_T0_DpT1_
    .private_segment_fixed_size: 0
    .sgpr_count:     32
    .sgpr_spill_count: 0
    .symbol:         _ZN2at6native12_GLOBAL__N_125multi_tensor_apply_kernelINS1_18TensorListMetadataILi2EEENS1_21BinaryOpScalarFunctorIiLi2ELi1ELi1EEEJNS0_7maximumIiEEiEEEvT_T0_DpT1_.kd
    .uniform_work_group_size: 1
    .uses_dynamic_stack: false
    .vgpr_count:     30
    .vgpr_spill_count: 0
    .wavefront_size: 64
  - .agpr_count:     0
    .args:
      - .offset:         0
        .size:           3144
        .value_kind:     by_value
      - .offset:         3144
        .size:           1
        .value_kind:     by_value
      - .offset:         3145
        .size:           1
        .value_kind:     by_value
      - .offset:         3152
        .size:           8
        .value_kind:     by_value
      - .offset:         3160
        .size:           4
        .value_kind:     hidden_block_count_x
      - .offset:         3164
        .size:           4
        .value_kind:     hidden_block_count_y
      - .offset:         3168
        .size:           4
        .value_kind:     hidden_block_count_z
      - .offset:         3172
        .size:           2
        .value_kind:     hidden_group_size_x
      - .offset:         3174
        .size:           2
        .value_kind:     hidden_group_size_y
      - .offset:         3176
        .size:           2
        .value_kind:     hidden_group_size_z
      - .offset:         3178
        .size:           2
        .value_kind:     hidden_remainder_x
      - .offset:         3180
        .size:           2
        .value_kind:     hidden_remainder_y
      - .offset:         3182
        .size:           2
        .value_kind:     hidden_remainder_z
      - .offset:         3200
        .size:           8
        .value_kind:     hidden_global_offset_x
      - .offset:         3208
        .size:           8
        .value_kind:     hidden_global_offset_y
      - .offset:         3216
        .size:           8
        .value_kind:     hidden_global_offset_z
      - .offset:         3224
        .size:           2
        .value_kind:     hidden_grid_dims
    .group_segment_fixed_size: 0
    .kernarg_segment_align: 8
    .kernarg_segment_size: 3416
    .language:       OpenCL C
    .language_version:
      - 2
      - 0
    .max_flat_workgroup_size: 512
    .name:           _ZN2at6native12_GLOBAL__N_125multi_tensor_apply_kernelINS1_18TensorListMetadataILi2EEENS1_21BinaryOpScalarFunctorIlLi2ELi1ELi1EEEJNS0_7maximumIlEElEEEvT_T0_DpT1_
    .private_segment_fixed_size: 0
    .sgpr_count:     33
    .sgpr_spill_count: 0
    .symbol:         _ZN2at6native12_GLOBAL__N_125multi_tensor_apply_kernelINS1_18TensorListMetadataILi2EEENS1_21BinaryOpScalarFunctorIlLi2ELi1ELi1EEEJNS0_7maximumIlEElEEEvT_T0_DpT1_.kd
    .uniform_work_group_size: 1
    .uses_dynamic_stack: false
    .vgpr_count:     34
    .vgpr_spill_count: 0
    .wavefront_size: 64
  - .agpr_count:     0
    .args:
      - .offset:         0
        .size:           3144
        .value_kind:     by_value
      - .offset:         3144
        .size:           1
        .value_kind:     by_value
      - .offset:         3145
        .size:           1
        .value_kind:     by_value
      - .offset:         3146
        .size:           2
        .value_kind:     by_value
      - .offset:         3152
        .size:           4
        .value_kind:     hidden_block_count_x
      - .offset:         3156
        .size:           4
        .value_kind:     hidden_block_count_y
      - .offset:         3160
        .size:           4
        .value_kind:     hidden_block_count_z
      - .offset:         3164
        .size:           2
        .value_kind:     hidden_group_size_x
      - .offset:         3166
        .size:           2
        .value_kind:     hidden_group_size_y
      - .offset:         3168
        .size:           2
        .value_kind:     hidden_group_size_z
      - .offset:         3170
        .size:           2
        .value_kind:     hidden_remainder_x
      - .offset:         3172
        .size:           2
        .value_kind:     hidden_remainder_y
      - .offset:         3174
        .size:           2
        .value_kind:     hidden_remainder_z
      - .offset:         3192
        .size:           8
        .value_kind:     hidden_global_offset_x
      - .offset:         3200
        .size:           8
        .value_kind:     hidden_global_offset_y
      - .offset:         3208
        .size:           8
        .value_kind:     hidden_global_offset_z
      - .offset:         3216
        .size:           2
        .value_kind:     hidden_grid_dims
    .group_segment_fixed_size: 0
    .kernarg_segment_align: 8
    .kernarg_segment_size: 3408
    .language:       OpenCL C
    .language_version:
      - 2
      - 0
    .max_flat_workgroup_size: 512
    .name:           _ZN2at6native12_GLOBAL__N_125multi_tensor_apply_kernelINS1_18TensorListMetadataILi2EEENS1_21BinaryOpScalarFunctorIsLi2ELi1ELi1EEEJNS0_7maximumIsEEsEEEvT_T0_DpT1_
    .private_segment_fixed_size: 0
    .sgpr_count:     32
    .sgpr_spill_count: 0
    .symbol:         _ZN2at6native12_GLOBAL__N_125multi_tensor_apply_kernelINS1_18TensorListMetadataILi2EEENS1_21BinaryOpScalarFunctorIsLi2ELi1ELi1EEEJNS0_7maximumIsEEsEEEvT_T0_DpT1_.kd
    .uniform_work_group_size: 1
    .uses_dynamic_stack: false
    .vgpr_count:     30
    .vgpr_spill_count: 0
    .wavefront_size: 64
  - .agpr_count:     0
    .args:
      - .offset:         0
        .size:           3144
        .value_kind:     by_value
      - .offset:         3144
        .size:           1
        .value_kind:     by_value
      - .offset:         3145
        .size:           1
        .value_kind:     by_value
      - .offset:         3152
        .size:           8
        .value_kind:     by_value
      - .offset:         3160
        .size:           4
        .value_kind:     hidden_block_count_x
      - .offset:         3164
        .size:           4
        .value_kind:     hidden_block_count_y
      - .offset:         3168
        .size:           4
        .value_kind:     hidden_block_count_z
      - .offset:         3172
        .size:           2
        .value_kind:     hidden_group_size_x
      - .offset:         3174
        .size:           2
        .value_kind:     hidden_group_size_y
      - .offset:         3176
        .size:           2
        .value_kind:     hidden_group_size_z
      - .offset:         3178
        .size:           2
        .value_kind:     hidden_remainder_x
      - .offset:         3180
        .size:           2
        .value_kind:     hidden_remainder_y
      - .offset:         3182
        .size:           2
        .value_kind:     hidden_remainder_z
      - .offset:         3200
        .size:           8
        .value_kind:     hidden_global_offset_x
      - .offset:         3208
        .size:           8
        .value_kind:     hidden_global_offset_y
      - .offset:         3216
        .size:           8
        .value_kind:     hidden_global_offset_z
      - .offset:         3224
        .size:           2
        .value_kind:     hidden_grid_dims
    .group_segment_fixed_size: 0
    .kernarg_segment_align: 8
    .kernarg_segment_size: 3416
    .language:       OpenCL C
    .language_version:
      - 2
      - 0
    .max_flat_workgroup_size: 512
    .name:           _ZN2at6native12_GLOBAL__N_125multi_tensor_apply_kernelINS1_18TensorListMetadataILi2EEENS1_21BinaryOpScalarFunctorIdLi2ELi1ELi1EEEJNS0_7maximumIdEEdEEEvT_T0_DpT1_
    .private_segment_fixed_size: 0
    .sgpr_count:     34
    .sgpr_spill_count: 0
    .symbol:         _ZN2at6native12_GLOBAL__N_125multi_tensor_apply_kernelINS1_18TensorListMetadataILi2EEENS1_21BinaryOpScalarFunctorIdLi2ELi1ELi1EEEJNS0_7maximumIdEEdEEEvT_T0_DpT1_.kd
    .uniform_work_group_size: 1
    .uses_dynamic_stack: false
    .vgpr_count:     34
    .vgpr_spill_count: 0
    .wavefront_size: 64
  - .agpr_count:     0
    .args:
      - .offset:         0
        .size:           3144
        .value_kind:     by_value
      - .offset:         3144
        .size:           1
        .value_kind:     by_value
      - .offset:         3145
        .size:           1
        .value_kind:     by_value
      - .offset:         3148
        .size:           4
        .value_kind:     by_value
      - .offset:         3152
        .size:           4
        .value_kind:     hidden_block_count_x
      - .offset:         3156
        .size:           4
        .value_kind:     hidden_block_count_y
      - .offset:         3160
        .size:           4
        .value_kind:     hidden_block_count_z
      - .offset:         3164
        .size:           2
        .value_kind:     hidden_group_size_x
      - .offset:         3166
        .size:           2
        .value_kind:     hidden_group_size_y
      - .offset:         3168
        .size:           2
        .value_kind:     hidden_group_size_z
      - .offset:         3170
        .size:           2
        .value_kind:     hidden_remainder_x
      - .offset:         3172
        .size:           2
        .value_kind:     hidden_remainder_y
      - .offset:         3174
        .size:           2
        .value_kind:     hidden_remainder_z
      - .offset:         3192
        .size:           8
        .value_kind:     hidden_global_offset_x
      - .offset:         3200
        .size:           8
        .value_kind:     hidden_global_offset_y
      - .offset:         3208
        .size:           8
        .value_kind:     hidden_global_offset_z
      - .offset:         3216
        .size:           2
        .value_kind:     hidden_grid_dims
    .group_segment_fixed_size: 0
    .kernarg_segment_align: 8
    .kernarg_segment_size: 3408
    .language:       OpenCL C
    .language_version:
      - 2
      - 0
    .max_flat_workgroup_size: 512
    .name:           _ZN2at6native12_GLOBAL__N_125multi_tensor_apply_kernelINS1_18TensorListMetadataILi2EEENS1_21BinaryOpScalarFunctorIfLi2ELi1ELi1EEEJNS0_7maximumIfEEfEEEvT_T0_DpT1_
    .private_segment_fixed_size: 0
    .sgpr_count:     34
    .sgpr_spill_count: 0
    .symbol:         _ZN2at6native12_GLOBAL__N_125multi_tensor_apply_kernelINS1_18TensorListMetadataILi2EEENS1_21BinaryOpScalarFunctorIfLi2ELi1ELi1EEEJNS0_7maximumIfEEfEEEvT_T0_DpT1_.kd
    .uniform_work_group_size: 1
    .uses_dynamic_stack: false
    .vgpr_count:     30
    .vgpr_spill_count: 0
    .wavefront_size: 64
  - .agpr_count:     0
    .args:
      - .offset:         0
        .size:           3144
        .value_kind:     by_value
      - .offset:         3144
        .size:           1
        .value_kind:     by_value
      - .offset:         3145
        .size:           1
        .value_kind:     by_value
      - .offset:         3148
        .size:           4
        .value_kind:     by_value
      - .offset:         3152
        .size:           4
        .value_kind:     hidden_block_count_x
      - .offset:         3156
        .size:           4
        .value_kind:     hidden_block_count_y
      - .offset:         3160
        .size:           4
        .value_kind:     hidden_block_count_z
      - .offset:         3164
        .size:           2
        .value_kind:     hidden_group_size_x
      - .offset:         3166
        .size:           2
        .value_kind:     hidden_group_size_y
      - .offset:         3168
        .size:           2
        .value_kind:     hidden_group_size_z
      - .offset:         3170
        .size:           2
        .value_kind:     hidden_remainder_x
      - .offset:         3172
        .size:           2
        .value_kind:     hidden_remainder_y
      - .offset:         3174
        .size:           2
        .value_kind:     hidden_remainder_z
      - .offset:         3192
        .size:           8
        .value_kind:     hidden_global_offset_x
      - .offset:         3200
        .size:           8
        .value_kind:     hidden_global_offset_y
      - .offset:         3208
        .size:           8
        .value_kind:     hidden_global_offset_z
      - .offset:         3216
        .size:           2
        .value_kind:     hidden_grid_dims
    .group_segment_fixed_size: 0
    .kernarg_segment_align: 8
    .kernarg_segment_size: 3408
    .language:       OpenCL C
    .language_version:
      - 2
      - 0
    .max_flat_workgroup_size: 512
    .name:           _ZN2at6native12_GLOBAL__N_125multi_tensor_apply_kernelINS1_18TensorListMetadataILi2EEENS1_21BinaryOpScalarFunctorIN3c104HalfELi2ELi1ELi1EEEJNS0_7maximumIfEEfEEEvT_T0_DpT1_
    .private_segment_fixed_size: 0
    .sgpr_count:     36
    .sgpr_spill_count: 0
    .symbol:         _ZN2at6native12_GLOBAL__N_125multi_tensor_apply_kernelINS1_18TensorListMetadataILi2EEENS1_21BinaryOpScalarFunctorIN3c104HalfELi2ELi1ELi1EEEJNS0_7maximumIfEEfEEEvT_T0_DpT1_.kd
    .uniform_work_group_size: 1
    .uses_dynamic_stack: false
    .vgpr_count:     30
    .vgpr_spill_count: 0
    .wavefront_size: 64
  - .agpr_count:     0
    .args:
      - .offset:         0
        .size:           3144
        .value_kind:     by_value
      - .offset:         3144
        .size:           1
        .value_kind:     by_value
      - .offset:         3145
        .size:           1
        .value_kind:     by_value
      - .offset:         3148
        .size:           4
        .value_kind:     by_value
      - .offset:         3152
        .size:           4
        .value_kind:     hidden_block_count_x
      - .offset:         3156
        .size:           4
        .value_kind:     hidden_block_count_y
      - .offset:         3160
        .size:           4
        .value_kind:     hidden_block_count_z
      - .offset:         3164
        .size:           2
        .value_kind:     hidden_group_size_x
      - .offset:         3166
        .size:           2
        .value_kind:     hidden_group_size_y
      - .offset:         3168
        .size:           2
        .value_kind:     hidden_group_size_z
      - .offset:         3170
        .size:           2
        .value_kind:     hidden_remainder_x
      - .offset:         3172
        .size:           2
        .value_kind:     hidden_remainder_y
      - .offset:         3174
        .size:           2
        .value_kind:     hidden_remainder_z
      - .offset:         3192
        .size:           8
        .value_kind:     hidden_global_offset_x
      - .offset:         3200
        .size:           8
        .value_kind:     hidden_global_offset_y
      - .offset:         3208
        .size:           8
        .value_kind:     hidden_global_offset_z
      - .offset:         3216
        .size:           2
        .value_kind:     hidden_grid_dims
    .group_segment_fixed_size: 0
    .kernarg_segment_align: 8
    .kernarg_segment_size: 3408
    .language:       OpenCL C
    .language_version:
      - 2
      - 0
    .max_flat_workgroup_size: 512
    .name:           _ZN2at6native12_GLOBAL__N_125multi_tensor_apply_kernelINS1_18TensorListMetadataILi2EEENS1_21BinaryOpScalarFunctorIN3c108BFloat16ELi2ELi1ELi1EEEJNS0_7maximumIfEEfEEEvT_T0_DpT1_
    .private_segment_fixed_size: 0
    .sgpr_count:     33
    .sgpr_spill_count: 0
    .symbol:         _ZN2at6native12_GLOBAL__N_125multi_tensor_apply_kernelINS1_18TensorListMetadataILi2EEENS1_21BinaryOpScalarFunctorIN3c108BFloat16ELi2ELi1ELi1EEEJNS0_7maximumIfEEfEEEvT_T0_DpT1_.kd
    .uniform_work_group_size: 1
    .uses_dynamic_stack: false
    .vgpr_count:     31
    .vgpr_spill_count: 0
    .wavefront_size: 64
amdhsa.target:   amdgcn-amd-amdhsa--gfx90a
amdhsa.version:
  - 1
  - 2
...

	.end_amdgpu_metadata
